;; amdgpu-corpus repo=pytorch/pytorch kind=compiled arch=gfx1100 opt=O3
	.text
	.amdgcn_target "amdgcn-amd-amdhsa--gfx1100"
	.amdhsa_code_object_version 6
	.section	.text._ZN7rocprim17ROCPRIM_304000_NS6detail28radix_sort_block_sort_kernelINS1_36wrapped_radix_sort_block_sort_configINS0_13kernel_configILj256ELj4ELj4294967295EEEhN2at4cuda3cub6detail10OpaqueTypeILi8EEEEELb1EPKhPhPKSB_PSB_NS0_19identity_decomposerEEEvT1_T2_T3_T4_jT5_jj,"axG",@progbits,_ZN7rocprim17ROCPRIM_304000_NS6detail28radix_sort_block_sort_kernelINS1_36wrapped_radix_sort_block_sort_configINS0_13kernel_configILj256ELj4ELj4294967295EEEhN2at4cuda3cub6detail10OpaqueTypeILi8EEEEELb1EPKhPhPKSB_PSB_NS0_19identity_decomposerEEEvT1_T2_T3_T4_jT5_jj,comdat
	.protected	_ZN7rocprim17ROCPRIM_304000_NS6detail28radix_sort_block_sort_kernelINS1_36wrapped_radix_sort_block_sort_configINS0_13kernel_configILj256ELj4ELj4294967295EEEhN2at4cuda3cub6detail10OpaqueTypeILi8EEEEELb1EPKhPhPKSB_PSB_NS0_19identity_decomposerEEEvT1_T2_T3_T4_jT5_jj ; -- Begin function _ZN7rocprim17ROCPRIM_304000_NS6detail28radix_sort_block_sort_kernelINS1_36wrapped_radix_sort_block_sort_configINS0_13kernel_configILj256ELj4ELj4294967295EEEhN2at4cuda3cub6detail10OpaqueTypeILi8EEEEELb1EPKhPhPKSB_PSB_NS0_19identity_decomposerEEEvT1_T2_T3_T4_jT5_jj
	.globl	_ZN7rocprim17ROCPRIM_304000_NS6detail28radix_sort_block_sort_kernelINS1_36wrapped_radix_sort_block_sort_configINS0_13kernel_configILj256ELj4ELj4294967295EEEhN2at4cuda3cub6detail10OpaqueTypeILi8EEEEELb1EPKhPhPKSB_PSB_NS0_19identity_decomposerEEEvT1_T2_T3_T4_jT5_jj
	.p2align	8
	.type	_ZN7rocprim17ROCPRIM_304000_NS6detail28radix_sort_block_sort_kernelINS1_36wrapped_radix_sort_block_sort_configINS0_13kernel_configILj256ELj4ELj4294967295EEEhN2at4cuda3cub6detail10OpaqueTypeILi8EEEEELb1EPKhPhPKSB_PSB_NS0_19identity_decomposerEEEvT1_T2_T3_T4_jT5_jj,@function
_ZN7rocprim17ROCPRIM_304000_NS6detail28radix_sort_block_sort_kernelINS1_36wrapped_radix_sort_block_sort_configINS0_13kernel_configILj256ELj4ELj4294967295EEEhN2at4cuda3cub6detail10OpaqueTypeILi8EEEEELb1EPKhPhPKSB_PSB_NS0_19identity_decomposerEEEvT1_T2_T3_T4_jT5_jj: ; @_ZN7rocprim17ROCPRIM_304000_NS6detail28radix_sort_block_sort_kernelINS1_36wrapped_radix_sort_block_sort_configINS0_13kernel_configILj256ELj4ELj4294967295EEEhN2at4cuda3cub6detail10OpaqueTypeILi8EEEEELb1EPKhPhPKSB_PSB_NS0_19identity_decomposerEEEvT1_T2_T3_T4_jT5_jj
; %bb.0:
	s_clause 0x1
	s_load_b32 s2, s[0:1], 0x20
	s_load_b256 s[16:23], s[0:1], 0x0
	v_and_b32_e32 v8, 0x3ff, v0
	v_mbcnt_lo_u32_b32 v7, -1, 0
	s_lshl_b32 s24, s15, 10
	s_mov_b32 s25, 0
	s_delay_alu instid0(VALU_DEP_2) | instskip(NEXT) | instid1(VALU_DEP_2)
	v_lshlrev_b32_e32 v1, 2, v8
	v_lshlrev_b32_e32 v13, 3, v7
	s_delay_alu instid0(VALU_DEP_2) | instskip(NEXT) | instid1(VALU_DEP_1)
	v_and_b32_e32 v12, 0x380, v1
	v_lshlrev_b32_e32 v14, 3, v12
	v_add_nc_u32_e32 v11, v7, v12
	s_waitcnt lgkmcnt(0)
	s_lshr_b32 s3, s2, 10
	s_delay_alu instid0(SALU_CYCLE_1) | instskip(SKIP_4) | instid1(VALU_DEP_1)
	s_cmp_lg_u32 s15, s3
	s_cselect_b32 s26, -1, 0
	s_add_u32 s4, s16, s24
	s_addc_u32 s5, s17, 0
	v_add_co_u32 v1, s4, s4, v7
	v_add_co_ci_u32_e64 v2, null, s5, 0, s4
	s_cmp_eq_u32 s15, s3
	s_delay_alu instid0(VALU_DEP_2) | instskip(NEXT) | instid1(VALU_DEP_2)
	v_add_co_u32 v9, vcc_lo, v1, v12
	v_add_co_ci_u32_e32 v10, vcc_lo, 0, v2, vcc_lo
	s_mov_b32 s3, -1
	s_cbranch_scc1 .LBB0_2
; %bb.1:
	s_clause 0x2
	global_load_u8 v17, v[9:10], off
	global_load_u8 v18, v[9:10], off offset:32
	global_load_u8 v19, v[9:10], off offset:96
	s_lshl_b64 s[4:5], s[24:25], 3
	global_load_u8 v20, v[9:10], off offset:64
	s_add_u32 s3, s20, s4
	s_addc_u32 s4, s21, s5
	v_add_co_u32 v1, s3, s3, v13
	s_delay_alu instid0(VALU_DEP_1) | instskip(SKIP_1) | instid1(VALU_DEP_3)
	v_add_co_ci_u32_e64 v2, null, s4, 0, s3
	v_add_nc_u32_e32 v28, v7, v12
	v_add_co_u32 v15, vcc_lo, v1, v14
	s_delay_alu instid0(VALU_DEP_3) | instskip(NEXT) | instid1(VALU_DEP_3)
	v_add_co_ci_u32_e32 v16, vcc_lo, 0, v2, vcc_lo
	v_add_nc_u32_e32 v25, 32, v28
	v_add_nc_u32_e32 v26, 64, v28
	s_clause 0x3
	global_load_b64 v[1:2], v[15:16], off
	global_load_b64 v[3:4], v[15:16], off offset:256
	global_load_b64 v[5:6], v[15:16], off offset:512
	;; [unrolled: 1-line block ×3, first 2 shown]
	v_add_nc_u32_e32 v27, 0x60, v28
	s_mov_b32 s3, s25
	s_waitcnt vmcnt(6)
	v_lshlrev_b16 v15, 8, v18
	s_waitcnt vmcnt(5)
	v_lshlrev_b16 v16, 8, v19
	s_delay_alu instid0(VALU_DEP_2) | instskip(SKIP_1) | instid1(VALU_DEP_2)
	v_or_b32_e32 v15, v17, v15
	s_waitcnt vmcnt(4)
	v_or_b32_e32 v16, v20, v16
	s_delay_alu instid0(VALU_DEP_2) | instskip(NEXT) | instid1(VALU_DEP_2)
	v_and_b32_e32 v12, 0xffff, v15
	v_lshlrev_b32_e32 v15, 16, v16
	s_delay_alu instid0(VALU_DEP_1)
	v_or_b32_e32 v12, v12, v15
	s_and_not1_b32 vcc_lo, exec_lo, s3
	s_sub_i32 s16, s2, s24
	s_cbranch_vccz .LBB0_3
	s_branch .LBB0_17
.LBB0_2:
                                        ; implicit-def: $vgpr12
                                        ; implicit-def: $vgpr1_vgpr2
                                        ; implicit-def: $vgpr3_vgpr4
                                        ; implicit-def: $vgpr5_vgpr6
                                        ; implicit-def: $vgpr21_vgpr22
                                        ; implicit-def: $vgpr28
                                        ; implicit-def: $vgpr25
                                        ; implicit-def: $vgpr26
                                        ; implicit-def: $vgpr27
	s_and_not1_b32 vcc_lo, exec_lo, s3
	s_sub_i32 s16, s2, s24
	s_cbranch_vccnz .LBB0_17
.LBB0_3:
	v_cmp_gt_u32_e32 vcc_lo, s16, v11
	v_mov_b32_e32 v12, 0
	s_and_saveexec_b32 s2, vcc_lo
	s_cbranch_execz .LBB0_5
; %bb.4:
	global_load_u8 v12, v[9:10], off
.LBB0_5:
	s_or_b32 exec_lo, exec_lo, s2
	v_add_nc_u32_e32 v25, 32, v11
	s_delay_alu instid0(VALU_DEP_1) | instskip(NEXT) | instid1(VALU_DEP_1)
	v_cmp_gt_u32_e64 s2, s16, v25
	s_and_saveexec_b32 s3, s2
	s_cbranch_execz .LBB0_7
; %bb.6:
	global_load_u8 v1, v[9:10], off offset:32
	s_waitcnt vmcnt(0)
	v_lshlrev_b16 v1, 8, v1
	s_delay_alu instid0(VALU_DEP_1) | instskip(NEXT) | instid1(VALU_DEP_1)
	v_or_b32_e32 v1, v12, v1
	v_and_b32_e32 v12, 0xffff, v1
.LBB0_7:
	s_or_b32 exec_lo, exec_lo, s3
	v_add_nc_u32_e32 v26, 64, v11
	s_delay_alu instid0(VALU_DEP_1) | instskip(NEXT) | instid1(VALU_DEP_1)
	v_cmp_gt_u32_e64 s3, s16, v26
	s_and_saveexec_b32 s4, s3
	s_cbranch_execz .LBB0_9
; %bb.8:
	global_load_u8 v1, v[9:10], off offset:64
	s_waitcnt vmcnt(0)
	v_lshl_or_b32 v12, v1, 16, v12
.LBB0_9:
	s_or_b32 exec_lo, exec_lo, s4
	v_add_nc_u32_e32 v27, 0x60, v11
	s_delay_alu instid0(VALU_DEP_1) | instskip(NEXT) | instid1(VALU_DEP_1)
	v_cmp_gt_u32_e64 s4, s16, v27
	s_and_saveexec_b32 s5, s4
	s_cbranch_execz .LBB0_11
; %bb.10:
	global_load_u8 v1, v[9:10], off offset:96
	s_waitcnt vmcnt(1)
	v_lshrrev_b32_e32 v2, 16, v12
	s_waitcnt vmcnt(0)
	v_lshlrev_b16 v1, 8, v1
	s_delay_alu instid0(VALU_DEP_1) | instskip(NEXT) | instid1(VALU_DEP_1)
	v_or_b32_e32 v1, v2, v1
	v_lshlrev_b32_e32 v1, 16, v1
	s_delay_alu instid0(VALU_DEP_1)
	v_and_or_b32 v12, 0xffff, v12, v1
.LBB0_11:
	s_or_b32 exec_lo, exec_lo, s5
	s_lshl_b64 s[6:7], s[24:25], 3
	s_delay_alu instid0(SALU_CYCLE_1) | instskip(SKIP_3) | instid1(VALU_DEP_1)
	s_add_u32 s5, s20, s6
	s_addc_u32 s6, s21, s7
	s_waitcnt vmcnt(3)
	v_add_co_u32 v1, s5, s5, v13
	v_add_co_ci_u32_e64 v2, null, s6, 0, s5
	s_delay_alu instid0(VALU_DEP_2) | instskip(NEXT) | instid1(VALU_DEP_1)
	v_add_co_u32 v9, s5, v1, v14
	v_add_co_ci_u32_e64 v10, s5, 0, v2, s5
                                        ; implicit-def: $vgpr1_vgpr2
	s_and_saveexec_b32 s5, vcc_lo
	s_cbranch_execnz .LBB0_54
; %bb.12:
	s_or_b32 exec_lo, exec_lo, s5
                                        ; implicit-def: $vgpr3_vgpr4
	s_and_saveexec_b32 s5, s2
	s_cbranch_execnz .LBB0_55
.LBB0_13:
	s_or_b32 exec_lo, exec_lo, s5
                                        ; implicit-def: $vgpr5_vgpr6
	s_and_saveexec_b32 s2, s3
	s_cbranch_execnz .LBB0_56
.LBB0_14:
	s_or_b32 exec_lo, exec_lo, s2
                                        ; implicit-def: $vgpr21_vgpr22
	s_and_saveexec_b32 s2, s4
	s_cbranch_execz .LBB0_16
.LBB0_15:
	global_load_b64 v[21:22], v[9:10], off offset:768
.LBB0_16:
	s_or_b32 exec_lo, exec_lo, s2
	v_mov_b32_e32 v28, v11
.LBB0_17:
	s_clause 0x1
	s_load_b32 s2, s[0:1], 0x3c
	s_load_b64 s[14:15], s[0:1], 0x28
	s_waitcnt vmcnt(0)
	v_lshrrev_b32_e32 v9, 16, v12
	v_xor_b32_e32 v10, -1, v12
	v_lshrrev_b32_e32 v11, 8, v12
	v_lshrrev_b32_e32 v12, 24, v12
	v_bfe_u32 v13, v0, 10, 10
	v_bfe_u32 v0, v0, 20, 10
	v_xor_b32_e32 v9, -1, v9
	v_xor_b32_e32 v11, -1, v11
	;; [unrolled: 1-line block ×3, first 2 shown]
	s_mov_b32 s20, 0
	v_add_nc_u32_e32 v17, -1, v7
	v_and_b32_e32 v9, 0xff, v9
	v_lshlrev_b16 v11, 8, v11
	v_lshlrev_b16 v12, 8, v12
	s_mov_b32 s28, s20
	s_mov_b32 s29, s20
	v_and_b32_e32 v10, 0xff, v10
	v_cmp_gt_i32_e32 vcc_lo, 0, v17
	s_waitcnt lgkmcnt(0)
	s_lshr_b32 s0, s2, 16
	v_or_b32_e32 v12, v9, v12
	v_mad_u32_u24 v0, v0, s0, v13
	s_and_b32 s0, s2, 0xffff
	v_or_b32_e32 v11, v10, v11
	v_and_b32_e32 v16, 0x3e0, v8
	v_and_b32_e32 v15, 16, v7
	v_mad_u64_u32 v[9:10], null, v0, s0, v[8:9]
	s_delay_alu instid0(VALU_DEP_4)
	v_and_b32_e32 v0, 0xffff, v11
	v_lshlrev_b32_e32 v10, 16, v12
	s_mov_b32 s21, s20
	v_and_b32_e32 v14, 15, v7
	v_cmp_eq_u32_e64 s8, 0, v7
	v_mul_lo_u32 v13, v25, 7
	v_lshrrev_b32_e32 v31, 5, v9
	v_cndmask_b32_e32 v9, v17, v7, vcc_lo
	v_min_u32_e32 v11, 0xe0, v16
	v_or_b32_e32 v40, v0, v10
	v_lshlrev_b32_e32 v29, 5, v8
	v_cmp_gt_u32_e64 s6, 8, v8
	v_lshlrev_b32_e32 v32, 2, v9
	v_or_b32_e32 v0, 31, v11
	v_and_b32_e32 v9, 7, v7
	v_mov_b32_e32 v11, s28
	v_mul_lo_u32 v7, v28, 7
	v_mov_b32_e32 v12, s29
	v_cmp_eq_u32_e64 s5, v0, v8
	v_lshrrev_b32_e32 v0, 3, v8
	v_cmp_eq_u32_e64 s4, 0, v15
	v_cmp_eq_u32_e64 s10, 0, v9
	v_cmp_lt_u32_e64 s11, 1, v9
	v_cmp_lt_u32_e64 s12, 3, v9
	v_mul_lo_u32 v15, v27, 7
	v_dual_mov_b32 v9, s20 :: v_dual_mov_b32 v10, s21
	v_cmp_eq_u32_e64 s0, 0, v14
	v_cmp_lt_u32_e64 s1, 1, v14
	v_cmp_lt_u32_e64 s2, 3, v14
	;; [unrolled: 1-line block ×3, first 2 shown]
	v_mul_lo_u32 v14, v26, 7
	v_and_b32_e32 v33, 0x7c, v0
	v_mul_i32_i24_e32 v0, 0xffffffe4, v8
	v_add_nc_u32_e32 v30, 32, v29
	v_cmp_lt_u32_e64 s7, 31, v8
	v_cmp_eq_u32_e64 s9, 0, v8
	v_add_nc_u32_e32 v34, -4, v33
	v_add_nc_u32_e32 v35, v29, v0
	v_add_nc_u32_e32 v36, v28, v7
	;; [unrolled: 1-line block ×5, first 2 shown]
	s_add_i32 s17, s15, s14
	s_branch .LBB0_19
.LBB0_18:                               ;   in Loop: Header=BB0_19 Depth=1
	s_barrier
	buffer_gl0_inv
	ds_store_b8 v24, v40
	ds_store_b8 v23, v48
	;; [unrolled: 1-line block ×4, first 2 shown]
	s_waitcnt lgkmcnt(0)
	s_barrier
	buffer_gl0_inv
	ds_load_u8 v5, v25
	ds_load_u8 v6, v27
	;; [unrolled: 1-line block ×4, first 2 shown]
	v_mad_u64_u32 v[1:2], null, v24, 7, v[24:25]
	v_mad_u64_u32 v[2:3], null, v23, 7, v[23:24]
	;; [unrolled: 1-line block ×3, first 2 shown]
	s_waitcnt lgkmcnt(0)
	s_barrier
	buffer_gl0_inv
	s_add_i32 s15, s15, -8
	v_lshlrev_b16 v43, 8, v5
	v_mad_u64_u32 v[4:5], null, v0, 7, v[0:1]
	v_lshlrev_b16 v44, 8, v6
	ds_store_b64 v1, v[19:20]
	ds_store_b64 v2, v[17:18]
	;; [unrolled: 1-line block ×4, first 2 shown]
	s_waitcnt lgkmcnt(0)
	s_barrier
	buffer_gl0_inv
	ds_load_b64 v[1:2], v36
	ds_load_b64 v[3:4], v37
	;; [unrolled: 1-line block ×4, first 2 shown]
	v_or_b32_e32 v40, v40, v43
	v_or_b32_e32 v41, v41, v44
	s_waitcnt lgkmcnt(0)
	s_barrier
	buffer_gl0_inv
	v_and_b32_e32 v40, 0xffff, v40
	v_lshlrev_b32_e32 v41, 16, v41
	s_delay_alu instid0(VALU_DEP_1)
	v_or_b32_e32 v40, v40, v41
	s_cbranch_execz .LBB0_35
.LBB0_19:                               ; =>This Inner Loop Header: Depth=1
	s_delay_alu instid0(VALU_DEP_1)
	v_and_b32_e32 v0, 0xff, v40
	s_min_u32 s13, s15, 8
	ds_store_2addr_b64 v29, v[9:10], v[11:12] offset0:4 offset1:5
	ds_store_2addr_b64 v30, v[9:10], v[11:12] offset0:2 offset1:3
	s_lshl_b32 s13, -1, s13
	s_waitcnt lgkmcnt(0)
	v_lshrrev_b32_e32 v0, s14, v0
	s_not_b32 s20, s13
	s_barrier
	buffer_gl0_inv
	v_and_b32_e32 v7, s20, v0
	; wave barrier
	s_delay_alu instid0(VALU_DEP_1)
	v_and_b32_e32 v0, 1, v7
	v_lshlrev_b32_e32 v13, 30, v7
	v_lshlrev_b32_e32 v14, 29, v7
	v_lshlrev_b32_e32 v15, 28, v7
	v_lshlrev_b32_e32 v17, 27, v7
	v_add_co_u32 v0, s13, v0, -1
	s_delay_alu instid0(VALU_DEP_1)
	v_cndmask_b32_e64 v16, 0, 1, s13
	v_not_b32_e32 v20, v13
	v_cmp_gt_i32_e64 s13, 0, v13
	v_not_b32_e32 v13, v14
	v_lshlrev_b32_e32 v19, 25, v7
	v_cmp_ne_u32_e32 vcc_lo, 0, v16
	v_ashrrev_i32_e32 v20, 31, v20
	s_delay_alu instid0(VALU_DEP_4)
	v_ashrrev_i32_e32 v13, 31, v13
	v_xor_b32_e32 v0, vcc_lo, v0
	v_cmp_gt_i32_e32 vcc_lo, 0, v14
	v_not_b32_e32 v14, v15
	v_xor_b32_e32 v20, s13, v20
	v_cmp_gt_i32_e64 s13, 0, v15
	v_and_b32_e32 v0, exec_lo, v0
	v_not_b32_e32 v15, v17
	v_xor_b32_e32 v13, vcc_lo, v13
	v_cmp_gt_i32_e32 vcc_lo, 0, v17
	v_ashrrev_i32_e32 v14, 31, v14
	v_and_b32_e32 v0, v0, v20
	v_ashrrev_i32_e32 v15, 31, v15
	s_delay_alu instid0(VALU_DEP_3) | instskip(NEXT) | instid1(VALU_DEP_3)
	v_xor_b32_e32 v14, s13, v14
	v_and_b32_e32 v0, v0, v13
	v_not_b32_e32 v13, v19
	s_delay_alu instid0(VALU_DEP_4)
	v_xor_b32_e32 v15, vcc_lo, v15
	v_cmp_gt_i32_e32 vcc_lo, 0, v19
	v_mov_b32_e32 v20, v2
	v_lshlrev_b32_e32 v18, 26, v7
	v_lshlrev_b32_e32 v16, 24, v7
	v_and_b32_e32 v0, v0, v14
	v_ashrrev_i32_e32 v13, 31, v13
	v_mov_b32_e32 v19, v1
	v_not_b32_e32 v17, v18
	v_cmp_gt_i32_e64 s13, 0, v18
	v_not_b32_e32 v14, v16
	v_and_b32_e32 v0, v0, v15
	v_xor_b32_e32 v13, vcc_lo, v13
	v_ashrrev_i32_e32 v17, 31, v17
	v_lshl_add_u32 v1, v7, 3, v31
	v_ashrrev_i32_e32 v14, 31, v14
	s_delay_alu instid0(VALU_DEP_3) | instskip(SKIP_2) | instid1(VALU_DEP_3)
	v_xor_b32_e32 v17, s13, v17
	v_cmp_gt_i32_e64 s13, 0, v16
	v_dual_mov_b32 v16, v6 :: v_dual_mov_b32 v15, v5
	v_and_b32_e32 v0, v0, v17
	s_delay_alu instid0(VALU_DEP_3) | instskip(SKIP_1) | instid1(VALU_DEP_3)
	v_xor_b32_e32 v14, s13, v14
	v_dual_mov_b32 v18, v4 :: v_dual_mov_b32 v17, v3
	v_and_b32_e32 v0, v0, v13
	s_delay_alu instid0(VALU_DEP_1) | instskip(SKIP_2) | instid1(VALU_DEP_3)
	v_dual_mov_b32 v13, v21 :: v_dual_and_b32 v0, v0, v14
	v_mov_b32_e32 v14, v22
	v_lshl_add_u32 v22, v1, 2, 32
	v_mbcnt_lo_u32_b32 v21, v0, 0
	v_cmp_ne_u32_e64 s13, 0, v0
	s_delay_alu instid0(VALU_DEP_2) | instskip(NEXT) | instid1(VALU_DEP_2)
	v_cmp_eq_u32_e32 vcc_lo, 0, v21
	s_and_b32 s21, s13, vcc_lo
	s_delay_alu instid0(SALU_CYCLE_1)
	s_and_saveexec_b32 s13, s21
	s_cbranch_execz .LBB0_21
; %bb.20:                               ;   in Loop: Header=BB0_19 Depth=1
	v_bcnt_u32_b32 v0, v0, 0
	ds_store_b32 v22, v0
.LBB0_21:                               ;   in Loop: Header=BB0_19 Depth=1
	s_or_b32 exec_lo, exec_lo, s13
	v_bfe_u32 v0, v40, 8, 8
	; wave barrier
	s_delay_alu instid0(VALU_DEP_1) | instskip(NEXT) | instid1(VALU_DEP_1)
	v_lshrrev_b32_e32 v0, s14, v0
	v_and_b32_e32 v0, s20, v0
	s_delay_alu instid0(VALU_DEP_1)
	v_and_b32_e32 v1, 1, v0
	v_lshlrev_b32_e32 v2, 30, v0
	v_lshlrev_b32_e32 v3, 29, v0
	;; [unrolled: 1-line block ×4, first 2 shown]
	v_add_co_u32 v1, s13, v1, -1
	s_delay_alu instid0(VALU_DEP_1)
	v_cndmask_b32_e64 v5, 0, 1, s13
	v_not_b32_e32 v24, v2
	v_cmp_gt_i32_e64 s13, 0, v2
	v_not_b32_e32 v2, v3
	v_lshlrev_b32_e32 v7, 26, v0
	v_cmp_ne_u32_e32 vcc_lo, 0, v5
	v_ashrrev_i32_e32 v24, 31, v24
	v_lshlrev_b32_e32 v23, 25, v0
	v_ashrrev_i32_e32 v2, 31, v2
	v_lshlrev_b32_e32 v5, 24, v0
	v_xor_b32_e32 v1, vcc_lo, v1
	v_cmp_gt_i32_e32 vcc_lo, 0, v3
	v_not_b32_e32 v3, v4
	v_xor_b32_e32 v24, s13, v24
	v_cmp_gt_i32_e64 s13, 0, v4
	v_and_b32_e32 v1, exec_lo, v1
	v_not_b32_e32 v4, v6
	v_ashrrev_i32_e32 v3, 31, v3
	v_xor_b32_e32 v2, vcc_lo, v2
	v_cmp_gt_i32_e32 vcc_lo, 0, v6
	v_and_b32_e32 v1, v1, v24
	v_not_b32_e32 v6, v7
	v_ashrrev_i32_e32 v4, 31, v4
	v_xor_b32_e32 v3, s13, v3
	v_cmp_gt_i32_e64 s13, 0, v7
	v_and_b32_e32 v1, v1, v2
	v_not_b32_e32 v2, v23
	v_ashrrev_i32_e32 v6, 31, v6
	v_xor_b32_e32 v4, vcc_lo, v4
	v_cmp_gt_i32_e32 vcc_lo, 0, v23
	v_and_b32_e32 v1, v1, v3
	v_not_b32_e32 v3, v5
	v_ashrrev_i32_e32 v2, 31, v2
	v_xor_b32_e32 v6, s13, v6
	v_lshlrev_b32_e32 v0, 3, v0
	v_and_b32_e32 v1, v1, v4
	v_cmp_gt_i32_e64 s13, 0, v5
	v_ashrrev_i32_e32 v3, 31, v3
	v_xor_b32_e32 v2, vcc_lo, v2
	v_add_lshl_u32 v4, v0, v31, 2
	v_and_b32_e32 v1, v1, v6
	s_delay_alu instid0(VALU_DEP_4) | instskip(SKIP_3) | instid1(VALU_DEP_2)
	v_xor_b32_e32 v0, s13, v3
	ds_load_b32 v23, v4 offset:32
	v_and_b32_e32 v1, v1, v2
	v_add_nc_u32_e32 v24, 32, v4
	; wave barrier
	v_and_b32_e32 v0, v1, v0
	s_delay_alu instid0(VALU_DEP_1) | instskip(SKIP_1) | instid1(VALU_DEP_2)
	v_mbcnt_lo_u32_b32 v41, v0, 0
	v_cmp_ne_u32_e64 s13, 0, v0
	v_cmp_eq_u32_e32 vcc_lo, 0, v41
	s_delay_alu instid0(VALU_DEP_2) | instskip(NEXT) | instid1(SALU_CYCLE_1)
	s_and_b32 s21, s13, vcc_lo
	s_and_saveexec_b32 s13, s21
	s_cbranch_execz .LBB0_23
; %bb.22:                               ;   in Loop: Header=BB0_19 Depth=1
	s_waitcnt lgkmcnt(0)
	v_bcnt_u32_b32 v0, v0, v23
	ds_store_b32 v24, v0
.LBB0_23:                               ;   in Loop: Header=BB0_19 Depth=1
	s_or_b32 exec_lo, exec_lo, s13
	v_bfe_u32 v0, v40, 16, 8
	; wave barrier
	s_delay_alu instid0(VALU_DEP_1) | instskip(NEXT) | instid1(VALU_DEP_1)
	v_lshrrev_b32_e32 v0, s14, v0
	v_and_b32_e32 v0, s20, v0
	s_delay_alu instid0(VALU_DEP_1)
	v_and_b32_e32 v1, 1, v0
	v_lshlrev_b32_e32 v2, 30, v0
	v_lshlrev_b32_e32 v3, 29, v0
	;; [unrolled: 1-line block ×4, first 2 shown]
	v_add_co_u32 v1, s13, v1, -1
	s_delay_alu instid0(VALU_DEP_1)
	v_cndmask_b32_e64 v5, 0, 1, s13
	v_not_b32_e32 v43, v2
	v_cmp_gt_i32_e64 s13, 0, v2
	v_not_b32_e32 v2, v3
	v_lshlrev_b32_e32 v7, 26, v0
	v_cmp_ne_u32_e32 vcc_lo, 0, v5
	v_ashrrev_i32_e32 v43, 31, v43
	v_lshlrev_b32_e32 v42, 25, v0
	v_ashrrev_i32_e32 v2, 31, v2
	v_lshlrev_b32_e32 v5, 24, v0
	v_xor_b32_e32 v1, vcc_lo, v1
	v_cmp_gt_i32_e32 vcc_lo, 0, v3
	v_not_b32_e32 v3, v4
	v_xor_b32_e32 v43, s13, v43
	v_cmp_gt_i32_e64 s13, 0, v4
	v_and_b32_e32 v1, exec_lo, v1
	v_not_b32_e32 v4, v6
	v_ashrrev_i32_e32 v3, 31, v3
	v_xor_b32_e32 v2, vcc_lo, v2
	v_cmp_gt_i32_e32 vcc_lo, 0, v6
	v_and_b32_e32 v1, v1, v43
	v_not_b32_e32 v6, v7
	v_ashrrev_i32_e32 v4, 31, v4
	v_xor_b32_e32 v3, s13, v3
	v_cmp_gt_i32_e64 s13, 0, v7
	v_and_b32_e32 v1, v1, v2
	v_not_b32_e32 v2, v42
	v_ashrrev_i32_e32 v6, 31, v6
	v_xor_b32_e32 v4, vcc_lo, v4
	v_cmp_gt_i32_e32 vcc_lo, 0, v42
	v_and_b32_e32 v1, v1, v3
	v_not_b32_e32 v3, v5
	v_ashrrev_i32_e32 v2, 31, v2
	v_xor_b32_e32 v6, s13, v6
	v_lshlrev_b32_e32 v0, 3, v0
	v_and_b32_e32 v1, v1, v4
	v_cmp_gt_i32_e64 s13, 0, v5
	v_ashrrev_i32_e32 v3, 31, v3
	v_xor_b32_e32 v2, vcc_lo, v2
	v_add_lshl_u32 v4, v0, v31, 2
	v_and_b32_e32 v1, v1, v6
	s_delay_alu instid0(VALU_DEP_4) | instskip(SKIP_3) | instid1(VALU_DEP_2)
	v_xor_b32_e32 v0, s13, v3
	ds_load_b32 v43, v4 offset:32
	v_and_b32_e32 v1, v1, v2
	v_add_nc_u32_e32 v45, 32, v4
	; wave barrier
	v_and_b32_e32 v0, v1, v0
	s_delay_alu instid0(VALU_DEP_1) | instskip(SKIP_1) | instid1(VALU_DEP_2)
	v_mbcnt_lo_u32_b32 v44, v0, 0
	v_cmp_ne_u32_e64 s13, 0, v0
	v_cmp_eq_u32_e32 vcc_lo, 0, v44
	s_delay_alu instid0(VALU_DEP_2) | instskip(NEXT) | instid1(SALU_CYCLE_1)
	s_and_b32 s21, s13, vcc_lo
	s_and_saveexec_b32 s13, s21
	s_cbranch_execz .LBB0_25
; %bb.24:                               ;   in Loop: Header=BB0_19 Depth=1
	s_waitcnt lgkmcnt(0)
	v_bcnt_u32_b32 v0, v0, v43
	ds_store_b32 v45, v0
.LBB0_25:                               ;   in Loop: Header=BB0_19 Depth=1
	s_or_b32 exec_lo, exec_lo, s13
	v_lshrrev_b32_e32 v42, 24, v40
	; wave barrier
	s_delay_alu instid0(VALU_DEP_1) | instskip(NEXT) | instid1(VALU_DEP_1)
	v_lshrrev_b32_e32 v0, s14, v42
	v_and_b32_e32 v0, s20, v0
	s_delay_alu instid0(VALU_DEP_1)
	v_and_b32_e32 v1, 1, v0
	v_lshlrev_b32_e32 v2, 30, v0
	v_lshlrev_b32_e32 v3, 29, v0
	;; [unrolled: 1-line block ×4, first 2 shown]
	v_add_co_u32 v1, s13, v1, -1
	s_delay_alu instid0(VALU_DEP_1)
	v_cndmask_b32_e64 v5, 0, 1, s13
	v_not_b32_e32 v47, v2
	v_cmp_gt_i32_e64 s13, 0, v2
	v_not_b32_e32 v2, v3
	v_lshlrev_b32_e32 v7, 26, v0
	v_cmp_ne_u32_e32 vcc_lo, 0, v5
	v_ashrrev_i32_e32 v47, 31, v47
	v_lshlrev_b32_e32 v46, 25, v0
	v_ashrrev_i32_e32 v2, 31, v2
	v_lshlrev_b32_e32 v5, 24, v0
	v_xor_b32_e32 v1, vcc_lo, v1
	v_cmp_gt_i32_e32 vcc_lo, 0, v3
	v_not_b32_e32 v3, v4
	v_xor_b32_e32 v47, s13, v47
	v_cmp_gt_i32_e64 s13, 0, v4
	v_and_b32_e32 v1, exec_lo, v1
	v_not_b32_e32 v4, v6
	v_ashrrev_i32_e32 v3, 31, v3
	v_xor_b32_e32 v2, vcc_lo, v2
	v_cmp_gt_i32_e32 vcc_lo, 0, v6
	v_and_b32_e32 v1, v1, v47
	v_not_b32_e32 v6, v7
	v_ashrrev_i32_e32 v4, 31, v4
	v_xor_b32_e32 v3, s13, v3
	v_cmp_gt_i32_e64 s13, 0, v7
	v_and_b32_e32 v1, v1, v2
	v_not_b32_e32 v2, v46
	v_ashrrev_i32_e32 v6, 31, v6
	v_xor_b32_e32 v4, vcc_lo, v4
	v_cmp_gt_i32_e32 vcc_lo, 0, v46
	v_and_b32_e32 v1, v1, v3
	v_not_b32_e32 v3, v5
	v_ashrrev_i32_e32 v2, 31, v2
	v_xor_b32_e32 v6, s13, v6
	v_lshlrev_b32_e32 v0, 3, v0
	v_and_b32_e32 v1, v1, v4
	v_cmp_gt_i32_e64 s13, 0, v5
	v_ashrrev_i32_e32 v3, 31, v3
	v_xor_b32_e32 v2, vcc_lo, v2
	v_add_lshl_u32 v4, v0, v31, 2
	v_and_b32_e32 v1, v1, v6
	s_delay_alu instid0(VALU_DEP_4) | instskip(SKIP_3) | instid1(VALU_DEP_2)
	v_xor_b32_e32 v0, s13, v3
	ds_load_b32 v46, v4 offset:32
	v_and_b32_e32 v1, v1, v2
	v_add_nc_u32_e32 v48, 32, v4
	; wave barrier
	v_and_b32_e32 v0, v1, v0
	s_delay_alu instid0(VALU_DEP_1) | instskip(SKIP_1) | instid1(VALU_DEP_2)
	v_mbcnt_lo_u32_b32 v47, v0, 0
	v_cmp_ne_u32_e64 s13, 0, v0
	v_cmp_eq_u32_e32 vcc_lo, 0, v47
	s_delay_alu instid0(VALU_DEP_2) | instskip(NEXT) | instid1(SALU_CYCLE_1)
	s_and_b32 s20, s13, vcc_lo
	s_and_saveexec_b32 s13, s20
	s_cbranch_execz .LBB0_27
; %bb.26:                               ;   in Loop: Header=BB0_19 Depth=1
	s_waitcnt lgkmcnt(0)
	v_bcnt_u32_b32 v0, v0, v46
	ds_store_b32 v48, v0
.LBB0_27:                               ;   in Loop: Header=BB0_19 Depth=1
	s_or_b32 exec_lo, exec_lo, s13
	; wave barrier
	s_waitcnt lgkmcnt(0)
	s_barrier
	buffer_gl0_inv
	ds_load_2addr_b64 v[4:7], v29 offset0:4 offset1:5
	ds_load_2addr_b64 v[0:3], v30 offset0:2 offset1:3
	s_waitcnt lgkmcnt(1)
	v_add_nc_u32_e32 v49, v5, v4
	s_delay_alu instid0(VALU_DEP_1) | instskip(SKIP_1) | instid1(VALU_DEP_1)
	v_add3_u32 v49, v49, v6, v7
	s_waitcnt lgkmcnt(0)
	v_add3_u32 v49, v49, v0, v1
	s_delay_alu instid0(VALU_DEP_1) | instskip(NEXT) | instid1(VALU_DEP_1)
	v_add3_u32 v3, v49, v2, v3
	v_mov_b32_dpp v49, v3 row_shr:1 row_mask:0xf bank_mask:0xf
	s_delay_alu instid0(VALU_DEP_1) | instskip(NEXT) | instid1(VALU_DEP_1)
	v_cndmask_b32_e64 v49, v49, 0, s0
	v_add_nc_u32_e32 v3, v49, v3
	s_delay_alu instid0(VALU_DEP_1) | instskip(NEXT) | instid1(VALU_DEP_1)
	v_mov_b32_dpp v49, v3 row_shr:2 row_mask:0xf bank_mask:0xf
	v_cndmask_b32_e64 v49, 0, v49, s1
	s_delay_alu instid0(VALU_DEP_1) | instskip(NEXT) | instid1(VALU_DEP_1)
	v_add_nc_u32_e32 v3, v3, v49
	v_mov_b32_dpp v49, v3 row_shr:4 row_mask:0xf bank_mask:0xf
	s_delay_alu instid0(VALU_DEP_1) | instskip(NEXT) | instid1(VALU_DEP_1)
	v_cndmask_b32_e64 v49, 0, v49, s2
	v_add_nc_u32_e32 v3, v3, v49
	s_delay_alu instid0(VALU_DEP_1) | instskip(NEXT) | instid1(VALU_DEP_1)
	v_mov_b32_dpp v49, v3 row_shr:8 row_mask:0xf bank_mask:0xf
	v_cndmask_b32_e64 v49, 0, v49, s3
	s_delay_alu instid0(VALU_DEP_1) | instskip(SKIP_3) | instid1(VALU_DEP_1)
	v_add_nc_u32_e32 v3, v3, v49
	ds_swizzle_b32 v49, v3 offset:swizzle(BROADCAST,32,15)
	s_waitcnt lgkmcnt(0)
	v_cndmask_b32_e64 v49, v49, 0, s4
	v_add_nc_u32_e32 v3, v3, v49
	s_and_saveexec_b32 s13, s5
	s_cbranch_execz .LBB0_29
; %bb.28:                               ;   in Loop: Header=BB0_19 Depth=1
	ds_store_b32 v33, v3
.LBB0_29:                               ;   in Loop: Header=BB0_19 Depth=1
	s_or_b32 exec_lo, exec_lo, s13
	s_waitcnt lgkmcnt(0)
	s_barrier
	buffer_gl0_inv
	s_and_saveexec_b32 s13, s6
	s_cbranch_execz .LBB0_31
; %bb.30:                               ;   in Loop: Header=BB0_19 Depth=1
	ds_load_b32 v49, v35
	s_waitcnt lgkmcnt(0)
	v_mov_b32_dpp v50, v49 row_shr:1 row_mask:0xf bank_mask:0xf
	s_delay_alu instid0(VALU_DEP_1) | instskip(NEXT) | instid1(VALU_DEP_1)
	v_cndmask_b32_e64 v50, v50, 0, s10
	v_add_nc_u32_e32 v49, v50, v49
	s_delay_alu instid0(VALU_DEP_1) | instskip(NEXT) | instid1(VALU_DEP_1)
	v_mov_b32_dpp v50, v49 row_shr:2 row_mask:0xf bank_mask:0xf
	v_cndmask_b32_e64 v50, 0, v50, s11
	s_delay_alu instid0(VALU_DEP_1) | instskip(NEXT) | instid1(VALU_DEP_1)
	v_add_nc_u32_e32 v49, v49, v50
	v_mov_b32_dpp v50, v49 row_shr:4 row_mask:0xf bank_mask:0xf
	s_delay_alu instid0(VALU_DEP_1) | instskip(NEXT) | instid1(VALU_DEP_1)
	v_cndmask_b32_e64 v50, 0, v50, s12
	v_add_nc_u32_e32 v49, v49, v50
	ds_store_b32 v35, v49
.LBB0_31:                               ;   in Loop: Header=BB0_19 Depth=1
	s_or_b32 exec_lo, exec_lo, s13
	v_mov_b32_e32 v49, 0
	s_waitcnt lgkmcnt(0)
	s_barrier
	buffer_gl0_inv
	s_and_saveexec_b32 s13, s7
	s_cbranch_execz .LBB0_33
; %bb.32:                               ;   in Loop: Header=BB0_19 Depth=1
	ds_load_b32 v49, v34
.LBB0_33:                               ;   in Loop: Header=BB0_19 Depth=1
	s_or_b32 exec_lo, exec_lo, s13
	s_waitcnt lgkmcnt(0)
	v_add_nc_u32_e32 v3, v49, v3
	s_add_i32 s14, s14, 8
	s_delay_alu instid0(SALU_CYCLE_1) | instskip(SKIP_3) | instid1(VALU_DEP_1)
	s_cmp_ge_u32 s14, s17
	ds_bpermute_b32 v3, v32, v3
	s_waitcnt lgkmcnt(0)
	v_cndmask_b32_e64 v3, v3, v49, s8
	v_cndmask_b32_e64 v3, v3, 0, s9
	s_delay_alu instid0(VALU_DEP_1) | instskip(NEXT) | instid1(VALU_DEP_1)
	v_add_nc_u32_e32 v4, v3, v4
	v_add_nc_u32_e32 v5, v4, v5
	s_delay_alu instid0(VALU_DEP_1) | instskip(NEXT) | instid1(VALU_DEP_1)
	v_add_nc_u32_e32 v6, v5, v6
	v_add_nc_u32_e32 v49, v6, v7
	;; [unrolled: 3-line block ×3, first 2 shown]
	s_delay_alu instid0(VALU_DEP_1)
	v_add_nc_u32_e32 v1, v0, v2
	ds_store_2addr_b64 v29, v[3:4], v[5:6] offset0:4 offset1:5
	ds_store_2addr_b64 v30, v[49:50], v[0:1] offset0:2 offset1:3
	s_waitcnt lgkmcnt(0)
	s_barrier
	buffer_gl0_inv
	ds_load_b32 v0, v22
	ds_load_b32 v1, v24
	;; [unrolled: 1-line block ×4, first 2 shown]
	v_mov_b32_e32 v45, v40
	v_lshrrev_b32_e32 v48, 8, v40
	v_lshrrev_b32_e32 v49, 16, v40
	s_waitcnt lgkmcnt(0)
	v_add_nc_u32_e32 v24, v0, v21
	v_add3_u32 v23, v41, v23, v1
	v_add3_u32 v7, v44, v43, v2
	;; [unrolled: 1-line block ×3, first 2 shown]
	s_cbranch_scc0 .LBB0_18
; %bb.34:
                                        ; implicit-def: $sgpr14
                                        ; implicit-def: $vgpr40
                                        ; implicit-def: $vgpr1_vgpr2
                                        ; implicit-def: $vgpr3_vgpr4
                                        ; implicit-def: $vgpr5_vgpr6
                                        ; implicit-def: $vgpr21_vgpr22
.LBB0_35:
	v_mad_u64_u32 v[1:2], null, v24, 7, v[24:25]
	v_mad_u64_u32 v[2:3], null, v23, 7, v[23:24]
	;; [unrolled: 1-line block ×3, first 2 shown]
	s_barrier
	buffer_gl0_inv
	v_mad_u64_u32 v[4:5], null, v0, 7, v[0:1]
	ds_store_b8 v24, v45
	ds_store_b8 v23, v48
	;; [unrolled: 1-line block ×4, first 2 shown]
	s_waitcnt lgkmcnt(0)
	s_barrier
	buffer_gl0_inv
	ds_load_u8 v9, v8
	ds_load_u8 v10, v8 offset:256
	ds_load_u8 v11, v8 offset:512
	;; [unrolled: 1-line block ×3, first 2 shown]
	v_mad_u32_u24 v0, v8, 7, v8
	s_waitcnt lgkmcnt(0)
	s_barrier
	buffer_gl0_inv
	ds_store_b64 v1, v[19:20]
	ds_store_b64 v2, v[17:18]
	;; [unrolled: 1-line block ×4, first 2 shown]
	s_waitcnt lgkmcnt(0)
	s_barrier
	buffer_gl0_inv
	ds_load_2addr_stride64_b64 v[4:7], v0 offset1:4
	ds_load_2addr_stride64_b64 v[0:3], v0 offset0:8 offset1:12
	s_add_u32 s0, s18, s24
	s_addc_u32 s1, s19, 0
	s_and_not1_b32 vcc_lo, exec_lo, s26
	s_mov_b32 s2, 0
	v_xor_b32_e32 v15, -1, v9
	v_add_co_u32 v9, s0, s0, v8
	v_xor_b32_e32 v13, -1, v10
	v_xor_b32_e32 v14, -1, v11
	;; [unrolled: 1-line block ×3, first 2 shown]
	v_add_co_ci_u32_e64 v10, null, s1, 0, s0
	v_lshlrev_b32_e32 v11, 3, v8
	s_mov_b32 s0, -1
	s_cbranch_vccz .LBB0_39
; %bb.36:
	s_and_not1_b32 vcc_lo, exec_lo, s0
	s_cbranch_vccz .LBB0_40
.LBB0_37:
	s_and_saveexec_b32 s0, s2
	s_cbranch_execnz .LBB0_53
.LBB0_38:
	s_nop 0
	s_sendmsg sendmsg(MSG_DEALLOC_VGPRS)
	s_endpgm
.LBB0_39:
	s_lshl_b64 s[0:1], s[24:25], 3
	s_mov_b32 s2, -1
	s_add_u32 s4, s22, s0
	s_addc_u32 s5, s23, s1
	v_add_co_u32 v16, s0, s4, v11
	s_delay_alu instid0(VALU_DEP_1) | instskip(NEXT) | instid1(VALU_DEP_2)
	v_add_co_ci_u32_e64 v17, null, s5, 0, s0
	v_add_co_u32 v16, vcc_lo, 0x1000, v16
	s_delay_alu instid0(VALU_DEP_2)
	v_add_co_ci_u32_e32 v17, vcc_lo, 0, v17, vcc_lo
	s_clause 0x3
	global_store_b8 v[9:10], v15, off
	global_store_b8 v[9:10], v13, off offset:256
	global_store_b8 v[9:10], v14, off offset:512
	;; [unrolled: 1-line block ×3, first 2 shown]
	s_waitcnt lgkmcnt(1)
	s_clause 0x1
	global_store_b64 v11, v[6:7], s[4:5] offset:2048
	global_store_b64 v11, v[4:5], s[4:5]
	s_waitcnt lgkmcnt(0)
	global_store_b64 v[16:17], v[0:1], off
	s_cbranch_execnz .LBB0_37
.LBB0_40:
	v_cmp_gt_u32_e32 vcc_lo, s16, v8
	s_and_saveexec_b32 s0, vcc_lo
	s_cbranch_execz .LBB0_42
; %bb.41:
	global_store_b8 v[9:10], v15, off
.LBB0_42:
	s_or_b32 exec_lo, exec_lo, s0
	v_add_nc_u32_e32 v15, 0x100, v8
	s_delay_alu instid0(VALU_DEP_1) | instskip(NEXT) | instid1(VALU_DEP_1)
	v_cmp_gt_u32_e64 s0, s16, v15
	s_and_saveexec_b32 s1, s0
	s_cbranch_execz .LBB0_44
; %bb.43:
	global_store_b8 v[9:10], v13, off offset:256
.LBB0_44:
	s_or_b32 exec_lo, exec_lo, s1
	v_add_nc_u32_e32 v13, 0x200, v8
	s_delay_alu instid0(VALU_DEP_1) | instskip(NEXT) | instid1(VALU_DEP_1)
	v_cmp_gt_u32_e64 s1, s16, v13
	s_and_saveexec_b32 s2, s1
	s_cbranch_execz .LBB0_46
; %bb.45:
	global_store_b8 v[9:10], v14, off offset:512
.LBB0_46:
	;; [unrolled: 9-line block ×3, first 2 shown]
	s_or_b32 exec_lo, exec_lo, s3
	s_lshl_b64 s[4:5], s[24:25], 3
	s_delay_alu instid0(SALU_CYCLE_1) | instskip(SKIP_2) | instid1(VALU_DEP_1)
	s_add_u32 s3, s22, s4
	s_addc_u32 s4, s23, s5
	v_add_co_u32 v8, s3, s3, v11
	v_add_co_ci_u32_e64 v9, null, s4, 0, s3
	s_and_saveexec_b32 s3, vcc_lo
	s_cbranch_execnz .LBB0_57
; %bb.49:
	s_or_b32 exec_lo, exec_lo, s3
	s_and_saveexec_b32 s3, s0
	s_cbranch_execnz .LBB0_58
.LBB0_50:
	s_or_b32 exec_lo, exec_lo, s3
	s_and_saveexec_b32 s0, s1
	s_cbranch_execz .LBB0_52
.LBB0_51:
	s_waitcnt lgkmcnt(1)
	v_add_co_u32 v4, vcc_lo, 0x1000, v8
	v_add_co_ci_u32_e32 v5, vcc_lo, 0, v9, vcc_lo
	s_waitcnt lgkmcnt(0)
	global_store_b64 v[4:5], v[0:1], off
.LBB0_52:
	s_or_b32 exec_lo, exec_lo, s0
	s_and_saveexec_b32 s0, s2
	s_cbranch_execz .LBB0_38
.LBB0_53:
	s_lshl_b64 s[0:1], s[24:25], 3
	s_delay_alu instid0(SALU_CYCLE_1) | instskip(SKIP_3) | instid1(VALU_DEP_1)
	s_add_u32 s0, s22, s0
	s_addc_u32 s1, s23, s1
	s_waitcnt lgkmcnt(0)
	v_add_co_u32 v0, s0, s0, v11
	v_add_co_ci_u32_e64 v1, null, s1, 0, s0
	s_delay_alu instid0(VALU_DEP_2) | instskip(NEXT) | instid1(VALU_DEP_2)
	v_add_co_u32 v0, vcc_lo, 0x1000, v0
	v_add_co_ci_u32_e32 v1, vcc_lo, 0, v1, vcc_lo
	global_store_b64 v[0:1], v[2:3], off offset:2048
	s_nop 0
	s_sendmsg sendmsg(MSG_DEALLOC_VGPRS)
	s_endpgm
.LBB0_54:
	global_load_b64 v[1:2], v[9:10], off
	s_or_b32 exec_lo, exec_lo, s5
                                        ; implicit-def: $vgpr3_vgpr4
	s_and_saveexec_b32 s5, s2
	s_cbranch_execz .LBB0_13
.LBB0_55:
	global_load_b64 v[3:4], v[9:10], off offset:256
	s_or_b32 exec_lo, exec_lo, s5
                                        ; implicit-def: $vgpr5_vgpr6
	s_and_saveexec_b32 s2, s3
	s_cbranch_execz .LBB0_14
.LBB0_56:
	global_load_b64 v[5:6], v[9:10], off offset:512
	s_or_b32 exec_lo, exec_lo, s2
                                        ; implicit-def: $vgpr21_vgpr22
	s_and_saveexec_b32 s2, s4
	s_cbranch_execnz .LBB0_15
	s_branch .LBB0_16
.LBB0_57:
	s_waitcnt lgkmcnt(1)
	global_store_b64 v[8:9], v[4:5], off
	s_or_b32 exec_lo, exec_lo, s3
	s_and_saveexec_b32 s3, s0
	s_cbranch_execz .LBB0_50
.LBB0_58:
	s_waitcnt lgkmcnt(1)
	global_store_b64 v[8:9], v[6:7], off offset:2048
	s_or_b32 exec_lo, exec_lo, s3
	s_and_saveexec_b32 s0, s1
	s_cbranch_execnz .LBB0_51
	s_branch .LBB0_52
	.section	.rodata,"a",@progbits
	.p2align	6, 0x0
	.amdhsa_kernel _ZN7rocprim17ROCPRIM_304000_NS6detail28radix_sort_block_sort_kernelINS1_36wrapped_radix_sort_block_sort_configINS0_13kernel_configILj256ELj4ELj4294967295EEEhN2at4cuda3cub6detail10OpaqueTypeILi8EEEEELb1EPKhPhPKSB_PSB_NS0_19identity_decomposerEEEvT1_T2_T3_T4_jT5_jj
		.amdhsa_group_segment_fixed_size 8224
		.amdhsa_private_segment_fixed_size 0
		.amdhsa_kernarg_size 304
		.amdhsa_user_sgpr_count 15
		.amdhsa_user_sgpr_dispatch_ptr 0
		.amdhsa_user_sgpr_queue_ptr 0
		.amdhsa_user_sgpr_kernarg_segment_ptr 1
		.amdhsa_user_sgpr_dispatch_id 0
		.amdhsa_user_sgpr_private_segment_size 0
		.amdhsa_wavefront_size32 1
		.amdhsa_uses_dynamic_stack 0
		.amdhsa_enable_private_segment 0
		.amdhsa_system_sgpr_workgroup_id_x 1
		.amdhsa_system_sgpr_workgroup_id_y 0
		.amdhsa_system_sgpr_workgroup_id_z 0
		.amdhsa_system_sgpr_workgroup_info 0
		.amdhsa_system_vgpr_workitem_id 2
		.amdhsa_next_free_vgpr 51
		.amdhsa_next_free_sgpr 30
		.amdhsa_reserve_vcc 1
		.amdhsa_float_round_mode_32 0
		.amdhsa_float_round_mode_16_64 0
		.amdhsa_float_denorm_mode_32 3
		.amdhsa_float_denorm_mode_16_64 3
		.amdhsa_dx10_clamp 1
		.amdhsa_ieee_mode 1
		.amdhsa_fp16_overflow 0
		.amdhsa_workgroup_processor_mode 1
		.amdhsa_memory_ordered 1
		.amdhsa_forward_progress 0
		.amdhsa_shared_vgpr_count 0
		.amdhsa_exception_fp_ieee_invalid_op 0
		.amdhsa_exception_fp_denorm_src 0
		.amdhsa_exception_fp_ieee_div_zero 0
		.amdhsa_exception_fp_ieee_overflow 0
		.amdhsa_exception_fp_ieee_underflow 0
		.amdhsa_exception_fp_ieee_inexact 0
		.amdhsa_exception_int_div_zero 0
	.end_amdhsa_kernel
	.section	.text._ZN7rocprim17ROCPRIM_304000_NS6detail28radix_sort_block_sort_kernelINS1_36wrapped_radix_sort_block_sort_configINS0_13kernel_configILj256ELj4ELj4294967295EEEhN2at4cuda3cub6detail10OpaqueTypeILi8EEEEELb1EPKhPhPKSB_PSB_NS0_19identity_decomposerEEEvT1_T2_T3_T4_jT5_jj,"axG",@progbits,_ZN7rocprim17ROCPRIM_304000_NS6detail28radix_sort_block_sort_kernelINS1_36wrapped_radix_sort_block_sort_configINS0_13kernel_configILj256ELj4ELj4294967295EEEhN2at4cuda3cub6detail10OpaqueTypeILi8EEEEELb1EPKhPhPKSB_PSB_NS0_19identity_decomposerEEEvT1_T2_T3_T4_jT5_jj,comdat
.Lfunc_end0:
	.size	_ZN7rocprim17ROCPRIM_304000_NS6detail28radix_sort_block_sort_kernelINS1_36wrapped_radix_sort_block_sort_configINS0_13kernel_configILj256ELj4ELj4294967295EEEhN2at4cuda3cub6detail10OpaqueTypeILi8EEEEELb1EPKhPhPKSB_PSB_NS0_19identity_decomposerEEEvT1_T2_T3_T4_jT5_jj, .Lfunc_end0-_ZN7rocprim17ROCPRIM_304000_NS6detail28radix_sort_block_sort_kernelINS1_36wrapped_radix_sort_block_sort_configINS0_13kernel_configILj256ELj4ELj4294967295EEEhN2at4cuda3cub6detail10OpaqueTypeILi8EEEEELb1EPKhPhPKSB_PSB_NS0_19identity_decomposerEEEvT1_T2_T3_T4_jT5_jj
                                        ; -- End function
	.section	.AMDGPU.csdata,"",@progbits
; Kernel info:
; codeLenInByte = 4348
; NumSgprs: 32
; NumVgprs: 51
; ScratchSize: 0
; MemoryBound: 0
; FloatMode: 240
; IeeeMode: 1
; LDSByteSize: 8224 bytes/workgroup (compile time only)
; SGPRBlocks: 3
; VGPRBlocks: 6
; NumSGPRsForWavesPerEU: 32
; NumVGPRsForWavesPerEU: 51
; Occupancy: 16
; WaveLimiterHint : 1
; COMPUTE_PGM_RSRC2:SCRATCH_EN: 0
; COMPUTE_PGM_RSRC2:USER_SGPR: 15
; COMPUTE_PGM_RSRC2:TRAP_HANDLER: 0
; COMPUTE_PGM_RSRC2:TGID_X_EN: 1
; COMPUTE_PGM_RSRC2:TGID_Y_EN: 0
; COMPUTE_PGM_RSRC2:TGID_Z_EN: 0
; COMPUTE_PGM_RSRC2:TIDIG_COMP_CNT: 2
	.section	.text._ZN7rocprim17ROCPRIM_304000_NS6detail39device_merge_sort_compile_time_verifierINS1_36wrapped_merge_sort_block_sort_configINS1_28merge_sort_block_sort_configILj256ELj4ELNS0_20block_sort_algorithmE0EEEhN2at4cuda3cub6detail10OpaqueTypeILi8EEEEENS1_37wrapped_merge_sort_block_merge_configINS0_14default_configEhSC_EEEEvv,"axG",@progbits,_ZN7rocprim17ROCPRIM_304000_NS6detail39device_merge_sort_compile_time_verifierINS1_36wrapped_merge_sort_block_sort_configINS1_28merge_sort_block_sort_configILj256ELj4ELNS0_20block_sort_algorithmE0EEEhN2at4cuda3cub6detail10OpaqueTypeILi8EEEEENS1_37wrapped_merge_sort_block_merge_configINS0_14default_configEhSC_EEEEvv,comdat
	.protected	_ZN7rocprim17ROCPRIM_304000_NS6detail39device_merge_sort_compile_time_verifierINS1_36wrapped_merge_sort_block_sort_configINS1_28merge_sort_block_sort_configILj256ELj4ELNS0_20block_sort_algorithmE0EEEhN2at4cuda3cub6detail10OpaqueTypeILi8EEEEENS1_37wrapped_merge_sort_block_merge_configINS0_14default_configEhSC_EEEEvv ; -- Begin function _ZN7rocprim17ROCPRIM_304000_NS6detail39device_merge_sort_compile_time_verifierINS1_36wrapped_merge_sort_block_sort_configINS1_28merge_sort_block_sort_configILj256ELj4ELNS0_20block_sort_algorithmE0EEEhN2at4cuda3cub6detail10OpaqueTypeILi8EEEEENS1_37wrapped_merge_sort_block_merge_configINS0_14default_configEhSC_EEEEvv
	.globl	_ZN7rocprim17ROCPRIM_304000_NS6detail39device_merge_sort_compile_time_verifierINS1_36wrapped_merge_sort_block_sort_configINS1_28merge_sort_block_sort_configILj256ELj4ELNS0_20block_sort_algorithmE0EEEhN2at4cuda3cub6detail10OpaqueTypeILi8EEEEENS1_37wrapped_merge_sort_block_merge_configINS0_14default_configEhSC_EEEEvv
	.p2align	8
	.type	_ZN7rocprim17ROCPRIM_304000_NS6detail39device_merge_sort_compile_time_verifierINS1_36wrapped_merge_sort_block_sort_configINS1_28merge_sort_block_sort_configILj256ELj4ELNS0_20block_sort_algorithmE0EEEhN2at4cuda3cub6detail10OpaqueTypeILi8EEEEENS1_37wrapped_merge_sort_block_merge_configINS0_14default_configEhSC_EEEEvv,@function
_ZN7rocprim17ROCPRIM_304000_NS6detail39device_merge_sort_compile_time_verifierINS1_36wrapped_merge_sort_block_sort_configINS1_28merge_sort_block_sort_configILj256ELj4ELNS0_20block_sort_algorithmE0EEEhN2at4cuda3cub6detail10OpaqueTypeILi8EEEEENS1_37wrapped_merge_sort_block_merge_configINS0_14default_configEhSC_EEEEvv: ; @_ZN7rocprim17ROCPRIM_304000_NS6detail39device_merge_sort_compile_time_verifierINS1_36wrapped_merge_sort_block_sort_configINS1_28merge_sort_block_sort_configILj256ELj4ELNS0_20block_sort_algorithmE0EEEhN2at4cuda3cub6detail10OpaqueTypeILi8EEEEENS1_37wrapped_merge_sort_block_merge_configINS0_14default_configEhSC_EEEEvv
; %bb.0:
	s_endpgm
	.section	.rodata,"a",@progbits
	.p2align	6, 0x0
	.amdhsa_kernel _ZN7rocprim17ROCPRIM_304000_NS6detail39device_merge_sort_compile_time_verifierINS1_36wrapped_merge_sort_block_sort_configINS1_28merge_sort_block_sort_configILj256ELj4ELNS0_20block_sort_algorithmE0EEEhN2at4cuda3cub6detail10OpaqueTypeILi8EEEEENS1_37wrapped_merge_sort_block_merge_configINS0_14default_configEhSC_EEEEvv
		.amdhsa_group_segment_fixed_size 0
		.amdhsa_private_segment_fixed_size 0
		.amdhsa_kernarg_size 0
		.amdhsa_user_sgpr_count 15
		.amdhsa_user_sgpr_dispatch_ptr 0
		.amdhsa_user_sgpr_queue_ptr 0
		.amdhsa_user_sgpr_kernarg_segment_ptr 0
		.amdhsa_user_sgpr_dispatch_id 0
		.amdhsa_user_sgpr_private_segment_size 0
		.amdhsa_wavefront_size32 1
		.amdhsa_uses_dynamic_stack 0
		.amdhsa_enable_private_segment 0
		.amdhsa_system_sgpr_workgroup_id_x 1
		.amdhsa_system_sgpr_workgroup_id_y 0
		.amdhsa_system_sgpr_workgroup_id_z 0
		.amdhsa_system_sgpr_workgroup_info 0
		.amdhsa_system_vgpr_workitem_id 0
		.amdhsa_next_free_vgpr 1
		.amdhsa_next_free_sgpr 1
		.amdhsa_reserve_vcc 0
		.amdhsa_float_round_mode_32 0
		.amdhsa_float_round_mode_16_64 0
		.amdhsa_float_denorm_mode_32 3
		.amdhsa_float_denorm_mode_16_64 3
		.amdhsa_dx10_clamp 1
		.amdhsa_ieee_mode 1
		.amdhsa_fp16_overflow 0
		.amdhsa_workgroup_processor_mode 1
		.amdhsa_memory_ordered 1
		.amdhsa_forward_progress 0
		.amdhsa_shared_vgpr_count 0
		.amdhsa_exception_fp_ieee_invalid_op 0
		.amdhsa_exception_fp_denorm_src 0
		.amdhsa_exception_fp_ieee_div_zero 0
		.amdhsa_exception_fp_ieee_overflow 0
		.amdhsa_exception_fp_ieee_underflow 0
		.amdhsa_exception_fp_ieee_inexact 0
		.amdhsa_exception_int_div_zero 0
	.end_amdhsa_kernel
	.section	.text._ZN7rocprim17ROCPRIM_304000_NS6detail39device_merge_sort_compile_time_verifierINS1_36wrapped_merge_sort_block_sort_configINS1_28merge_sort_block_sort_configILj256ELj4ELNS0_20block_sort_algorithmE0EEEhN2at4cuda3cub6detail10OpaqueTypeILi8EEEEENS1_37wrapped_merge_sort_block_merge_configINS0_14default_configEhSC_EEEEvv,"axG",@progbits,_ZN7rocprim17ROCPRIM_304000_NS6detail39device_merge_sort_compile_time_verifierINS1_36wrapped_merge_sort_block_sort_configINS1_28merge_sort_block_sort_configILj256ELj4ELNS0_20block_sort_algorithmE0EEEhN2at4cuda3cub6detail10OpaqueTypeILi8EEEEENS1_37wrapped_merge_sort_block_merge_configINS0_14default_configEhSC_EEEEvv,comdat
.Lfunc_end1:
	.size	_ZN7rocprim17ROCPRIM_304000_NS6detail39device_merge_sort_compile_time_verifierINS1_36wrapped_merge_sort_block_sort_configINS1_28merge_sort_block_sort_configILj256ELj4ELNS0_20block_sort_algorithmE0EEEhN2at4cuda3cub6detail10OpaqueTypeILi8EEEEENS1_37wrapped_merge_sort_block_merge_configINS0_14default_configEhSC_EEEEvv, .Lfunc_end1-_ZN7rocprim17ROCPRIM_304000_NS6detail39device_merge_sort_compile_time_verifierINS1_36wrapped_merge_sort_block_sort_configINS1_28merge_sort_block_sort_configILj256ELj4ELNS0_20block_sort_algorithmE0EEEhN2at4cuda3cub6detail10OpaqueTypeILi8EEEEENS1_37wrapped_merge_sort_block_merge_configINS0_14default_configEhSC_EEEEvv
                                        ; -- End function
	.section	.AMDGPU.csdata,"",@progbits
; Kernel info:
; codeLenInByte = 4
; NumSgprs: 0
; NumVgprs: 0
; ScratchSize: 0
; MemoryBound: 0
; FloatMode: 240
; IeeeMode: 1
; LDSByteSize: 0 bytes/workgroup (compile time only)
; SGPRBlocks: 0
; VGPRBlocks: 0
; NumSGPRsForWavesPerEU: 1
; NumVGPRsForWavesPerEU: 1
; Occupancy: 16
; WaveLimiterHint : 0
; COMPUTE_PGM_RSRC2:SCRATCH_EN: 0
; COMPUTE_PGM_RSRC2:USER_SGPR: 15
; COMPUTE_PGM_RSRC2:TRAP_HANDLER: 0
; COMPUTE_PGM_RSRC2:TGID_X_EN: 1
; COMPUTE_PGM_RSRC2:TGID_Y_EN: 0
; COMPUTE_PGM_RSRC2:TGID_Z_EN: 0
; COMPUTE_PGM_RSRC2:TIDIG_COMP_CNT: 0
	.section	.text._ZN7rocprim17ROCPRIM_304000_NS6detail45device_block_merge_mergepath_partition_kernelINS1_37wrapped_merge_sort_block_merge_configINS0_14default_configEhN2at4cuda3cub6detail10OpaqueTypeILi8EEEEEPhjNS1_19radix_merge_compareILb1ELb0EhNS0_19identity_decomposerEEEEEvT0_T1_jPSH_T2_SH_,"axG",@progbits,_ZN7rocprim17ROCPRIM_304000_NS6detail45device_block_merge_mergepath_partition_kernelINS1_37wrapped_merge_sort_block_merge_configINS0_14default_configEhN2at4cuda3cub6detail10OpaqueTypeILi8EEEEEPhjNS1_19radix_merge_compareILb1ELb0EhNS0_19identity_decomposerEEEEEvT0_T1_jPSH_T2_SH_,comdat
	.protected	_ZN7rocprim17ROCPRIM_304000_NS6detail45device_block_merge_mergepath_partition_kernelINS1_37wrapped_merge_sort_block_merge_configINS0_14default_configEhN2at4cuda3cub6detail10OpaqueTypeILi8EEEEEPhjNS1_19radix_merge_compareILb1ELb0EhNS0_19identity_decomposerEEEEEvT0_T1_jPSH_T2_SH_ ; -- Begin function _ZN7rocprim17ROCPRIM_304000_NS6detail45device_block_merge_mergepath_partition_kernelINS1_37wrapped_merge_sort_block_merge_configINS0_14default_configEhN2at4cuda3cub6detail10OpaqueTypeILi8EEEEEPhjNS1_19radix_merge_compareILb1ELb0EhNS0_19identity_decomposerEEEEEvT0_T1_jPSH_T2_SH_
	.globl	_ZN7rocprim17ROCPRIM_304000_NS6detail45device_block_merge_mergepath_partition_kernelINS1_37wrapped_merge_sort_block_merge_configINS0_14default_configEhN2at4cuda3cub6detail10OpaqueTypeILi8EEEEEPhjNS1_19radix_merge_compareILb1ELb0EhNS0_19identity_decomposerEEEEEvT0_T1_jPSH_T2_SH_
	.p2align	8
	.type	_ZN7rocprim17ROCPRIM_304000_NS6detail45device_block_merge_mergepath_partition_kernelINS1_37wrapped_merge_sort_block_merge_configINS0_14default_configEhN2at4cuda3cub6detail10OpaqueTypeILi8EEEEEPhjNS1_19radix_merge_compareILb1ELb0EhNS0_19identity_decomposerEEEEEvT0_T1_jPSH_T2_SH_,@function
_ZN7rocprim17ROCPRIM_304000_NS6detail45device_block_merge_mergepath_partition_kernelINS1_37wrapped_merge_sort_block_merge_configINS0_14default_configEhN2at4cuda3cub6detail10OpaqueTypeILi8EEEEEPhjNS1_19radix_merge_compareILb1ELb0EhNS0_19identity_decomposerEEEEEvT0_T1_jPSH_T2_SH_: ; @_ZN7rocprim17ROCPRIM_304000_NS6detail45device_block_merge_mergepath_partition_kernelINS1_37wrapped_merge_sort_block_merge_configINS0_14default_configEhN2at4cuda3cub6detail10OpaqueTypeILi8EEEEEPhjNS1_19radix_merge_compareILb1ELb0EhNS0_19identity_decomposerEEEEEvT0_T1_jPSH_T2_SH_
; %bb.0:
	s_load_b64 s[2:3], s[0:1], 0x8
	v_lshl_or_b32 v0, s15, 7, v0
	s_waitcnt lgkmcnt(0)
	s_delay_alu instid0(VALU_DEP_1)
	v_cmp_gt_u32_e32 vcc_lo, s3, v0
	s_and_saveexec_b32 s3, vcc_lo
	s_cbranch_execz .LBB2_6
; %bb.1:
	s_load_b32 s3, s[0:1], 0x1c
	s_waitcnt lgkmcnt(0)
	s_lshr_b32 s4, s3, 9
	s_delay_alu instid0(SALU_CYCLE_1) | instskip(NEXT) | instid1(SALU_CYCLE_1)
	s_and_b32 s4, s4, 0x7ffffe
	s_sub_i32 s5, 0, s4
	s_add_i32 s4, s4, -1
	v_and_b32_e32 v1, s5, v0
	v_and_b32_e32 v4, s4, v0
	s_delay_alu instid0(VALU_DEP_2) | instskip(NEXT) | instid1(VALU_DEP_1)
	v_lshlrev_b32_e32 v1, 10, v1
	v_add_nc_u32_e32 v2, s3, v1
	s_delay_alu instid0(VALU_DEP_1) | instskip(SKIP_1) | instid1(VALU_DEP_2)
	v_min_u32_e32 v7, s2, v2
	v_min_u32_e32 v2, s2, v1
	v_add_nc_u32_e32 v3, s3, v7
	s_delay_alu instid0(VALU_DEP_1) | instskip(SKIP_2) | instid1(VALU_DEP_2)
	v_min_u32_e32 v1, s2, v3
	v_lshlrev_b32_e32 v3, 10, v4
	s_mov_b32 s2, exec_lo
	v_sub_nc_u32_e32 v4, v1, v2
	v_sub_nc_u32_e32 v5, v1, v7
	s_delay_alu instid0(VALU_DEP_2) | instskip(SKIP_1) | instid1(VALU_DEP_2)
	v_min_u32_e32 v1, v4, v3
	v_sub_nc_u32_e32 v4, v7, v2
	v_sub_nc_u32_e64 v3, v1, v5 clamp
	s_delay_alu instid0(VALU_DEP_2) | instskip(NEXT) | instid1(VALU_DEP_1)
	v_min_u32_e32 v4, v1, v4
	v_cmpx_lt_u32_e64 v3, v4
	s_cbranch_execz .LBB2_5
; %bb.2:
	s_load_b64 s[4:5], s[0:1], 0x0
	s_waitcnt lgkmcnt(0)
	v_add_co_u32 v5, s3, s4, v2
	s_delay_alu instid0(VALU_DEP_1) | instskip(SKIP_1) | instid1(VALU_DEP_1)
	v_add_co_ci_u32_e64 v6, null, s5, 0, s3
	v_add_co_u32 v7, s3, s4, v7
	v_add_co_ci_u32_e64 v8, null, s5, 0, s3
	s_mov_b32 s3, 0
	.p2align	6
.LBB2_3:                                ; =>This Inner Loop Header: Depth=1
	v_add_nc_u32_e32 v9, v4, v3
	s_delay_alu instid0(VALU_DEP_1) | instskip(NEXT) | instid1(VALU_DEP_1)
	v_lshrrev_b32_e32 v13, 1, v9
	v_xad_u32 v11, v13, -1, v1
	v_add_co_u32 v9, vcc_lo, v5, v13
	v_add_co_ci_u32_e32 v10, vcc_lo, 0, v6, vcc_lo
	s_delay_alu instid0(VALU_DEP_3)
	v_add_co_u32 v11, vcc_lo, v7, v11
	v_add_co_ci_u32_e32 v12, vcc_lo, 0, v8, vcc_lo
	s_clause 0x1
	global_load_u8 v9, v[9:10], off
	global_load_u8 v10, v[11:12], off
	v_add_nc_u32_e32 v11, 1, v13
	s_waitcnt vmcnt(0)
	v_cmp_gt_u16_e32 vcc_lo, v10, v9
	s_delay_alu instid0(VALU_DEP_2) | instskip(NEXT) | instid1(VALU_DEP_1)
	v_dual_cndmask_b32 v4, v4, v13 :: v_dual_cndmask_b32 v3, v11, v3
	v_cmp_ge_u32_e32 vcc_lo, v3, v4
	s_or_b32 s3, vcc_lo, s3
	s_delay_alu instid0(SALU_CYCLE_1)
	s_and_not1_b32 exec_lo, exec_lo, s3
	s_cbranch_execnz .LBB2_3
; %bb.4:
	s_or_b32 exec_lo, exec_lo, s3
.LBB2_5:
	s_delay_alu instid0(SALU_CYCLE_1) | instskip(SKIP_2) | instid1(VALU_DEP_1)
	s_or_b32 exec_lo, exec_lo, s2
	s_load_b64 s[0:1], s[0:1], 0x10
	v_dual_mov_b32 v1, 0 :: v_dual_add_nc_u32 v2, v3, v2
	v_lshlrev_b64 v[0:1], 2, v[0:1]
	s_waitcnt lgkmcnt(0)
	s_delay_alu instid0(VALU_DEP_1) | instskip(NEXT) | instid1(VALU_DEP_2)
	v_add_co_u32 v0, vcc_lo, s0, v0
	v_add_co_ci_u32_e32 v1, vcc_lo, s1, v1, vcc_lo
	global_store_b32 v[0:1], v2, off
.LBB2_6:
	s_nop 0
	s_sendmsg sendmsg(MSG_DEALLOC_VGPRS)
	s_endpgm
	.section	.rodata,"a",@progbits
	.p2align	6, 0x0
	.amdhsa_kernel _ZN7rocprim17ROCPRIM_304000_NS6detail45device_block_merge_mergepath_partition_kernelINS1_37wrapped_merge_sort_block_merge_configINS0_14default_configEhN2at4cuda3cub6detail10OpaqueTypeILi8EEEEEPhjNS1_19radix_merge_compareILb1ELb0EhNS0_19identity_decomposerEEEEEvT0_T1_jPSH_T2_SH_
		.amdhsa_group_segment_fixed_size 0
		.amdhsa_private_segment_fixed_size 0
		.amdhsa_kernarg_size 32
		.amdhsa_user_sgpr_count 15
		.amdhsa_user_sgpr_dispatch_ptr 0
		.amdhsa_user_sgpr_queue_ptr 0
		.amdhsa_user_sgpr_kernarg_segment_ptr 1
		.amdhsa_user_sgpr_dispatch_id 0
		.amdhsa_user_sgpr_private_segment_size 0
		.amdhsa_wavefront_size32 1
		.amdhsa_uses_dynamic_stack 0
		.amdhsa_enable_private_segment 0
		.amdhsa_system_sgpr_workgroup_id_x 1
		.amdhsa_system_sgpr_workgroup_id_y 0
		.amdhsa_system_sgpr_workgroup_id_z 0
		.amdhsa_system_sgpr_workgroup_info 0
		.amdhsa_system_vgpr_workitem_id 0
		.amdhsa_next_free_vgpr 14
		.amdhsa_next_free_sgpr 16
		.amdhsa_reserve_vcc 1
		.amdhsa_float_round_mode_32 0
		.amdhsa_float_round_mode_16_64 0
		.amdhsa_float_denorm_mode_32 3
		.amdhsa_float_denorm_mode_16_64 3
		.amdhsa_dx10_clamp 1
		.amdhsa_ieee_mode 1
		.amdhsa_fp16_overflow 0
		.amdhsa_workgroup_processor_mode 1
		.amdhsa_memory_ordered 1
		.amdhsa_forward_progress 0
		.amdhsa_shared_vgpr_count 0
		.amdhsa_exception_fp_ieee_invalid_op 0
		.amdhsa_exception_fp_denorm_src 0
		.amdhsa_exception_fp_ieee_div_zero 0
		.amdhsa_exception_fp_ieee_overflow 0
		.amdhsa_exception_fp_ieee_underflow 0
		.amdhsa_exception_fp_ieee_inexact 0
		.amdhsa_exception_int_div_zero 0
	.end_amdhsa_kernel
	.section	.text._ZN7rocprim17ROCPRIM_304000_NS6detail45device_block_merge_mergepath_partition_kernelINS1_37wrapped_merge_sort_block_merge_configINS0_14default_configEhN2at4cuda3cub6detail10OpaqueTypeILi8EEEEEPhjNS1_19radix_merge_compareILb1ELb0EhNS0_19identity_decomposerEEEEEvT0_T1_jPSH_T2_SH_,"axG",@progbits,_ZN7rocprim17ROCPRIM_304000_NS6detail45device_block_merge_mergepath_partition_kernelINS1_37wrapped_merge_sort_block_merge_configINS0_14default_configEhN2at4cuda3cub6detail10OpaqueTypeILi8EEEEEPhjNS1_19radix_merge_compareILb1ELb0EhNS0_19identity_decomposerEEEEEvT0_T1_jPSH_T2_SH_,comdat
.Lfunc_end2:
	.size	_ZN7rocprim17ROCPRIM_304000_NS6detail45device_block_merge_mergepath_partition_kernelINS1_37wrapped_merge_sort_block_merge_configINS0_14default_configEhN2at4cuda3cub6detail10OpaqueTypeILi8EEEEEPhjNS1_19radix_merge_compareILb1ELb0EhNS0_19identity_decomposerEEEEEvT0_T1_jPSH_T2_SH_, .Lfunc_end2-_ZN7rocprim17ROCPRIM_304000_NS6detail45device_block_merge_mergepath_partition_kernelINS1_37wrapped_merge_sort_block_merge_configINS0_14default_configEhN2at4cuda3cub6detail10OpaqueTypeILi8EEEEEPhjNS1_19radix_merge_compareILb1ELb0EhNS0_19identity_decomposerEEEEEvT0_T1_jPSH_T2_SH_
                                        ; -- End function
	.section	.AMDGPU.csdata,"",@progbits
; Kernel info:
; codeLenInByte = 412
; NumSgprs: 18
; NumVgprs: 14
; ScratchSize: 0
; MemoryBound: 0
; FloatMode: 240
; IeeeMode: 1
; LDSByteSize: 0 bytes/workgroup (compile time only)
; SGPRBlocks: 2
; VGPRBlocks: 1
; NumSGPRsForWavesPerEU: 18
; NumVGPRsForWavesPerEU: 14
; Occupancy: 16
; WaveLimiterHint : 0
; COMPUTE_PGM_RSRC2:SCRATCH_EN: 0
; COMPUTE_PGM_RSRC2:USER_SGPR: 15
; COMPUTE_PGM_RSRC2:TRAP_HANDLER: 0
; COMPUTE_PGM_RSRC2:TGID_X_EN: 1
; COMPUTE_PGM_RSRC2:TGID_Y_EN: 0
; COMPUTE_PGM_RSRC2:TGID_Z_EN: 0
; COMPUTE_PGM_RSRC2:TIDIG_COMP_CNT: 0
	.section	.text._ZN7rocprim17ROCPRIM_304000_NS6detail35device_block_merge_mergepath_kernelINS1_37wrapped_merge_sort_block_merge_configINS0_14default_configEhN2at4cuda3cub6detail10OpaqueTypeILi8EEEEEPhSC_PSA_SD_jNS1_19radix_merge_compareILb1ELb0EhNS0_19identity_decomposerEEEEEvT0_T1_T2_T3_T4_SL_jT5_PKSL_NS1_7vsmem_tE,"axG",@progbits,_ZN7rocprim17ROCPRIM_304000_NS6detail35device_block_merge_mergepath_kernelINS1_37wrapped_merge_sort_block_merge_configINS0_14default_configEhN2at4cuda3cub6detail10OpaqueTypeILi8EEEEEPhSC_PSA_SD_jNS1_19radix_merge_compareILb1ELb0EhNS0_19identity_decomposerEEEEEvT0_T1_T2_T3_T4_SL_jT5_PKSL_NS1_7vsmem_tE,comdat
	.protected	_ZN7rocprim17ROCPRIM_304000_NS6detail35device_block_merge_mergepath_kernelINS1_37wrapped_merge_sort_block_merge_configINS0_14default_configEhN2at4cuda3cub6detail10OpaqueTypeILi8EEEEEPhSC_PSA_SD_jNS1_19radix_merge_compareILb1ELb0EhNS0_19identity_decomposerEEEEEvT0_T1_T2_T3_T4_SL_jT5_PKSL_NS1_7vsmem_tE ; -- Begin function _ZN7rocprim17ROCPRIM_304000_NS6detail35device_block_merge_mergepath_kernelINS1_37wrapped_merge_sort_block_merge_configINS0_14default_configEhN2at4cuda3cub6detail10OpaqueTypeILi8EEEEEPhSC_PSA_SD_jNS1_19radix_merge_compareILb1ELb0EhNS0_19identity_decomposerEEEEEvT0_T1_T2_T3_T4_SL_jT5_PKSL_NS1_7vsmem_tE
	.globl	_ZN7rocprim17ROCPRIM_304000_NS6detail35device_block_merge_mergepath_kernelINS1_37wrapped_merge_sort_block_merge_configINS0_14default_configEhN2at4cuda3cub6detail10OpaqueTypeILi8EEEEEPhSC_PSA_SD_jNS1_19radix_merge_compareILb1ELb0EhNS0_19identity_decomposerEEEEEvT0_T1_T2_T3_T4_SL_jT5_PKSL_NS1_7vsmem_tE
	.p2align	8
	.type	_ZN7rocprim17ROCPRIM_304000_NS6detail35device_block_merge_mergepath_kernelINS1_37wrapped_merge_sort_block_merge_configINS0_14default_configEhN2at4cuda3cub6detail10OpaqueTypeILi8EEEEEPhSC_PSA_SD_jNS1_19radix_merge_compareILb1ELb0EhNS0_19identity_decomposerEEEEEvT0_T1_T2_T3_T4_SL_jT5_PKSL_NS1_7vsmem_tE,@function
_ZN7rocprim17ROCPRIM_304000_NS6detail35device_block_merge_mergepath_kernelINS1_37wrapped_merge_sort_block_merge_configINS0_14default_configEhN2at4cuda3cub6detail10OpaqueTypeILi8EEEEEPhSC_PSA_SD_jNS1_19radix_merge_compareILb1ELb0EhNS0_19identity_decomposerEEEEEvT0_T1_T2_T3_T4_SL_jT5_PKSL_NS1_7vsmem_tE: ; @_ZN7rocprim17ROCPRIM_304000_NS6detail35device_block_merge_mergepath_kernelINS1_37wrapped_merge_sort_block_merge_configINS0_14default_configEhN2at4cuda3cub6detail10OpaqueTypeILi8EEEEEPhSC_PSA_SD_jNS1_19radix_merge_compareILb1ELb0EhNS0_19identity_decomposerEEEEEvT0_T1_T2_T3_T4_SL_jT5_PKSL_NS1_7vsmem_tE
; %bb.0:
	s_clause 0x1
	s_load_b64 s[22:23], s[0:1], 0x40
	s_load_b128 s[16:19], s[0:1], 0x20
	s_add_u32 s20, s0, 64
	s_addc_u32 s21, s1, 0
	s_waitcnt lgkmcnt(0)
	s_mul_i32 s2, s23, s15
	s_delay_alu instid0(SALU_CYCLE_1) | instskip(NEXT) | instid1(SALU_CYCLE_1)
	s_add_i32 s2, s2, s14
	s_mul_i32 s2, s2, s22
	s_delay_alu instid0(SALU_CYCLE_1) | instskip(NEXT) | instid1(SALU_CYCLE_1)
	s_add_i32 s2, s2, s13
	s_cmp_ge_u32 s2, s18
	s_cbranch_scc1 .LBB3_53
; %bb.1:
	v_mov_b32_e32 v1, 0
	s_load_b64 s[4:5], s[0:1], 0x30
	s_lshr_b32 s26, s16, 10
	s_mov_b32 s15, 0
	s_cmp_lg_u32 s2, s26
	global_load_b32 v2, v1, s[20:21] offset:14
	s_mov_b32 s3, s15
	s_cselect_b32 s18, -1, 0
	s_lshl_b64 s[6:7], s[2:3], 2
	s_waitcnt lgkmcnt(0)
	s_add_u32 s4, s4, s6
	s_addc_u32 s5, s5, s7
	s_lshr_b32 s3, s17, 9
	s_load_b64 s[24:25], s[4:5], 0x0
	s_and_b32 s3, s3, 0x7ffffe
	s_load_b256 s[4:11], s[0:1], 0x0
	s_sub_i32 s0, 0, s3
	s_lshl_b32 s3, s2, 10
	s_and_b32 s1, s2, s0
	s_or_b32 s0, s2, s0
	s_lshl_b32 s12, s1, 11
	s_lshl_b32 s1, s1, 10
	s_add_i32 s12, s12, s17
	s_sub_i32 s14, s3, s1
	s_sub_i32 s1, s12, s1
	s_add_i32 s12, s12, s14
	s_min_u32 s14, s16, s1
	s_add_i32 s1, s1, s17
	s_waitcnt lgkmcnt(0)
	s_sub_i32 s17, s12, s24
	s_sub_i32 s19, s12, s25
	s_min_u32 s12, s16, s17
	s_addk_i32 s19, 0x400
	s_cmp_eq_u32 s0, -1
	s_cselect_b32 s0, s1, s19
	s_cselect_b32 s1, s14, s25
	s_min_u32 s0, s0, s16
	s_sub_i32 s17, s1, s24
	s_sub_i32 s19, s0, s12
	s_add_u32 s1, s4, s24
	s_addc_u32 s23, s5, 0
	s_mov_b32 s14, s24
	s_add_u32 s24, s4, s12
	s_addc_u32 s5, s5, 0
	s_cmp_lt_u32 s13, s22
	v_cmp_gt_u32_e32 vcc_lo, s17, v0
	s_cselect_b32 s0, 12, 18
	s_mov_b32 s13, s15
	s_add_u32 s20, s20, s0
	s_addc_u32 s21, s21, 0
	s_mov_b32 s0, -1
	s_cmp_eq_u32 s2, s26
	s_waitcnt vmcnt(0)
	v_lshrrev_b32_e32 v3, 16, v2
	v_and_b32_e32 v2, 0xffff, v2
	global_load_u16 v1, v1, s[20:21]
	v_mul_lo_u32 v2, v2, v3
	s_waitcnt vmcnt(0)
	s_delay_alu instid0(VALU_DEP_1) | instskip(NEXT) | instid1(VALU_DEP_1)
	v_mul_lo_u32 v1, v2, v1
	v_add_nc_u32_e32 v1, v1, v0
	s_cbranch_scc1 .LBB3_3
; %bb.2:
	v_subrev_nc_u32_e32 v2, s17, v0
	v_add_co_u32 v4, s0, s1, v0
	s_delay_alu instid0(VALU_DEP_3) | instskip(SKIP_1) | instid1(VALU_DEP_4)
	v_subrev_nc_u32_e32 v6, s17, v1
	v_add_co_ci_u32_e64 v3, null, s23, 0, s0
	v_add_co_u32 v2, s0, s24, v2
	s_delay_alu instid0(VALU_DEP_1) | instskip(SKIP_1) | instid1(VALU_DEP_1)
	v_add_co_ci_u32_e64 v5, null, s5, 0, s0
	v_add_co_u32 v8, s0, s1, v1
	v_add_co_ci_u32_e64 v7, null, s23, 0, s0
	v_add_co_u32 v6, s0, s24, v6
	s_delay_alu instid0(VALU_DEP_1) | instskip(SKIP_3) | instid1(VALU_DEP_2)
	v_add_co_ci_u32_e64 v9, null, s5, 0, s0
	v_cmp_gt_u32_e64 s0, s17, v1
	v_dual_cndmask_b32 v3, v5, v3 :: v_dual_cndmask_b32 v2, v2, v4
	s_add_i32 s4, s19, s17
	v_cndmask_b32_e64 v7, v9, v7, s0
	v_cndmask_b32_e64 v6, v6, v8, s0
	global_load_u8 v5, v[2:3], off
	global_load_u8 v7, v[6:7], off
	s_mov_b32 s0, s15
	s_delay_alu instid0(SALU_CYCLE_1)
	s_and_not1_b32 vcc_lo, exec_lo, s0
	s_cbranch_vccz .LBB3_4
	s_branch .LBB3_9
.LBB3_3:
                                        ; implicit-def: $vgpr5
                                        ; implicit-def: $vgpr7
                                        ; implicit-def: $sgpr4
	s_and_not1_b32 vcc_lo, exec_lo, s0
	s_cbranch_vccnz .LBB3_9
.LBB3_4:
	s_add_i32 s4, s19, s17
	s_mov_b32 s0, exec_lo
                                        ; implicit-def: $vgpr5
	v_cmpx_gt_u32_e64 s4, v0
	s_cbranch_execz .LBB3_6
; %bb.5:
	v_subrev_nc_u32_e32 v2, s17, v0
	v_add_co_u32 v4, s2, s1, v0
	s_delay_alu instid0(VALU_DEP_1) | instskip(NEXT) | instid1(VALU_DEP_3)
	v_add_co_ci_u32_e64 v3, null, s23, 0, s2
	v_add_co_u32 v2, s2, s24, v2
	s_waitcnt vmcnt(1)
	v_add_co_ci_u32_e64 v5, null, s5, 0, s2
	v_cmp_gt_u32_e32 vcc_lo, s17, v0
	s_delay_alu instid0(VALU_DEP_2)
	v_dual_cndmask_b32 v3, v5, v3 :: v_dual_cndmask_b32 v2, v2, v4
	global_load_u8 v5, v[2:3], off
.LBB3_6:
	s_or_b32 exec_lo, exec_lo, s0
	s_delay_alu instid0(SALU_CYCLE_1)
	s_mov_b32 s0, exec_lo
                                        ; implicit-def: $vgpr7
	v_cmpx_gt_u32_e64 s4, v1
	s_cbranch_execz .LBB3_8
; %bb.7:
	v_subrev_nc_u32_e32 v2, s17, v1
	v_add_co_u32 v3, s1, s1, v1
	s_delay_alu instid0(VALU_DEP_1) | instskip(NEXT) | instid1(VALU_DEP_3)
	v_add_co_ci_u32_e64 v4, null, s23, 0, s1
	v_add_co_u32 v6, s1, s24, v2
	s_delay_alu instid0(VALU_DEP_1) | instskip(SKIP_1) | instid1(VALU_DEP_3)
	v_add_co_ci_u32_e64 v2, null, s5, 0, s1
	v_cmp_gt_u32_e32 vcc_lo, s17, v1
	v_cndmask_b32_e32 v1, v6, v3, vcc_lo
	s_delay_alu instid0(VALU_DEP_3)
	v_cndmask_b32_e32 v2, v2, v4, vcc_lo
	global_load_u8 v7, v[1:2], off
.LBB3_8:
	s_or_b32 exec_lo, exec_lo, s0
.LBB3_9:
	v_lshlrev_b32_e32 v6, 1, v0
	s_mov_b32 s0, exec_lo
	s_waitcnt vmcnt(0)
	ds_store_b8 v0, v5
	ds_store_b8 v0, v7 offset:512
	s_waitcnt lgkmcnt(0)
	s_barrier
	v_min_u32_e32 v2, s4, v6
	buffer_gl0_inv
	v_sub_nc_u32_e64 v1, v2, s19 clamp
	v_min_u32_e32 v3, s17, v2
	s_delay_alu instid0(VALU_DEP_1)
	v_cmpx_lt_u32_e64 v1, v3
	s_cbranch_execz .LBB3_13
; %bb.10:
	v_add_nc_u32_e32 v4, s17, v2
	s_mov_b32 s1, 0
.LBB3_11:                               ; =>This Inner Loop Header: Depth=1
	v_add_nc_u32_e32 v8, v3, v1
	s_delay_alu instid0(VALU_DEP_1) | instskip(NEXT) | instid1(VALU_DEP_1)
	v_lshrrev_b32_e32 v8, 1, v8
	v_xad_u32 v9, v8, -1, v4
	v_add_nc_u32_e32 v11, 1, v8
	ds_load_u8 v10, v8
	ds_load_u8 v9, v9
	s_waitcnt lgkmcnt(0)
	v_cmp_gt_u16_e32 vcc_lo, v9, v10
	v_cndmask_b32_e32 v3, v3, v8, vcc_lo
	v_cndmask_b32_e32 v1, v11, v1, vcc_lo
	s_delay_alu instid0(VALU_DEP_1) | instskip(SKIP_1) | instid1(SALU_CYCLE_1)
	v_cmp_ge_u32_e32 vcc_lo, v1, v3
	s_or_b32 s1, vcc_lo, s1
	s_and_not1_b32 exec_lo, exec_lo, s1
	s_cbranch_execnz .LBB3_11
; %bb.12:
	s_or_b32 exec_lo, exec_lo, s1
.LBB3_13:
	s_delay_alu instid0(SALU_CYCLE_1) | instskip(SKIP_2) | instid1(VALU_DEP_2)
	s_or_b32 exec_lo, exec_lo, s0
	v_sub_nc_u32_e32 v2, v2, v1
	v_cmp_ge_u32_e32 vcc_lo, s17, v1
                                        ; implicit-def: $vgpr9
                                        ; implicit-def: $vgpr10
	v_add_nc_u32_e32 v2, s17, v2
	s_delay_alu instid0(VALU_DEP_1) | instskip(NEXT) | instid1(VALU_DEP_1)
	v_cmp_ge_u32_e64 s0, s4, v2
	s_or_b32 s0, vcc_lo, s0
	s_delay_alu instid0(SALU_CYCLE_1)
	s_and_saveexec_b32 s5, s0
	s_cbranch_execz .LBB3_19
; %bb.14:
	v_cmp_gt_u32_e32 vcc_lo, s17, v1
                                        ; implicit-def: $vgpr3
	s_and_saveexec_b32 s0, vcc_lo
	s_cbranch_execz .LBB3_16
; %bb.15:
	ds_load_u8 v3, v1
.LBB3_16:
	s_or_b32 exec_lo, exec_lo, s0
	v_cmp_le_u32_e64 s0, s4, v2
	s_mov_b32 s2, exec_lo
                                        ; implicit-def: $vgpr4
	v_cmpx_gt_u32_e64 s4, v2
	s_cbranch_execz .LBB3_18
; %bb.17:
	ds_load_u8 v4, v2
.LBB3_18:
	s_or_b32 exec_lo, exec_lo, s2
	s_waitcnt lgkmcnt(0)
	v_and_b32_e32 v5, 0xff, v3
	v_and_b32_e32 v7, 0xff, v4
	s_delay_alu instid0(VALU_DEP_1) | instskip(NEXT) | instid1(VALU_DEP_1)
	v_cmp_le_u16_e64 s1, v7, v5
	s_and_b32 s1, vcc_lo, s1
	s_delay_alu instid0(SALU_CYCLE_1) | instskip(SKIP_1) | instid1(VALU_DEP_1)
	s_or_b32 vcc_lo, s0, s1
	v_cndmask_b32_e32 v10, v2, v1, vcc_lo
	v_add_nc_u32_e32 v7, 1, v10
	s_delay_alu instid0(VALU_DEP_1) | instskip(NEXT) | instid1(VALU_DEP_1)
	v_dual_mov_b32 v5, s17 :: v_dual_cndmask_b32 v2, v7, v2
	v_cndmask_b32_e32 v5, s4, v5, vcc_lo
	s_delay_alu instid0(VALU_DEP_2) | instskip(NEXT) | instid1(VALU_DEP_2)
	v_cmp_le_u32_e64 s2, s4, v2
	v_add_nc_u32_e32 v5, -1, v5
	s_delay_alu instid0(VALU_DEP_1) | instskip(SKIP_4) | instid1(VALU_DEP_2)
	v_min_u32_e32 v5, v7, v5
	ds_load_u8 v5, v5
	s_waitcnt lgkmcnt(0)
	v_dual_cndmask_b32 v8, v5, v4 :: v_dual_cndmask_b32 v11, v3, v5
	v_cndmask_b32_e32 v1, v1, v7, vcc_lo
	v_and_b32_e32 v5, 0xff, v8
	s_delay_alu instid0(VALU_DEP_3) | instskip(NEXT) | instid1(VALU_DEP_3)
	v_and_b32_e32 v9, 0xff, v11
	v_cmp_gt_u32_e64 s0, s17, v1
	s_delay_alu instid0(VALU_DEP_2) | instskip(SKIP_1) | instid1(VALU_DEP_2)
	v_cmp_le_u16_e64 s1, v5, v9
	v_cndmask_b32_e32 v5, v4, v3, vcc_lo
	s_and_b32 s0, s0, s1
	s_delay_alu instid0(SALU_CYCLE_1)
	s_or_b32 vcc_lo, s2, s0
	v_cndmask_b32_e32 v9, v2, v1, vcc_lo
	v_cndmask_b32_e32 v7, v8, v11, vcc_lo
.LBB3_19:
	s_or_b32 exec_lo, exec_lo, s5
	s_lshl_b64 s[0:1], s[14:15], 3
	v_or_b32_e32 v8, 0x200, v0
	s_add_u32 s2, s8, s0
	s_addc_u32 s5, s9, s1
	s_lshl_b64 s[12:13], s[12:13], 3
	v_cmp_gt_u32_e64 s1, s17, v0
	v_cmp_le_u32_e64 s0, s17, v0
	s_add_u32 s8, s8, s12
	s_mov_b32 s14, 0
	s_addc_u32 s9, s9, s13
	s_and_not1_b32 vcc_lo, exec_lo, s18
	s_barrier
	buffer_gl0_inv
	s_cbranch_vccnz .LBB3_21
; %bb.20:
	v_subrev_nc_u32_e32 v1, s17, v0
	v_dual_mov_b32 v2, 0 :: v_dual_lshlrev_b32 v13, 3, v0
	s_mov_b32 s14, -1
	s_delay_alu instid0(VALU_DEP_1) | instskip(NEXT) | instid1(VALU_DEP_2)
	v_lshlrev_b64 v[3:4], 3, v[1:2]
	v_add_co_u32 v14, s12, s2, v13
	s_delay_alu instid0(VALU_DEP_1) | instskip(NEXT) | instid1(VALU_DEP_3)
	v_add_co_ci_u32_e64 v15, null, s5, 0, s12
	v_add_co_u32 v1, vcc_lo, s8, v3
	s_delay_alu instid0(VALU_DEP_4) | instskip(NEXT) | instid1(VALU_DEP_1)
	v_add_co_ci_u32_e32 v3, vcc_lo, s9, v4, vcc_lo
	v_cndmask_b32_e64 v4, v3, v15, s1
	s_delay_alu instid0(VALU_DEP_3)
	v_cndmask_b32_e64 v3, v1, v14, s1
	v_subrev_nc_u32_e32 v1, s17, v8
	global_load_b64 v[11:12], v[3:4], off
	v_lshlrev_b64 v[1:2], 3, v[1:2]
	v_add_co_u32 v3, vcc_lo, 0x1000, v14
	v_add_co_ci_u32_e32 v4, vcc_lo, 0, v15, vcc_lo
	s_delay_alu instid0(VALU_DEP_3) | instskip(NEXT) | instid1(VALU_DEP_4)
	v_add_co_u32 v1, vcc_lo, s8, v1
	v_add_co_ci_u32_e32 v2, vcc_lo, s9, v2, vcc_lo
	v_cmp_gt_u32_e32 vcc_lo, s17, v8
	s_delay_alu instid0(VALU_DEP_2)
	v_dual_cndmask_b32 v2, v2, v4 :: v_dual_cndmask_b32 v1, v1, v3
	v_or_b32_e32 v4, 0x1000, v13
	s_waitcnt vmcnt(0)
	ds_store_b64 v13, v[11:12]
	s_cbranch_execz .LBB3_22
	s_branch .LBB3_33
.LBB3_21:
                                        ; implicit-def: $vgpr4
                                        ; implicit-def: $vgpr1_vgpr2
.LBB3_22:
	s_mov_b32 s1, 0
                                        ; implicit-def: $vgpr1_vgpr2
	s_and_saveexec_b32 s12, s0
	s_delay_alu instid0(SALU_CYCLE_1)
	s_xor_b32 s0, exec_lo, s12
	s_cbranch_execnz .LBB3_54
; %bb.23:
	s_and_not1_saveexec_b32 s0, s0
	s_cbranch_execnz .LBB3_57
.LBB3_24:
	s_or_b32 exec_lo, exec_lo, s0
	s_and_saveexec_b32 s0, s1
	s_cbranch_execz .LBB3_26
.LBB3_25:
	global_load_b64 v[1:2], v[1:2], off
	v_mad_u32_u24 v3, v0, 7, v0
	s_waitcnt vmcnt(0)
	ds_store_b64 v3, v[1:2]
.LBB3_26:
	s_or_b32 exec_lo, exec_lo, s0
	s_delay_alu instid0(SALU_CYCLE_1)
	s_mov_b32 s0, exec_lo
                                        ; implicit-def: $vgpr4
                                        ; implicit-def: $vgpr1_vgpr2
	v_cmpx_le_u32_e64 s17, v8
	s_xor_b32 s0, exec_lo, s0
	s_cbranch_execz .LBB3_30
; %bb.27:
	v_subrev_nc_u32_e32 v3, s17, v8
	s_mov_b32 s12, s14
	s_mov_b32 s1, exec_lo
                                        ; implicit-def: $vgpr4
                                        ; implicit-def: $vgpr1_vgpr2
	s_delay_alu instid0(VALU_DEP_1)
	v_cmpx_gt_u32_e64 s19, v3
; %bb.28:
	v_mov_b32_e32 v4, 0
	v_mul_u32_u24_e32 v11, 7, v0
	s_or_b32 s12, s14, exec_lo
	s_delay_alu instid0(VALU_DEP_2) | instskip(NEXT) | instid1(VALU_DEP_2)
	v_lshlrev_b64 v[1:2], 3, v[3:4]
	v_add3_u32 v4, v0, v11, 0x1000
	s_delay_alu instid0(VALU_DEP_2) | instskip(NEXT) | instid1(VALU_DEP_3)
	v_add_co_u32 v1, vcc_lo, s8, v1
	v_add_co_ci_u32_e32 v2, vcc_lo, s9, v2, vcc_lo
; %bb.29:
	s_or_b32 exec_lo, exec_lo, s1
	s_delay_alu instid0(SALU_CYCLE_1) | instskip(SKIP_1) | instid1(SALU_CYCLE_1)
	s_and_not1_b32 s1, s14, exec_lo
	s_and_b32 s8, s12, exec_lo
	s_or_b32 s14, s1, s8
.LBB3_30:
	s_and_not1_saveexec_b32 s0, s0
; %bb.31:
	v_lshlrev_b32_e32 v1, 3, v8
	v_mul_u32_u24_e32 v3, 7, v0
	s_or_b32 s14, s14, exec_lo
	s_delay_alu instid0(VALU_DEP_2) | instskip(NEXT) | instid1(VALU_DEP_1)
	v_add_co_u32 v1, s1, s2, v1
	v_add_co_ci_u32_e64 v2, null, s5, 0, s1
	s_delay_alu instid0(VALU_DEP_3)
	v_add3_u32 v4, v0, v3, 0x1000
; %bb.32:
	s_or_b32 exec_lo, exec_lo, s0
.LBB3_33:
	s_and_saveexec_b32 s0, s14
	s_cbranch_execz .LBB3_35
; %bb.34:
	global_load_b64 v[1:2], v[1:2], off
	s_waitcnt vmcnt(0)
	ds_store_b64 v4, v[1:2]
.LBB3_35:
	s_or_b32 exec_lo, exec_lo, s0
	v_add_nc_u32_e32 v1, s3, v6
	s_and_not1_b32 vcc_lo, exec_lo, s18
	s_waitcnt lgkmcnt(0)
	s_barrier
	buffer_gl0_inv
	s_cbranch_vccnz .LBB3_37
; %bb.36:
	v_lshlrev_b32_e32 v2, 3, v10
	s_mov_b32 s0, -1
	ds_load_b64 v[3:4], v2
	v_mov_b32_e32 v2, 0
	s_delay_alu instid0(VALU_DEP_1) | instskip(NEXT) | instid1(VALU_DEP_1)
	v_lshlrev_b64 v[11:12], 3, v[1:2]
	v_add_co_u32 v11, vcc_lo, s10, v11
	s_delay_alu instid0(VALU_DEP_2)
	v_add_co_ci_u32_e32 v12, vcc_lo, s11, v12, vcc_lo
	s_waitcnt lgkmcnt(0)
	global_store_b64 v[11:12], v[3:4], off
	s_cbranch_execz .LBB3_38
	s_branch .LBB3_43
.LBB3_37:
	s_mov_b32 s0, 0
.LBB3_38:
	s_mov_b32 s1, exec_lo
	v_cmpx_gt_u32_e64 s4, v6
	s_cbranch_execz .LBB3_40
; %bb.39:
	v_lshlrev_b32_e32 v2, 3, v10
	ds_load_b64 v[3:4], v2
	v_mov_b32_e32 v2, 0
	s_delay_alu instid0(VALU_DEP_1) | instskip(NEXT) | instid1(VALU_DEP_1)
	v_lshlrev_b64 v[10:11], 3, v[1:2]
	v_add_co_u32 v10, vcc_lo, s10, v10
	s_delay_alu instid0(VALU_DEP_2)
	v_add_co_ci_u32_e32 v11, vcc_lo, s11, v11, vcc_lo
	s_waitcnt lgkmcnt(0)
	global_store_b64 v[10:11], v[3:4], off
.LBB3_40:
	s_or_b32 exec_lo, exec_lo, s1
	v_or_b32_e32 v2, 1, v6
	s_mov_b32 s1, exec_lo
	s_delay_alu instid0(VALU_DEP_1)
	v_cmpx_gt_u32_e64 s4, v2
; %bb.41:
	v_mov_b32_e32 v2, 0
	s_or_b32 s0, s0, exec_lo
; %bb.42:
	s_or_b32 exec_lo, exec_lo, s1
.LBB3_43:
	s_and_saveexec_b32 s1, s0
	s_cbranch_execz .LBB3_45
; %bb.44:
	v_lshlrev_b32_e32 v3, 3, v9
	v_lshlrev_b64 v[1:2], 3, v[1:2]
	ds_load_b64 v[3:4], v3
	v_add_co_u32 v1, vcc_lo, s10, v1
	v_add_co_ci_u32_e32 v2, vcc_lo, s11, v2, vcc_lo
	s_waitcnt lgkmcnt(0)
	global_store_b64 v[1:2], v[3:4], off offset:8
.LBB3_45:
	s_or_b32 exec_lo, exec_lo, s1
	v_lshrrev_b32_e32 v1, 4, v0
	v_and_b32_e32 v2, 0xff, v5
	v_lshlrev_b16 v3, 8, v7
	v_lshrrev_b32_e32 v4, 5, v8
	s_add_u32 s1, s6, s3
	v_and_b32_e32 v1, 28, v1
	s_waitcnt_vscnt null, 0x0
	v_or_b32_e32 v2, v2, v3
	v_lshrrev_b32_e32 v3, 5, v0
	v_and_b32_e32 v4, 28, v4
	v_add_nc_u32_e32 v1, v1, v6
	s_barrier
	buffer_gl0_inv
	s_barrier
	buffer_gl0_inv
	s_addc_u32 s2, s7, 0
	ds_store_b16 v1, v2
	v_add_co_u32 v1, s1, s1, v0
	v_and_b32_e32 v3, 12, v3
	v_add_co_ci_u32_e64 v2, null, s2, 0, s1
	v_add_nc_u32_e32 v5, v0, v4
	s_mov_b32 s0, 0
	s_and_b32 vcc_lo, exec_lo, s18
	s_waitcnt lgkmcnt(0)
	s_cbranch_vccz .LBB3_47
; %bb.46:
	v_add_nc_u32_e32 v4, v0, v3
	s_barrier
	buffer_gl0_inv
	s_mov_b32 s0, -1
	ds_load_u8 v6, v4
	ds_load_u8 v4, v5 offset:512
	s_waitcnt lgkmcnt(1)
	global_store_b8 v[1:2], v6, off
	s_cbranch_execz .LBB3_48
	s_branch .LBB3_51
.LBB3_47:
                                        ; implicit-def: $vgpr4
.LBB3_48:
	s_waitcnt lgkmcnt(0)
	s_waitcnt_vscnt null, 0x0
	s_barrier
	buffer_gl0_inv
	ds_load_u8 v4, v5 offset:512
	s_sub_i32 s0, s16, s3
	s_mov_b32 s1, exec_lo
	v_cmpx_gt_u32_e64 s0, v0
	s_cbranch_execz .LBB3_50
; %bb.49:
	v_add_nc_u32_e32 v0, v0, v3
	ds_load_u8 v0, v0
	s_waitcnt lgkmcnt(0)
	global_store_b8 v[1:2], v0, off
.LBB3_50:
	s_or_b32 exec_lo, exec_lo, s1
	v_cmp_gt_u32_e64 s0, s0, v8
.LBB3_51:
	s_delay_alu instid0(VALU_DEP_1)
	s_and_saveexec_b32 s1, s0
	s_cbranch_execz .LBB3_53
; %bb.52:
	s_waitcnt lgkmcnt(0)
	global_store_b8 v[1:2], v4, off offset:512
.LBB3_53:
	s_nop 0
	s_sendmsg sendmsg(MSG_DEALLOC_VGPRS)
	s_endpgm
.LBB3_54:
	v_subrev_nc_u32_e32 v3, s17, v0
	s_mov_b32 s12, exec_lo
                                        ; implicit-def: $vgpr1_vgpr2
	s_delay_alu instid0(VALU_DEP_1)
	v_cmpx_gt_u32_e64 s19, v3
	s_xor_b32 s12, exec_lo, s12
; %bb.55:
	v_mov_b32_e32 v4, 0
	s_mov_b32 s1, exec_lo
	s_delay_alu instid0(VALU_DEP_1) | instskip(NEXT) | instid1(VALU_DEP_1)
	v_lshlrev_b64 v[1:2], 3, v[3:4]
	v_add_co_u32 v1, vcc_lo, s8, v1
	s_delay_alu instid0(VALU_DEP_2)
	v_add_co_ci_u32_e32 v2, vcc_lo, s9, v2, vcc_lo
; %bb.56:
	s_or_b32 exec_lo, exec_lo, s12
	s_delay_alu instid0(SALU_CYCLE_1)
	s_and_b32 s1, s1, exec_lo
	s_and_not1_saveexec_b32 s0, s0
	s_cbranch_execz .LBB3_24
.LBB3_57:
	v_lshlrev_b32_e32 v1, 3, v0
	s_or_b32 s1, s1, exec_lo
	s_delay_alu instid0(VALU_DEP_1) | instskip(NEXT) | instid1(VALU_DEP_1)
	v_add_co_u32 v1, s12, s2, v1
	v_add_co_ci_u32_e64 v2, null, s5, 0, s12
	s_or_b32 exec_lo, exec_lo, s0
	s_and_saveexec_b32 s0, s1
	s_cbranch_execnz .LBB3_25
	s_branch .LBB3_26
	.section	.rodata,"a",@progbits
	.p2align	6, 0x0
	.amdhsa_kernel _ZN7rocprim17ROCPRIM_304000_NS6detail35device_block_merge_mergepath_kernelINS1_37wrapped_merge_sort_block_merge_configINS0_14default_configEhN2at4cuda3cub6detail10OpaqueTypeILi8EEEEEPhSC_PSA_SD_jNS1_19radix_merge_compareILb1ELb0EhNS0_19identity_decomposerEEEEEvT0_T1_T2_T3_T4_SL_jT5_PKSL_NS1_7vsmem_tE
		.amdhsa_group_segment_fixed_size 8208
		.amdhsa_private_segment_fixed_size 0
		.amdhsa_kernarg_size 320
		.amdhsa_user_sgpr_count 13
		.amdhsa_user_sgpr_dispatch_ptr 0
		.amdhsa_user_sgpr_queue_ptr 0
		.amdhsa_user_sgpr_kernarg_segment_ptr 1
		.amdhsa_user_sgpr_dispatch_id 0
		.amdhsa_user_sgpr_private_segment_size 0
		.amdhsa_wavefront_size32 1
		.amdhsa_uses_dynamic_stack 0
		.amdhsa_enable_private_segment 0
		.amdhsa_system_sgpr_workgroup_id_x 1
		.amdhsa_system_sgpr_workgroup_id_y 1
		.amdhsa_system_sgpr_workgroup_id_z 1
		.amdhsa_system_sgpr_workgroup_info 0
		.amdhsa_system_vgpr_workitem_id 0
		.amdhsa_next_free_vgpr 16
		.amdhsa_next_free_sgpr 27
		.amdhsa_reserve_vcc 1
		.amdhsa_float_round_mode_32 0
		.amdhsa_float_round_mode_16_64 0
		.amdhsa_float_denorm_mode_32 3
		.amdhsa_float_denorm_mode_16_64 3
		.amdhsa_dx10_clamp 1
		.amdhsa_ieee_mode 1
		.amdhsa_fp16_overflow 0
		.amdhsa_workgroup_processor_mode 1
		.amdhsa_memory_ordered 1
		.amdhsa_forward_progress 0
		.amdhsa_shared_vgpr_count 0
		.amdhsa_exception_fp_ieee_invalid_op 0
		.amdhsa_exception_fp_denorm_src 0
		.amdhsa_exception_fp_ieee_div_zero 0
		.amdhsa_exception_fp_ieee_overflow 0
		.amdhsa_exception_fp_ieee_underflow 0
		.amdhsa_exception_fp_ieee_inexact 0
		.amdhsa_exception_int_div_zero 0
	.end_amdhsa_kernel
	.section	.text._ZN7rocprim17ROCPRIM_304000_NS6detail35device_block_merge_mergepath_kernelINS1_37wrapped_merge_sort_block_merge_configINS0_14default_configEhN2at4cuda3cub6detail10OpaqueTypeILi8EEEEEPhSC_PSA_SD_jNS1_19radix_merge_compareILb1ELb0EhNS0_19identity_decomposerEEEEEvT0_T1_T2_T3_T4_SL_jT5_PKSL_NS1_7vsmem_tE,"axG",@progbits,_ZN7rocprim17ROCPRIM_304000_NS6detail35device_block_merge_mergepath_kernelINS1_37wrapped_merge_sort_block_merge_configINS0_14default_configEhN2at4cuda3cub6detail10OpaqueTypeILi8EEEEEPhSC_PSA_SD_jNS1_19radix_merge_compareILb1ELb0EhNS0_19identity_decomposerEEEEEvT0_T1_T2_T3_T4_SL_jT5_PKSL_NS1_7vsmem_tE,comdat
.Lfunc_end3:
	.size	_ZN7rocprim17ROCPRIM_304000_NS6detail35device_block_merge_mergepath_kernelINS1_37wrapped_merge_sort_block_merge_configINS0_14default_configEhN2at4cuda3cub6detail10OpaqueTypeILi8EEEEEPhSC_PSA_SD_jNS1_19radix_merge_compareILb1ELb0EhNS0_19identity_decomposerEEEEEvT0_T1_T2_T3_T4_SL_jT5_PKSL_NS1_7vsmem_tE, .Lfunc_end3-_ZN7rocprim17ROCPRIM_304000_NS6detail35device_block_merge_mergepath_kernelINS1_37wrapped_merge_sort_block_merge_configINS0_14default_configEhN2at4cuda3cub6detail10OpaqueTypeILi8EEEEEPhSC_PSA_SD_jNS1_19radix_merge_compareILb1ELb0EhNS0_19identity_decomposerEEEEEvT0_T1_T2_T3_T4_SL_jT5_PKSL_NS1_7vsmem_tE
                                        ; -- End function
	.section	.AMDGPU.csdata,"",@progbits
; Kernel info:
; codeLenInByte = 2376
; NumSgprs: 29
; NumVgprs: 16
; ScratchSize: 0
; MemoryBound: 1
; FloatMode: 240
; IeeeMode: 1
; LDSByteSize: 8208 bytes/workgroup (compile time only)
; SGPRBlocks: 3
; VGPRBlocks: 1
; NumSGPRsForWavesPerEU: 29
; NumVGPRsForWavesPerEU: 16
; Occupancy: 16
; WaveLimiterHint : 1
; COMPUTE_PGM_RSRC2:SCRATCH_EN: 0
; COMPUTE_PGM_RSRC2:USER_SGPR: 13
; COMPUTE_PGM_RSRC2:TRAP_HANDLER: 0
; COMPUTE_PGM_RSRC2:TGID_X_EN: 1
; COMPUTE_PGM_RSRC2:TGID_Y_EN: 1
; COMPUTE_PGM_RSRC2:TGID_Z_EN: 1
; COMPUTE_PGM_RSRC2:TIDIG_COMP_CNT: 0
	.section	.text._ZN7rocprim17ROCPRIM_304000_NS6detail33device_block_merge_oddeven_kernelINS1_37wrapped_merge_sort_block_merge_configINS0_14default_configEhN2at4cuda3cub6detail10OpaqueTypeILi8EEEEEPhSC_PSA_SD_jNS1_19radix_merge_compareILb1ELb0EhNS0_19identity_decomposerEEEEEvT0_T1_T2_T3_T4_SL_T5_,"axG",@progbits,_ZN7rocprim17ROCPRIM_304000_NS6detail33device_block_merge_oddeven_kernelINS1_37wrapped_merge_sort_block_merge_configINS0_14default_configEhN2at4cuda3cub6detail10OpaqueTypeILi8EEEEEPhSC_PSA_SD_jNS1_19radix_merge_compareILb1ELb0EhNS0_19identity_decomposerEEEEEvT0_T1_T2_T3_T4_SL_T5_,comdat
	.protected	_ZN7rocprim17ROCPRIM_304000_NS6detail33device_block_merge_oddeven_kernelINS1_37wrapped_merge_sort_block_merge_configINS0_14default_configEhN2at4cuda3cub6detail10OpaqueTypeILi8EEEEEPhSC_PSA_SD_jNS1_19radix_merge_compareILb1ELb0EhNS0_19identity_decomposerEEEEEvT0_T1_T2_T3_T4_SL_T5_ ; -- Begin function _ZN7rocprim17ROCPRIM_304000_NS6detail33device_block_merge_oddeven_kernelINS1_37wrapped_merge_sort_block_merge_configINS0_14default_configEhN2at4cuda3cub6detail10OpaqueTypeILi8EEEEEPhSC_PSA_SD_jNS1_19radix_merge_compareILb1ELb0EhNS0_19identity_decomposerEEEEEvT0_T1_T2_T3_T4_SL_T5_
	.globl	_ZN7rocprim17ROCPRIM_304000_NS6detail33device_block_merge_oddeven_kernelINS1_37wrapped_merge_sort_block_merge_configINS0_14default_configEhN2at4cuda3cub6detail10OpaqueTypeILi8EEEEEPhSC_PSA_SD_jNS1_19radix_merge_compareILb1ELb0EhNS0_19identity_decomposerEEEEEvT0_T1_T2_T3_T4_SL_T5_
	.p2align	8
	.type	_ZN7rocprim17ROCPRIM_304000_NS6detail33device_block_merge_oddeven_kernelINS1_37wrapped_merge_sort_block_merge_configINS0_14default_configEhN2at4cuda3cub6detail10OpaqueTypeILi8EEEEEPhSC_PSA_SD_jNS1_19radix_merge_compareILb1ELb0EhNS0_19identity_decomposerEEEEEvT0_T1_T2_T3_T4_SL_T5_,@function
_ZN7rocprim17ROCPRIM_304000_NS6detail33device_block_merge_oddeven_kernelINS1_37wrapped_merge_sort_block_merge_configINS0_14default_configEhN2at4cuda3cub6detail10OpaqueTypeILi8EEEEEPhSC_PSA_SD_jNS1_19radix_merge_compareILb1ELb0EhNS0_19identity_decomposerEEEEEvT0_T1_T2_T3_T4_SL_T5_: ; @_ZN7rocprim17ROCPRIM_304000_NS6detail33device_block_merge_oddeven_kernelINS1_37wrapped_merge_sort_block_merge_configINS0_14default_configEhN2at4cuda3cub6detail10OpaqueTypeILi8EEEEEPhSC_PSA_SD_jNS1_19radix_merge_compareILb1ELb0EhNS0_19identity_decomposerEEEEEvT0_T1_T2_T3_T4_SL_T5_
; %bb.0:
	s_load_b64 s[16:17], s[0:1], 0x20
	s_waitcnt lgkmcnt(0)
	s_lshr_b32 s2, s16, 8
	s_delay_alu instid0(SALU_CYCLE_1) | instskip(SKIP_4) | instid1(SALU_CYCLE_1)
	s_cmp_lg_u32 s15, s2
	s_cselect_b32 s4, -1, 0
	s_cmp_eq_u32 s15, s2
	s_cselect_b32 s3, -1, 0
	s_lshl_b32 s12, s15, 8
	s_sub_i32 s2, s16, s12
	s_delay_alu instid0(SALU_CYCLE_1) | instskip(NEXT) | instid1(VALU_DEP_1)
	v_cmp_gt_u32_e64 s2, s2, v0
	s_or_b32 s4, s4, s2
	s_delay_alu instid0(SALU_CYCLE_1)
	s_and_saveexec_b32 s5, s4
	s_cbranch_execz .LBB4_26
; %bb.1:
	s_load_b256 s[4:11], s[0:1], 0x0
	s_mov_b32 s13, 0
	v_lshlrev_b32_e32 v1, 3, v0
	v_add_nc_u32_e32 v5, s12, v0
	s_waitcnt lgkmcnt(0)
	s_add_u32 s0, s4, s12
	s_addc_u32 s1, s5, 0
	s_lshl_b64 s[18:19], s[12:13], 3
	s_delay_alu instid0(SALU_CYCLE_1) | instskip(SKIP_4) | instid1(SALU_CYCLE_1)
	s_add_u32 s8, s8, s18
	s_addc_u32 s9, s9, s19
	global_load_b64 v[1:2], v1, s[8:9]
	global_load_u8 v7, v0, s[0:1]
	s_lshr_b32 s0, s17, 8
	s_sub_i32 s1, 0, s0
	s_delay_alu instid0(SALU_CYCLE_1) | instskip(NEXT) | instid1(SALU_CYCLE_1)
	s_and_b32 s1, s15, s1
	s_and_b32 s0, s1, s0
	s_lshl_b32 s9, s1, 8
	s_sub_i32 s1, 0, s17
	s_cmp_eq_u32 s0, 0
	s_cselect_b32 s0, -1, 0
	s_delay_alu instid0(SALU_CYCLE_1) | instskip(SKIP_1) | instid1(SALU_CYCLE_1)
	s_and_b32 s8, s0, exec_lo
	s_cselect_b32 s1, s17, s1
	s_add_i32 s1, s1, s9
	s_delay_alu instid0(SALU_CYCLE_1)
	s_cmp_lt_u32 s1, s16
	s_cbranch_scc1 .LBB4_6
; %bb.2:
	s_and_b32 vcc_lo, exec_lo, s3
	s_cbranch_vccz .LBB4_7
; %bb.3:
	s_mov_b32 s8, 0
	s_mov_b32 s12, exec_lo
                                        ; implicit-def: $vgpr3_vgpr4
	v_cmpx_gt_u32_e64 s16, v5
	s_cbranch_execz .LBB4_5
; %bb.4:
	v_mov_b32_e32 v6, 0
	s_mov_b32 s13, exec_lo
	s_waitcnt vmcnt(0)
	global_store_b8 v5, v7, s[6:7]
	v_lshlrev_b64 v[3:4], 3, v[5:6]
	s_delay_alu instid0(VALU_DEP_1) | instskip(NEXT) | instid1(VALU_DEP_2)
	v_add_co_u32 v3, vcc_lo, s10, v3
	v_add_co_ci_u32_e32 v4, vcc_lo, s11, v4, vcc_lo
.LBB4_5:
	s_or_b32 exec_lo, exec_lo, s12
	s_delay_alu instid0(SALU_CYCLE_1)
	s_and_b32 vcc_lo, exec_lo, s8
	s_cbranch_vccnz .LBB4_8
	s_branch .LBB4_9
.LBB4_6:
                                        ; implicit-def: $vgpr3_vgpr4
	s_cbranch_execnz .LBB4_10
	s_branch .LBB4_24
.LBB4_7:
                                        ; implicit-def: $vgpr3_vgpr4
	s_cbranch_execz .LBB4_9
.LBB4_8:
	v_mov_b32_e32 v6, 0
	s_or_b32 s13, s13, exec_lo
	s_waitcnt vmcnt(0)
	global_store_b8 v5, v7, s[6:7]
	v_lshlrev_b64 v[3:4], 3, v[5:6]
	s_delay_alu instid0(VALU_DEP_1) | instskip(NEXT) | instid1(VALU_DEP_2)
	v_add_co_u32 v3, vcc_lo, s10, v3
	v_add_co_ci_u32_e32 v4, vcc_lo, s11, v4, vcc_lo
.LBB4_9:
	s_branch .LBB4_24
.LBB4_10:
	s_min_u32 s8, s1, s16
	s_and_b32 vcc_lo, exec_lo, s3
	s_add_i32 s12, s9, s8
	s_min_u32 s9, s9, s8
	v_subrev_nc_u32_e32 v0, s12, v5
	s_add_i32 s12, s8, s17
	s_delay_alu instid0(SALU_CYCLE_1) | instskip(NEXT) | instid1(VALU_DEP_1)
	s_min_u32 s3, s12, s16
	v_add_nc_u32_e32 v0, s9, v0
	s_cbranch_vccz .LBB4_18
; %bb.11:
                                        ; implicit-def: $vgpr3_vgpr4
	s_and_saveexec_b32 s9, s2
	s_cbranch_execz .LBB4_17
; %bb.12:
	v_mov_b32_e32 v3, s8
	s_cmp_ge_u32 s1, s3
	s_cbranch_scc1 .LBB4_16
; %bb.13:
	v_dual_mov_b32 v4, s3 :: v_dual_mov_b32 v3, s8
	s_waitcnt vmcnt(0)
	v_and_b32_e32 v5, 0xff, v7
	s_mov_b32 s2, 0
	.p2align	6
.LBB4_14:                               ; =>This Inner Loop Header: Depth=1
	s_delay_alu instid0(VALU_DEP_2) | instskip(NEXT) | instid1(VALU_DEP_1)
	v_add_nc_u32_e32 v6, v3, v4
	v_lshrrev_b32_e32 v6, 1, v6
	global_load_u8 v8, v6, s[4:5]
	s_waitcnt vmcnt(0)
	v_cmp_gt_u16_e32 vcc_lo, v8, v5
	v_cndmask_b32_e64 v9, 0, 1, vcc_lo
	v_cmp_le_u16_e32 vcc_lo, v5, v8
	v_cndmask_b32_e64 v8, 0, 1, vcc_lo
	s_delay_alu instid0(VALU_DEP_1) | instskip(SKIP_1) | instid1(VALU_DEP_2)
	v_cndmask_b32_e64 v8, v8, v9, s0
	v_add_nc_u32_e32 v9, 1, v6
	v_and_b32_e32 v8, 1, v8
	s_delay_alu instid0(VALU_DEP_1) | instskip(NEXT) | instid1(VALU_DEP_3)
	v_cmp_eq_u32_e32 vcc_lo, 1, v8
	v_dual_cndmask_b32 v4, v6, v4 :: v_dual_cndmask_b32 v3, v3, v9
	s_delay_alu instid0(VALU_DEP_1) | instskip(SKIP_1) | instid1(SALU_CYCLE_1)
	v_cmp_ge_u32_e32 vcc_lo, v3, v4
	s_or_b32 s2, vcc_lo, s2
	s_and_not1_b32 exec_lo, exec_lo, s2
	s_cbranch_execnz .LBB4_14
; %bb.15:
	s_or_b32 exec_lo, exec_lo, s2
.LBB4_16:
	s_delay_alu instid0(VALU_DEP_1) | instskip(SKIP_4) | instid1(VALU_DEP_1)
	v_dual_mov_b32 v6, 0 :: v_dual_add_nc_u32 v5, v3, v0
	s_or_b32 s13, s13, exec_lo
	s_waitcnt vmcnt(0)
	global_store_b8 v5, v7, s[6:7]
	v_lshlrev_b64 v[3:4], 3, v[5:6]
	v_add_co_u32 v3, vcc_lo, s10, v3
	s_delay_alu instid0(VALU_DEP_2)
	v_add_co_ci_u32_e32 v4, vcc_lo, s11, v4, vcc_lo
.LBB4_17:
	s_or_b32 exec_lo, exec_lo, s9
	s_branch .LBB4_24
.LBB4_18:
                                        ; implicit-def: $vgpr3_vgpr4
	s_cbranch_execz .LBB4_24
; %bb.19:
	v_mov_b32_e32 v3, s8
	s_cmp_ge_u32 s1, s3
	s_cbranch_scc1 .LBB4_23
; %bb.20:
	v_dual_mov_b32 v4, s3 :: v_dual_mov_b32 v3, s8
	s_waitcnt vmcnt(0)
	v_and_b32_e32 v5, 0xff, v7
	s_mov_b32 s1, 0
	.p2align	6
.LBB4_21:                               ; =>This Inner Loop Header: Depth=1
	s_delay_alu instid0(VALU_DEP_2) | instskip(NEXT) | instid1(VALU_DEP_1)
	v_add_nc_u32_e32 v6, v3, v4
	v_lshrrev_b32_e32 v6, 1, v6
	global_load_u8 v8, v6, s[4:5]
	s_waitcnt vmcnt(0)
	v_cmp_gt_u16_e32 vcc_lo, v8, v5
	v_cndmask_b32_e64 v9, 0, 1, vcc_lo
	v_cmp_le_u16_e32 vcc_lo, v5, v8
	v_cndmask_b32_e64 v8, 0, 1, vcc_lo
	s_delay_alu instid0(VALU_DEP_1) | instskip(SKIP_1) | instid1(VALU_DEP_2)
	v_cndmask_b32_e64 v8, v8, v9, s0
	v_add_nc_u32_e32 v9, 1, v6
	v_and_b32_e32 v8, 1, v8
	s_delay_alu instid0(VALU_DEP_1) | instskip(NEXT) | instid1(VALU_DEP_3)
	v_cmp_eq_u32_e32 vcc_lo, 1, v8
	v_dual_cndmask_b32 v4, v6, v4 :: v_dual_cndmask_b32 v3, v3, v9
	s_delay_alu instid0(VALU_DEP_1) | instskip(SKIP_1) | instid1(SALU_CYCLE_1)
	v_cmp_ge_u32_e32 vcc_lo, v3, v4
	s_or_b32 s1, vcc_lo, s1
	s_and_not1_b32 exec_lo, exec_lo, s1
	s_cbranch_execnz .LBB4_21
; %bb.22:
	s_or_b32 exec_lo, exec_lo, s1
.LBB4_23:
	s_delay_alu instid0(VALU_DEP_1) | instskip(SKIP_4) | instid1(VALU_DEP_1)
	v_dual_mov_b32 v6, 0 :: v_dual_add_nc_u32 v5, v3, v0
	s_mov_b32 s13, -1
	s_waitcnt vmcnt(0)
	global_store_b8 v5, v7, s[6:7]
	v_lshlrev_b64 v[3:4], 3, v[5:6]
	v_add_co_u32 v3, vcc_lo, s10, v3
	s_delay_alu instid0(VALU_DEP_2)
	v_add_co_ci_u32_e32 v4, vcc_lo, s11, v4, vcc_lo
.LBB4_24:
	s_and_b32 exec_lo, exec_lo, s13
	s_cbranch_execz .LBB4_26
; %bb.25:
	s_waitcnt vmcnt(1)
	global_store_b64 v[3:4], v[1:2], off
.LBB4_26:
	s_nop 0
	s_sendmsg sendmsg(MSG_DEALLOC_VGPRS)
	s_endpgm
	.section	.rodata,"a",@progbits
	.p2align	6, 0x0
	.amdhsa_kernel _ZN7rocprim17ROCPRIM_304000_NS6detail33device_block_merge_oddeven_kernelINS1_37wrapped_merge_sort_block_merge_configINS0_14default_configEhN2at4cuda3cub6detail10OpaqueTypeILi8EEEEEPhSC_PSA_SD_jNS1_19radix_merge_compareILb1ELb0EhNS0_19identity_decomposerEEEEEvT0_T1_T2_T3_T4_SL_T5_
		.amdhsa_group_segment_fixed_size 0
		.amdhsa_private_segment_fixed_size 0
		.amdhsa_kernarg_size 44
		.amdhsa_user_sgpr_count 15
		.amdhsa_user_sgpr_dispatch_ptr 0
		.amdhsa_user_sgpr_queue_ptr 0
		.amdhsa_user_sgpr_kernarg_segment_ptr 1
		.amdhsa_user_sgpr_dispatch_id 0
		.amdhsa_user_sgpr_private_segment_size 0
		.amdhsa_wavefront_size32 1
		.amdhsa_uses_dynamic_stack 0
		.amdhsa_enable_private_segment 0
		.amdhsa_system_sgpr_workgroup_id_x 1
		.amdhsa_system_sgpr_workgroup_id_y 0
		.amdhsa_system_sgpr_workgroup_id_z 0
		.amdhsa_system_sgpr_workgroup_info 0
		.amdhsa_system_vgpr_workitem_id 0
		.amdhsa_next_free_vgpr 10
		.amdhsa_next_free_sgpr 20
		.amdhsa_reserve_vcc 1
		.amdhsa_float_round_mode_32 0
		.amdhsa_float_round_mode_16_64 0
		.amdhsa_float_denorm_mode_32 3
		.amdhsa_float_denorm_mode_16_64 3
		.amdhsa_dx10_clamp 1
		.amdhsa_ieee_mode 1
		.amdhsa_fp16_overflow 0
		.amdhsa_workgroup_processor_mode 1
		.amdhsa_memory_ordered 1
		.amdhsa_forward_progress 0
		.amdhsa_shared_vgpr_count 0
		.amdhsa_exception_fp_ieee_invalid_op 0
		.amdhsa_exception_fp_denorm_src 0
		.amdhsa_exception_fp_ieee_div_zero 0
		.amdhsa_exception_fp_ieee_overflow 0
		.amdhsa_exception_fp_ieee_underflow 0
		.amdhsa_exception_fp_ieee_inexact 0
		.amdhsa_exception_int_div_zero 0
	.end_amdhsa_kernel
	.section	.text._ZN7rocprim17ROCPRIM_304000_NS6detail33device_block_merge_oddeven_kernelINS1_37wrapped_merge_sort_block_merge_configINS0_14default_configEhN2at4cuda3cub6detail10OpaqueTypeILi8EEEEEPhSC_PSA_SD_jNS1_19radix_merge_compareILb1ELb0EhNS0_19identity_decomposerEEEEEvT0_T1_T2_T3_T4_SL_T5_,"axG",@progbits,_ZN7rocprim17ROCPRIM_304000_NS6detail33device_block_merge_oddeven_kernelINS1_37wrapped_merge_sort_block_merge_configINS0_14default_configEhN2at4cuda3cub6detail10OpaqueTypeILi8EEEEEPhSC_PSA_SD_jNS1_19radix_merge_compareILb1ELb0EhNS0_19identity_decomposerEEEEEvT0_T1_T2_T3_T4_SL_T5_,comdat
.Lfunc_end4:
	.size	_ZN7rocprim17ROCPRIM_304000_NS6detail33device_block_merge_oddeven_kernelINS1_37wrapped_merge_sort_block_merge_configINS0_14default_configEhN2at4cuda3cub6detail10OpaqueTypeILi8EEEEEPhSC_PSA_SD_jNS1_19radix_merge_compareILb1ELb0EhNS0_19identity_decomposerEEEEEvT0_T1_T2_T3_T4_SL_T5_, .Lfunc_end4-_ZN7rocprim17ROCPRIM_304000_NS6detail33device_block_merge_oddeven_kernelINS1_37wrapped_merge_sort_block_merge_configINS0_14default_configEhN2at4cuda3cub6detail10OpaqueTypeILi8EEEEEPhSC_PSA_SD_jNS1_19radix_merge_compareILb1ELb0EhNS0_19identity_decomposerEEEEEvT0_T1_T2_T3_T4_SL_T5_
                                        ; -- End function
	.section	.AMDGPU.csdata,"",@progbits
; Kernel info:
; codeLenInByte = 836
; NumSgprs: 22
; NumVgprs: 10
; ScratchSize: 0
; MemoryBound: 0
; FloatMode: 240
; IeeeMode: 1
; LDSByteSize: 0 bytes/workgroup (compile time only)
; SGPRBlocks: 2
; VGPRBlocks: 1
; NumSGPRsForWavesPerEU: 22
; NumVGPRsForWavesPerEU: 10
; Occupancy: 16
; WaveLimiterHint : 0
; COMPUTE_PGM_RSRC2:SCRATCH_EN: 0
; COMPUTE_PGM_RSRC2:USER_SGPR: 15
; COMPUTE_PGM_RSRC2:TRAP_HANDLER: 0
; COMPUTE_PGM_RSRC2:TGID_X_EN: 1
; COMPUTE_PGM_RSRC2:TGID_Y_EN: 0
; COMPUTE_PGM_RSRC2:TGID_Z_EN: 0
; COMPUTE_PGM_RSRC2:TIDIG_COMP_CNT: 0
	.section	.text._ZN7rocprim17ROCPRIM_304000_NS6detail16transform_kernelINS1_24wrapped_transform_configINS0_14default_configEhEEhPhS6_NS0_8identityIhEEEEvT1_mT2_T3_,"axG",@progbits,_ZN7rocprim17ROCPRIM_304000_NS6detail16transform_kernelINS1_24wrapped_transform_configINS0_14default_configEhEEhPhS6_NS0_8identityIhEEEEvT1_mT2_T3_,comdat
	.protected	_ZN7rocprim17ROCPRIM_304000_NS6detail16transform_kernelINS1_24wrapped_transform_configINS0_14default_configEhEEhPhS6_NS0_8identityIhEEEEvT1_mT2_T3_ ; -- Begin function _ZN7rocprim17ROCPRIM_304000_NS6detail16transform_kernelINS1_24wrapped_transform_configINS0_14default_configEhEEhPhS6_NS0_8identityIhEEEEvT1_mT2_T3_
	.globl	_ZN7rocprim17ROCPRIM_304000_NS6detail16transform_kernelINS1_24wrapped_transform_configINS0_14default_configEhEEhPhS6_NS0_8identityIhEEEEvT1_mT2_T3_
	.p2align	8
	.type	_ZN7rocprim17ROCPRIM_304000_NS6detail16transform_kernelINS1_24wrapped_transform_configINS0_14default_configEhEEhPhS6_NS0_8identityIhEEEEvT1_mT2_T3_,@function
_ZN7rocprim17ROCPRIM_304000_NS6detail16transform_kernelINS1_24wrapped_transform_configINS0_14default_configEhEEhPhS6_NS0_8identityIhEEEEvT1_mT2_T3_: ; @_ZN7rocprim17ROCPRIM_304000_NS6detail16transform_kernelINS1_24wrapped_transform_configINS0_14default_configEhEEhPhS6_NS0_8identityIhEEEEvT1_mT2_T3_
; %bb.0:
	s_clause 0x2
	s_load_b32 s2, s[0:1], 0x20
	s_load_b128 s[4:7], s[0:1], 0x0
	s_load_b64 s[8:9], s[0:1], 0x10
	s_lshl_b32 s3, s15, 12
	s_waitcnt lgkmcnt(0)
	s_add_i32 s2, s2, -1
	s_add_u32 s0, s4, s3
	s_addc_u32 s1, s5, 0
	v_add_co_u32 v1, s0, s0, v0
	s_delay_alu instid0(VALU_DEP_1)
	v_add_co_ci_u32_e64 v2, null, s1, 0, s0
	s_mov_b32 s4, 0
	s_cmp_lg_u32 s15, s2
	s_mov_b32 s0, -1
	s_cbranch_scc0 .LBB5_2
; %bb.1:
	s_clause 0x3
	global_load_u8 v6, v[1:2], off
	global_load_u8 v7, v[1:2], off offset:1024
	global_load_u8 v8, v[1:2], off offset:2048
	;; [unrolled: 1-line block ×3, first 2 shown]
	s_add_u32 s0, s8, s3
	s_addc_u32 s1, s9, 0
	v_add_co_u32 v4, s0, s0, v0
	s_delay_alu instid0(VALU_DEP_1)
	v_add_co_ci_u32_e64 v5, null, s1, 0, s0
	s_mov_b32 s4, -1
	s_waitcnt vmcnt(3)
	global_store_b8 v[4:5], v6, off
	s_waitcnt vmcnt(2)
	global_store_b8 v[4:5], v7, off offset:1024
	s_waitcnt vmcnt(1)
	global_store_b8 v[4:5], v8, off offset:2048
	s_cbranch_execz .LBB5_3
	s_branch .LBB5_17
.LBB5_2:
                                        ; implicit-def: $vgpr3
	s_and_not1_b32 vcc_lo, exec_lo, s0
	s_cbranch_vccnz .LBB5_17
.LBB5_3:
	s_sub_i32 s2, s6, s3
                                        ; implicit-def: $vgpr4
	s_delay_alu instid0(SALU_CYCLE_1)
	v_cmp_gt_u32_e32 vcc_lo, s2, v0
	s_and_saveexec_b32 s0, vcc_lo
	s_cbranch_execz .LBB5_5
; %bb.4:
	global_load_u8 v4, v[1:2], off
.LBB5_5:
	s_or_b32 exec_lo, exec_lo, s0
	s_waitcnt vmcnt(0)
	v_or_b32_e32 v3, 0x400, v0
                                        ; implicit-def: $vgpr6
	s_delay_alu instid0(VALU_DEP_1) | instskip(NEXT) | instid1(VALU_DEP_1)
	v_cmp_gt_u32_e64 s0, s2, v3
	s_and_saveexec_b32 s1, s0
	s_cbranch_execz .LBB5_7
; %bb.6:
	global_load_u8 v6, v[1:2], off offset:1024
.LBB5_7:
	s_or_b32 exec_lo, exec_lo, s1
	v_or_b32_e32 v3, 0x800, v0
	s_delay_alu instid0(VALU_DEP_1) | instskip(NEXT) | instid1(VALU_DEP_1)
	v_cmp_gt_u32_e64 s1, s2, v3
                                        ; implicit-def: $vgpr3
	s_and_saveexec_b32 s5, s1
	s_cbranch_execz .LBB5_9
; %bb.8:
	global_load_u8 v3, v[1:2], off offset:2048
.LBB5_9:
	s_or_b32 exec_lo, exec_lo, s5
	v_or_b32_e32 v5, 0xc00, v0
	s_delay_alu instid0(VALU_DEP_1) | instskip(NEXT) | instid1(VALU_DEP_1)
	v_cmp_gt_u32_e64 s2, s2, v5
                                        ; implicit-def: $vgpr5
	s_and_saveexec_b32 s5, s2
	s_cbranch_execz .LBB5_11
; %bb.10:
	global_load_u8 v5, v[1:2], off offset:3072
.LBB5_11:
	s_or_b32 exec_lo, exec_lo, s5
	v_and_b32_e32 v1, 0xff, v4
	s_waitcnt vmcnt(0)
	v_lshlrev_b16 v2, 8, v6
	v_and_b32_e32 v4, 0xff, v3
	v_lshlrev_b16 v6, 8, v5
	s_add_u32 s5, s8, s3
	s_addc_u32 s6, s9, 0
	v_or_b32_e32 v1, v1, v2
	s_delay_alu instid0(VALU_DEP_2) | instskip(NEXT) | instid1(VALU_DEP_2)
	v_or_b32_e32 v2, v4, v6
	v_and_b32_e32 v1, 0xffff, v1
	s_delay_alu instid0(VALU_DEP_2) | instskip(NEXT) | instid1(VALU_DEP_1)
	v_lshlrev_b32_e32 v2, 16, v2
	v_or_b32_e32 v4, v1, v2
	v_add_co_u32 v1, s5, s5, v0
	s_delay_alu instid0(VALU_DEP_1)
	v_add_co_ci_u32_e64 v2, null, s6, 0, s5
	s_and_saveexec_b32 s5, vcc_lo
	s_cbranch_execnz .LBB5_20
; %bb.12:
	s_or_b32 exec_lo, exec_lo, s5
	s_and_saveexec_b32 s5, s0
	s_cbranch_execnz .LBB5_21
.LBB5_13:
	s_or_b32 exec_lo, exec_lo, s5
	v_perm_b32 v4, v4, v4, 0x7060104
	s_and_saveexec_b32 s0, s1
	s_cbranch_execnz .LBB5_22
.LBB5_14:
	s_or_b32 exec_lo, exec_lo, s0
                                        ; implicit-def: $vgpr3
	s_and_saveexec_b32 s0, s2
.LBB5_15:
	v_lshlrev_b32_e32 v1, 24, v5
	s_or_b32 s4, s4, exec_lo
	s_delay_alu instid0(VALU_DEP_1) | instskip(NEXT) | instid1(VALU_DEP_1)
	v_cndmask_b32_e64 v1, v4, v1, s2
	v_lshrrev_b32_e32 v3, 24, v1
.LBB5_16:
	s_or_b32 exec_lo, exec_lo, s0
.LBB5_17:
	s_and_saveexec_b32 s0, s4
	s_cbranch_execnz .LBB5_19
; %bb.18:
	s_nop 0
	s_sendmsg sendmsg(MSG_DEALLOC_VGPRS)
	s_endpgm
.LBB5_19:
	s_add_u32 s0, s8, s3
	s_addc_u32 s1, s9, 0
	v_add_co_u32 v0, s0, s0, v0
	s_delay_alu instid0(VALU_DEP_1)
	v_add_co_ci_u32_e64 v1, null, s1, 0, s0
	s_waitcnt vmcnt(0)
	global_store_b8 v[0:1], v3, off offset:3072
	s_nop 0
	s_sendmsg sendmsg(MSG_DEALLOC_VGPRS)
	s_endpgm
.LBB5_20:
	global_store_b8 v[1:2], v4, off
	s_or_b32 exec_lo, exec_lo, s5
	s_and_saveexec_b32 s5, s0
	s_cbranch_execz .LBB5_13
.LBB5_21:
	v_lshrrev_b32_e32 v6, 8, v4
	global_store_b8 v[1:2], v6, off offset:1024
	s_or_b32 exec_lo, exec_lo, s5
	v_perm_b32 v4, v4, v4, 0x7060104
	s_and_saveexec_b32 s0, s1
	s_cbranch_execz .LBB5_14
.LBB5_22:
	v_lshlrev_b32_e32 v3, 16, v3
	s_delay_alu instid0(VALU_DEP_1)
	v_cndmask_b32_e64 v3, v4, v3, s1
	global_store_d16_hi_b8 v[1:2], v3, off offset:2048
	s_or_b32 exec_lo, exec_lo, s0
                                        ; implicit-def: $vgpr3
	s_and_saveexec_b32 s0, s2
	s_cbranch_execnz .LBB5_15
	s_branch .LBB5_16
	.section	.rodata,"a",@progbits
	.p2align	6, 0x0
	.amdhsa_kernel _ZN7rocprim17ROCPRIM_304000_NS6detail16transform_kernelINS1_24wrapped_transform_configINS0_14default_configEhEEhPhS6_NS0_8identityIhEEEEvT1_mT2_T3_
		.amdhsa_group_segment_fixed_size 0
		.amdhsa_private_segment_fixed_size 0
		.amdhsa_kernarg_size 288
		.amdhsa_user_sgpr_count 15
		.amdhsa_user_sgpr_dispatch_ptr 0
		.amdhsa_user_sgpr_queue_ptr 0
		.amdhsa_user_sgpr_kernarg_segment_ptr 1
		.amdhsa_user_sgpr_dispatch_id 0
		.amdhsa_user_sgpr_private_segment_size 0
		.amdhsa_wavefront_size32 1
		.amdhsa_uses_dynamic_stack 0
		.amdhsa_enable_private_segment 0
		.amdhsa_system_sgpr_workgroup_id_x 1
		.amdhsa_system_sgpr_workgroup_id_y 0
		.amdhsa_system_sgpr_workgroup_id_z 0
		.amdhsa_system_sgpr_workgroup_info 0
		.amdhsa_system_vgpr_workitem_id 0
		.amdhsa_next_free_vgpr 9
		.amdhsa_next_free_sgpr 16
		.amdhsa_reserve_vcc 1
		.amdhsa_float_round_mode_32 0
		.amdhsa_float_round_mode_16_64 0
		.amdhsa_float_denorm_mode_32 3
		.amdhsa_float_denorm_mode_16_64 3
		.amdhsa_dx10_clamp 1
		.amdhsa_ieee_mode 1
		.amdhsa_fp16_overflow 0
		.amdhsa_workgroup_processor_mode 1
		.amdhsa_memory_ordered 1
		.amdhsa_forward_progress 0
		.amdhsa_shared_vgpr_count 0
		.amdhsa_exception_fp_ieee_invalid_op 0
		.amdhsa_exception_fp_denorm_src 0
		.amdhsa_exception_fp_ieee_div_zero 0
		.amdhsa_exception_fp_ieee_overflow 0
		.amdhsa_exception_fp_ieee_underflow 0
		.amdhsa_exception_fp_ieee_inexact 0
		.amdhsa_exception_int_div_zero 0
	.end_amdhsa_kernel
	.section	.text._ZN7rocprim17ROCPRIM_304000_NS6detail16transform_kernelINS1_24wrapped_transform_configINS0_14default_configEhEEhPhS6_NS0_8identityIhEEEEvT1_mT2_T3_,"axG",@progbits,_ZN7rocprim17ROCPRIM_304000_NS6detail16transform_kernelINS1_24wrapped_transform_configINS0_14default_configEhEEhPhS6_NS0_8identityIhEEEEvT1_mT2_T3_,comdat
.Lfunc_end5:
	.size	_ZN7rocprim17ROCPRIM_304000_NS6detail16transform_kernelINS1_24wrapped_transform_configINS0_14default_configEhEEhPhS6_NS0_8identityIhEEEEvT1_mT2_T3_, .Lfunc_end5-_ZN7rocprim17ROCPRIM_304000_NS6detail16transform_kernelINS1_24wrapped_transform_configINS0_14default_configEhEEhPhS6_NS0_8identityIhEEEEvT1_mT2_T3_
                                        ; -- End function
	.section	.AMDGPU.csdata,"",@progbits
; Kernel info:
; codeLenInByte = 704
; NumSgprs: 18
; NumVgprs: 9
; ScratchSize: 0
; MemoryBound: 0
; FloatMode: 240
; IeeeMode: 1
; LDSByteSize: 0 bytes/workgroup (compile time only)
; SGPRBlocks: 2
; VGPRBlocks: 1
; NumSGPRsForWavesPerEU: 18
; NumVGPRsForWavesPerEU: 9
; Occupancy: 16
; WaveLimiterHint : 1
; COMPUTE_PGM_RSRC2:SCRATCH_EN: 0
; COMPUTE_PGM_RSRC2:USER_SGPR: 15
; COMPUTE_PGM_RSRC2:TRAP_HANDLER: 0
; COMPUTE_PGM_RSRC2:TGID_X_EN: 1
; COMPUTE_PGM_RSRC2:TGID_Y_EN: 0
; COMPUTE_PGM_RSRC2:TGID_Z_EN: 0
; COMPUTE_PGM_RSRC2:TIDIG_COMP_CNT: 0
	.section	.text._ZN7rocprim17ROCPRIM_304000_NS6detail16transform_kernelINS1_24wrapped_transform_configINS0_14default_configEN2at4cuda3cub6detail10OpaqueTypeILi8EEEEESA_PSA_SC_NS0_8identityISA_EEEEvT1_mT2_T3_,"axG",@progbits,_ZN7rocprim17ROCPRIM_304000_NS6detail16transform_kernelINS1_24wrapped_transform_configINS0_14default_configEN2at4cuda3cub6detail10OpaqueTypeILi8EEEEESA_PSA_SC_NS0_8identityISA_EEEEvT1_mT2_T3_,comdat
	.protected	_ZN7rocprim17ROCPRIM_304000_NS6detail16transform_kernelINS1_24wrapped_transform_configINS0_14default_configEN2at4cuda3cub6detail10OpaqueTypeILi8EEEEESA_PSA_SC_NS0_8identityISA_EEEEvT1_mT2_T3_ ; -- Begin function _ZN7rocprim17ROCPRIM_304000_NS6detail16transform_kernelINS1_24wrapped_transform_configINS0_14default_configEN2at4cuda3cub6detail10OpaqueTypeILi8EEEEESA_PSA_SC_NS0_8identityISA_EEEEvT1_mT2_T3_
	.globl	_ZN7rocprim17ROCPRIM_304000_NS6detail16transform_kernelINS1_24wrapped_transform_configINS0_14default_configEN2at4cuda3cub6detail10OpaqueTypeILi8EEEEESA_PSA_SC_NS0_8identityISA_EEEEvT1_mT2_T3_
	.p2align	8
	.type	_ZN7rocprim17ROCPRIM_304000_NS6detail16transform_kernelINS1_24wrapped_transform_configINS0_14default_configEN2at4cuda3cub6detail10OpaqueTypeILi8EEEEESA_PSA_SC_NS0_8identityISA_EEEEvT1_mT2_T3_,@function
_ZN7rocprim17ROCPRIM_304000_NS6detail16transform_kernelINS1_24wrapped_transform_configINS0_14default_configEN2at4cuda3cub6detail10OpaqueTypeILi8EEEEESA_PSA_SC_NS0_8identityISA_EEEEvT1_mT2_T3_: ; @_ZN7rocprim17ROCPRIM_304000_NS6detail16transform_kernelINS1_24wrapped_transform_configINS0_14default_configEN2at4cuda3cub6detail10OpaqueTypeILi8EEEEESA_PSA_SC_NS0_8identityISA_EEEEvT1_mT2_T3_
; %bb.0:
	s_clause 0x2
	s_load_b32 s3, s[0:1], 0x20
	s_load_b128 s[4:7], s[0:1], 0x0
	s_load_b64 s[0:1], s[0:1], 0x10
	v_lshlrev_b32_e32 v2, 3, v0
	s_lshl_b32 s2, s15, 9
	s_waitcnt lgkmcnt(0)
	s_add_i32 s7, s3, -1
	s_mov_b32 s3, 0
	s_cmp_lg_u32 s15, s7
	s_mov_b32 s7, -1
	s_cbranch_scc0 .LBB6_2
; %bb.1:
	s_lshl_b64 s[8:9], s[2:3], 3
	s_mov_b32 s7, s3
	s_add_u32 s10, s4, s8
	s_addc_u32 s11, s5, s9
	s_add_u32 s8, s0, s8
	global_load_b64 v[3:4], v2, s[10:11]
	s_addc_u32 s9, s1, s9
	s_waitcnt vmcnt(0)
	global_store_b64 v2, v[3:4], s[8:9]
.LBB6_2:
	s_and_not1_b32 vcc_lo, exec_lo, s7
	s_cbranch_vccnz .LBB6_7
; %bb.3:
	s_sub_i32 s6, s6, s2
	s_delay_alu instid0(SALU_CYCLE_1)
	v_cmp_gt_u32_e32 vcc_lo, s6, v0
                                        ; implicit-def: $vgpr0_vgpr1
	s_and_saveexec_b32 s6, vcc_lo
	s_cbranch_execz .LBB6_5
; %bb.4:
	s_lshl_b64 s[8:9], s[2:3], 3
	s_delay_alu instid0(SALU_CYCLE_1)
	s_add_u32 s4, s4, s8
	s_addc_u32 s5, s5, s9
	global_load_b64 v[0:1], v2, s[4:5]
.LBB6_5:
	s_or_b32 exec_lo, exec_lo, s6
	s_and_saveexec_b32 s4, vcc_lo
	s_cbranch_execz .LBB6_7
; %bb.6:
	s_lshl_b64 s[2:3], s[2:3], 3
	s_delay_alu instid0(SALU_CYCLE_1)
	s_add_u32 s0, s0, s2
	s_addc_u32 s1, s1, s3
	s_waitcnt vmcnt(0)
	global_store_b64 v2, v[0:1], s[0:1]
.LBB6_7:
	s_nop 0
	s_sendmsg sendmsg(MSG_DEALLOC_VGPRS)
	s_endpgm
	.section	.rodata,"a",@progbits
	.p2align	6, 0x0
	.amdhsa_kernel _ZN7rocprim17ROCPRIM_304000_NS6detail16transform_kernelINS1_24wrapped_transform_configINS0_14default_configEN2at4cuda3cub6detail10OpaqueTypeILi8EEEEESA_PSA_SC_NS0_8identityISA_EEEEvT1_mT2_T3_
		.amdhsa_group_segment_fixed_size 0
		.amdhsa_private_segment_fixed_size 0
		.amdhsa_kernarg_size 288
		.amdhsa_user_sgpr_count 15
		.amdhsa_user_sgpr_dispatch_ptr 0
		.amdhsa_user_sgpr_queue_ptr 0
		.amdhsa_user_sgpr_kernarg_segment_ptr 1
		.amdhsa_user_sgpr_dispatch_id 0
		.amdhsa_user_sgpr_private_segment_size 0
		.amdhsa_wavefront_size32 1
		.amdhsa_uses_dynamic_stack 0
		.amdhsa_enable_private_segment 0
		.amdhsa_system_sgpr_workgroup_id_x 1
		.amdhsa_system_sgpr_workgroup_id_y 0
		.amdhsa_system_sgpr_workgroup_id_z 0
		.amdhsa_system_sgpr_workgroup_info 0
		.amdhsa_system_vgpr_workitem_id 0
		.amdhsa_next_free_vgpr 5
		.amdhsa_next_free_sgpr 16
		.amdhsa_reserve_vcc 1
		.amdhsa_float_round_mode_32 0
		.amdhsa_float_round_mode_16_64 0
		.amdhsa_float_denorm_mode_32 3
		.amdhsa_float_denorm_mode_16_64 3
		.amdhsa_dx10_clamp 1
		.amdhsa_ieee_mode 1
		.amdhsa_fp16_overflow 0
		.amdhsa_workgroup_processor_mode 1
		.amdhsa_memory_ordered 1
		.amdhsa_forward_progress 0
		.amdhsa_shared_vgpr_count 0
		.amdhsa_exception_fp_ieee_invalid_op 0
		.amdhsa_exception_fp_denorm_src 0
		.amdhsa_exception_fp_ieee_div_zero 0
		.amdhsa_exception_fp_ieee_overflow 0
		.amdhsa_exception_fp_ieee_underflow 0
		.amdhsa_exception_fp_ieee_inexact 0
		.amdhsa_exception_int_div_zero 0
	.end_amdhsa_kernel
	.section	.text._ZN7rocprim17ROCPRIM_304000_NS6detail16transform_kernelINS1_24wrapped_transform_configINS0_14default_configEN2at4cuda3cub6detail10OpaqueTypeILi8EEEEESA_PSA_SC_NS0_8identityISA_EEEEvT1_mT2_T3_,"axG",@progbits,_ZN7rocprim17ROCPRIM_304000_NS6detail16transform_kernelINS1_24wrapped_transform_configINS0_14default_configEN2at4cuda3cub6detail10OpaqueTypeILi8EEEEESA_PSA_SC_NS0_8identityISA_EEEEvT1_mT2_T3_,comdat
.Lfunc_end6:
	.size	_ZN7rocprim17ROCPRIM_304000_NS6detail16transform_kernelINS1_24wrapped_transform_configINS0_14default_configEN2at4cuda3cub6detail10OpaqueTypeILi8EEEEESA_PSA_SC_NS0_8identityISA_EEEEvT1_mT2_T3_, .Lfunc_end6-_ZN7rocprim17ROCPRIM_304000_NS6detail16transform_kernelINS1_24wrapped_transform_configINS0_14default_configEN2at4cuda3cub6detail10OpaqueTypeILi8EEEEESA_PSA_SC_NS0_8identityISA_EEEEvT1_mT2_T3_
                                        ; -- End function
	.section	.AMDGPU.csdata,"",@progbits
; Kernel info:
; codeLenInByte = 208
; NumSgprs: 18
; NumVgprs: 5
; ScratchSize: 0
; MemoryBound: 0
; FloatMode: 240
; IeeeMode: 1
; LDSByteSize: 0 bytes/workgroup (compile time only)
; SGPRBlocks: 2
; VGPRBlocks: 0
; NumSGPRsForWavesPerEU: 18
; NumVGPRsForWavesPerEU: 5
; Occupancy: 16
; WaveLimiterHint : 0
; COMPUTE_PGM_RSRC2:SCRATCH_EN: 0
; COMPUTE_PGM_RSRC2:USER_SGPR: 15
; COMPUTE_PGM_RSRC2:TRAP_HANDLER: 0
; COMPUTE_PGM_RSRC2:TGID_X_EN: 1
; COMPUTE_PGM_RSRC2:TGID_Y_EN: 0
; COMPUTE_PGM_RSRC2:TGID_Z_EN: 0
; COMPUTE_PGM_RSRC2:TIDIG_COMP_CNT: 0
	.section	.text._ZN7rocprim17ROCPRIM_304000_NS6detail45device_block_merge_mergepath_partition_kernelINS1_37wrapped_merge_sort_block_merge_configINS0_14default_configEhN2at4cuda3cub6detail10OpaqueTypeILi8EEEEEPhjNS1_19radix_merge_compareILb1ELb1EhNS0_19identity_decomposerEEEEEvT0_T1_jPSH_T2_SH_,"axG",@progbits,_ZN7rocprim17ROCPRIM_304000_NS6detail45device_block_merge_mergepath_partition_kernelINS1_37wrapped_merge_sort_block_merge_configINS0_14default_configEhN2at4cuda3cub6detail10OpaqueTypeILi8EEEEEPhjNS1_19radix_merge_compareILb1ELb1EhNS0_19identity_decomposerEEEEEvT0_T1_jPSH_T2_SH_,comdat
	.protected	_ZN7rocprim17ROCPRIM_304000_NS6detail45device_block_merge_mergepath_partition_kernelINS1_37wrapped_merge_sort_block_merge_configINS0_14default_configEhN2at4cuda3cub6detail10OpaqueTypeILi8EEEEEPhjNS1_19radix_merge_compareILb1ELb1EhNS0_19identity_decomposerEEEEEvT0_T1_jPSH_T2_SH_ ; -- Begin function _ZN7rocprim17ROCPRIM_304000_NS6detail45device_block_merge_mergepath_partition_kernelINS1_37wrapped_merge_sort_block_merge_configINS0_14default_configEhN2at4cuda3cub6detail10OpaqueTypeILi8EEEEEPhjNS1_19radix_merge_compareILb1ELb1EhNS0_19identity_decomposerEEEEEvT0_T1_jPSH_T2_SH_
	.globl	_ZN7rocprim17ROCPRIM_304000_NS6detail45device_block_merge_mergepath_partition_kernelINS1_37wrapped_merge_sort_block_merge_configINS0_14default_configEhN2at4cuda3cub6detail10OpaqueTypeILi8EEEEEPhjNS1_19radix_merge_compareILb1ELb1EhNS0_19identity_decomposerEEEEEvT0_T1_jPSH_T2_SH_
	.p2align	8
	.type	_ZN7rocprim17ROCPRIM_304000_NS6detail45device_block_merge_mergepath_partition_kernelINS1_37wrapped_merge_sort_block_merge_configINS0_14default_configEhN2at4cuda3cub6detail10OpaqueTypeILi8EEEEEPhjNS1_19radix_merge_compareILb1ELb1EhNS0_19identity_decomposerEEEEEvT0_T1_jPSH_T2_SH_,@function
_ZN7rocprim17ROCPRIM_304000_NS6detail45device_block_merge_mergepath_partition_kernelINS1_37wrapped_merge_sort_block_merge_configINS0_14default_configEhN2at4cuda3cub6detail10OpaqueTypeILi8EEEEEPhjNS1_19radix_merge_compareILb1ELb1EhNS0_19identity_decomposerEEEEEvT0_T1_jPSH_T2_SH_: ; @_ZN7rocprim17ROCPRIM_304000_NS6detail45device_block_merge_mergepath_partition_kernelINS1_37wrapped_merge_sort_block_merge_configINS0_14default_configEhN2at4cuda3cub6detail10OpaqueTypeILi8EEEEEPhjNS1_19radix_merge_compareILb1ELb1EhNS0_19identity_decomposerEEEEEvT0_T1_jPSH_T2_SH_
; %bb.0:
	s_load_b64 s[4:5], s[0:1], 0x8
	v_lshl_or_b32 v0, s15, 7, v0
	s_mov_b32 s2, exec_lo
	s_waitcnt lgkmcnt(0)
	s_delay_alu instid0(VALU_DEP_1)
	v_cmpx_gt_u32_e64 s5, v0
	s_cbranch_execz .LBB7_6
; %bb.1:
	s_load_b64 s[2:3], s[0:1], 0x18
	s_waitcnt lgkmcnt(0)
	s_lshr_b32 s5, s3, 9
	s_delay_alu instid0(SALU_CYCLE_1) | instskip(NEXT) | instid1(SALU_CYCLE_1)
	s_and_b32 s5, s5, 0x7ffffe
	s_sub_i32 s6, 0, s5
	s_add_i32 s5, s5, -1
	v_and_b32_e32 v1, s6, v0
	v_and_b32_e32 v4, s5, v0
	s_delay_alu instid0(VALU_DEP_2) | instskip(NEXT) | instid1(VALU_DEP_1)
	v_lshlrev_b32_e32 v1, 10, v1
	v_add_nc_u32_e32 v2, s3, v1
	s_delay_alu instid0(VALU_DEP_1) | instskip(SKIP_1) | instid1(VALU_DEP_2)
	v_min_u32_e32 v7, s4, v2
	v_min_u32_e32 v2, s4, v1
	v_add_nc_u32_e32 v3, s3, v7
	s_mov_b32 s3, exec_lo
	s_delay_alu instid0(VALU_DEP_1) | instskip(SKIP_1) | instid1(VALU_DEP_2)
	v_min_u32_e32 v1, s4, v3
	v_lshlrev_b32_e32 v3, 10, v4
	v_sub_nc_u32_e32 v4, v1, v2
	v_sub_nc_u32_e32 v5, v1, v7
	s_delay_alu instid0(VALU_DEP_2) | instskip(SKIP_1) | instid1(VALU_DEP_2)
	v_min_u32_e32 v1, v4, v3
	v_sub_nc_u32_e32 v4, v7, v2
	v_sub_nc_u32_e64 v3, v1, v5 clamp
	s_delay_alu instid0(VALU_DEP_2) | instskip(NEXT) | instid1(VALU_DEP_1)
	v_min_u32_e32 v4, v1, v4
	v_cmpx_lt_u32_e64 v3, v4
	s_cbranch_execz .LBB7_5
; %bb.2:
	s_load_b64 s[4:5], s[0:1], 0x0
	s_waitcnt lgkmcnt(0)
	v_add_co_u32 v5, s6, s4, v2
	v_add_co_u32 v7, s4, s4, v7
	v_add_co_ci_u32_e64 v6, null, s5, 0, s6
	v_add_co_ci_u32_e64 v8, null, s5, 0, s4
	s_mov_b32 s4, 0
	.p2align	6
.LBB7_3:                                ; =>This Inner Loop Header: Depth=1
	v_add_nc_u32_e32 v9, v4, v3
	s_delay_alu instid0(VALU_DEP_1) | instskip(NEXT) | instid1(VALU_DEP_1)
	v_lshrrev_b32_e32 v13, 1, v9
	v_xad_u32 v11, v13, -1, v1
	v_add_co_u32 v9, vcc_lo, v5, v13
	v_add_co_ci_u32_e32 v10, vcc_lo, 0, v6, vcc_lo
	s_delay_alu instid0(VALU_DEP_3)
	v_add_co_u32 v11, vcc_lo, v7, v11
	v_add_co_ci_u32_e32 v12, vcc_lo, 0, v8, vcc_lo
	s_clause 0x1
	global_load_u8 v9, v[9:10], off
	global_load_u8 v10, v[11:12], off
	v_add_nc_u32_e32 v11, 1, v13
	s_waitcnt vmcnt(1)
	v_and_b32_e32 v9, s2, v9
	s_waitcnt vmcnt(0)
	v_and_b32_e32 v10, s2, v10
	s_delay_alu instid0(VALU_DEP_2) | instskip(NEXT) | instid1(VALU_DEP_2)
	v_and_b32_e32 v9, 0xff, v9
	v_and_b32_e32 v10, 0xff, v10
	s_delay_alu instid0(VALU_DEP_1) | instskip(SKIP_1) | instid1(VALU_DEP_1)
	v_cmp_gt_u16_e32 vcc_lo, v10, v9
	v_dual_cndmask_b32 v3, v11, v3 :: v_dual_cndmask_b32 v4, v4, v13
	v_cmp_ge_u32_e32 vcc_lo, v3, v4
	s_or_b32 s4, vcc_lo, s4
	s_delay_alu instid0(SALU_CYCLE_1)
	s_and_not1_b32 exec_lo, exec_lo, s4
	s_cbranch_execnz .LBB7_3
; %bb.4:
	s_or_b32 exec_lo, exec_lo, s4
.LBB7_5:
	s_delay_alu instid0(SALU_CYCLE_1) | instskip(SKIP_2) | instid1(VALU_DEP_1)
	s_or_b32 exec_lo, exec_lo, s3
	s_load_b64 s[0:1], s[0:1], 0x10
	v_dual_mov_b32 v1, 0 :: v_dual_add_nc_u32 v2, v3, v2
	v_lshlrev_b64 v[0:1], 2, v[0:1]
	s_waitcnt lgkmcnt(0)
	s_delay_alu instid0(VALU_DEP_1) | instskip(NEXT) | instid1(VALU_DEP_2)
	v_add_co_u32 v0, vcc_lo, s0, v0
	v_add_co_ci_u32_e32 v1, vcc_lo, s1, v1, vcc_lo
	global_store_b32 v[0:1], v2, off
.LBB7_6:
	s_nop 0
	s_sendmsg sendmsg(MSG_DEALLOC_VGPRS)
	s_endpgm
	.section	.rodata,"a",@progbits
	.p2align	6, 0x0
	.amdhsa_kernel _ZN7rocprim17ROCPRIM_304000_NS6detail45device_block_merge_mergepath_partition_kernelINS1_37wrapped_merge_sort_block_merge_configINS0_14default_configEhN2at4cuda3cub6detail10OpaqueTypeILi8EEEEEPhjNS1_19radix_merge_compareILb1ELb1EhNS0_19identity_decomposerEEEEEvT0_T1_jPSH_T2_SH_
		.amdhsa_group_segment_fixed_size 0
		.amdhsa_private_segment_fixed_size 0
		.amdhsa_kernarg_size 32
		.amdhsa_user_sgpr_count 15
		.amdhsa_user_sgpr_dispatch_ptr 0
		.amdhsa_user_sgpr_queue_ptr 0
		.amdhsa_user_sgpr_kernarg_segment_ptr 1
		.amdhsa_user_sgpr_dispatch_id 0
		.amdhsa_user_sgpr_private_segment_size 0
		.amdhsa_wavefront_size32 1
		.amdhsa_uses_dynamic_stack 0
		.amdhsa_enable_private_segment 0
		.amdhsa_system_sgpr_workgroup_id_x 1
		.amdhsa_system_sgpr_workgroup_id_y 0
		.amdhsa_system_sgpr_workgroup_id_z 0
		.amdhsa_system_sgpr_workgroup_info 0
		.amdhsa_system_vgpr_workitem_id 0
		.amdhsa_next_free_vgpr 14
		.amdhsa_next_free_sgpr 16
		.amdhsa_reserve_vcc 1
		.amdhsa_float_round_mode_32 0
		.amdhsa_float_round_mode_16_64 0
		.amdhsa_float_denorm_mode_32 3
		.amdhsa_float_denorm_mode_16_64 3
		.amdhsa_dx10_clamp 1
		.amdhsa_ieee_mode 1
		.amdhsa_fp16_overflow 0
		.amdhsa_workgroup_processor_mode 1
		.amdhsa_memory_ordered 1
		.amdhsa_forward_progress 0
		.amdhsa_shared_vgpr_count 0
		.amdhsa_exception_fp_ieee_invalid_op 0
		.amdhsa_exception_fp_denorm_src 0
		.amdhsa_exception_fp_ieee_div_zero 0
		.amdhsa_exception_fp_ieee_overflow 0
		.amdhsa_exception_fp_ieee_underflow 0
		.amdhsa_exception_fp_ieee_inexact 0
		.amdhsa_exception_int_div_zero 0
	.end_amdhsa_kernel
	.section	.text._ZN7rocprim17ROCPRIM_304000_NS6detail45device_block_merge_mergepath_partition_kernelINS1_37wrapped_merge_sort_block_merge_configINS0_14default_configEhN2at4cuda3cub6detail10OpaqueTypeILi8EEEEEPhjNS1_19radix_merge_compareILb1ELb1EhNS0_19identity_decomposerEEEEEvT0_T1_jPSH_T2_SH_,"axG",@progbits,_ZN7rocprim17ROCPRIM_304000_NS6detail45device_block_merge_mergepath_partition_kernelINS1_37wrapped_merge_sort_block_merge_configINS0_14default_configEhN2at4cuda3cub6detail10OpaqueTypeILi8EEEEEPhjNS1_19radix_merge_compareILb1ELb1EhNS0_19identity_decomposerEEEEEvT0_T1_jPSH_T2_SH_,comdat
.Lfunc_end7:
	.size	_ZN7rocprim17ROCPRIM_304000_NS6detail45device_block_merge_mergepath_partition_kernelINS1_37wrapped_merge_sort_block_merge_configINS0_14default_configEhN2at4cuda3cub6detail10OpaqueTypeILi8EEEEEPhjNS1_19radix_merge_compareILb1ELb1EhNS0_19identity_decomposerEEEEEvT0_T1_jPSH_T2_SH_, .Lfunc_end7-_ZN7rocprim17ROCPRIM_304000_NS6detail45device_block_merge_mergepath_partition_kernelINS1_37wrapped_merge_sort_block_merge_configINS0_14default_configEhN2at4cuda3cub6detail10OpaqueTypeILi8EEEEEPhjNS1_19radix_merge_compareILb1ELb1EhNS0_19identity_decomposerEEEEEvT0_T1_jPSH_T2_SH_
                                        ; -- End function
	.section	.AMDGPU.csdata,"",@progbits
; Kernel info:
; codeLenInByte = 444
; NumSgprs: 18
; NumVgprs: 14
; ScratchSize: 0
; MemoryBound: 0
; FloatMode: 240
; IeeeMode: 1
; LDSByteSize: 0 bytes/workgroup (compile time only)
; SGPRBlocks: 2
; VGPRBlocks: 1
; NumSGPRsForWavesPerEU: 18
; NumVGPRsForWavesPerEU: 14
; Occupancy: 16
; WaveLimiterHint : 0
; COMPUTE_PGM_RSRC2:SCRATCH_EN: 0
; COMPUTE_PGM_RSRC2:USER_SGPR: 15
; COMPUTE_PGM_RSRC2:TRAP_HANDLER: 0
; COMPUTE_PGM_RSRC2:TGID_X_EN: 1
; COMPUTE_PGM_RSRC2:TGID_Y_EN: 0
; COMPUTE_PGM_RSRC2:TGID_Z_EN: 0
; COMPUTE_PGM_RSRC2:TIDIG_COMP_CNT: 0
	.section	.text._ZN7rocprim17ROCPRIM_304000_NS6detail35device_block_merge_mergepath_kernelINS1_37wrapped_merge_sort_block_merge_configINS0_14default_configEhN2at4cuda3cub6detail10OpaqueTypeILi8EEEEEPhSC_PSA_SD_jNS1_19radix_merge_compareILb1ELb1EhNS0_19identity_decomposerEEEEEvT0_T1_T2_T3_T4_SL_jT5_PKSL_NS1_7vsmem_tE,"axG",@progbits,_ZN7rocprim17ROCPRIM_304000_NS6detail35device_block_merge_mergepath_kernelINS1_37wrapped_merge_sort_block_merge_configINS0_14default_configEhN2at4cuda3cub6detail10OpaqueTypeILi8EEEEEPhSC_PSA_SD_jNS1_19radix_merge_compareILb1ELb1EhNS0_19identity_decomposerEEEEEvT0_T1_T2_T3_T4_SL_jT5_PKSL_NS1_7vsmem_tE,comdat
	.protected	_ZN7rocprim17ROCPRIM_304000_NS6detail35device_block_merge_mergepath_kernelINS1_37wrapped_merge_sort_block_merge_configINS0_14default_configEhN2at4cuda3cub6detail10OpaqueTypeILi8EEEEEPhSC_PSA_SD_jNS1_19radix_merge_compareILb1ELb1EhNS0_19identity_decomposerEEEEEvT0_T1_T2_T3_T4_SL_jT5_PKSL_NS1_7vsmem_tE ; -- Begin function _ZN7rocprim17ROCPRIM_304000_NS6detail35device_block_merge_mergepath_kernelINS1_37wrapped_merge_sort_block_merge_configINS0_14default_configEhN2at4cuda3cub6detail10OpaqueTypeILi8EEEEEPhSC_PSA_SD_jNS1_19radix_merge_compareILb1ELb1EhNS0_19identity_decomposerEEEEEvT0_T1_T2_T3_T4_SL_jT5_PKSL_NS1_7vsmem_tE
	.globl	_ZN7rocprim17ROCPRIM_304000_NS6detail35device_block_merge_mergepath_kernelINS1_37wrapped_merge_sort_block_merge_configINS0_14default_configEhN2at4cuda3cub6detail10OpaqueTypeILi8EEEEEPhSC_PSA_SD_jNS1_19radix_merge_compareILb1ELb1EhNS0_19identity_decomposerEEEEEvT0_T1_T2_T3_T4_SL_jT5_PKSL_NS1_7vsmem_tE
	.p2align	8
	.type	_ZN7rocprim17ROCPRIM_304000_NS6detail35device_block_merge_mergepath_kernelINS1_37wrapped_merge_sort_block_merge_configINS0_14default_configEhN2at4cuda3cub6detail10OpaqueTypeILi8EEEEEPhSC_PSA_SD_jNS1_19radix_merge_compareILb1ELb1EhNS0_19identity_decomposerEEEEEvT0_T1_T2_T3_T4_SL_jT5_PKSL_NS1_7vsmem_tE,@function
_ZN7rocprim17ROCPRIM_304000_NS6detail35device_block_merge_mergepath_kernelINS1_37wrapped_merge_sort_block_merge_configINS0_14default_configEhN2at4cuda3cub6detail10OpaqueTypeILi8EEEEEPhSC_PSA_SD_jNS1_19radix_merge_compareILb1ELb1EhNS0_19identity_decomposerEEEEEvT0_T1_T2_T3_T4_SL_jT5_PKSL_NS1_7vsmem_tE: ; @_ZN7rocprim17ROCPRIM_304000_NS6detail35device_block_merge_mergepath_kernelINS1_37wrapped_merge_sort_block_merge_configINS0_14default_configEhN2at4cuda3cub6detail10OpaqueTypeILi8EEEEEPhSC_PSA_SD_jNS1_19radix_merge_compareILb1ELb1EhNS0_19identity_decomposerEEEEEvT0_T1_T2_T3_T4_SL_jT5_PKSL_NS1_7vsmem_tE
; %bb.0:
	s_clause 0x1
	s_load_b64 s[22:23], s[0:1], 0x40
	s_load_b128 s[16:19], s[0:1], 0x20
	s_add_u32 s20, s0, 64
	s_addc_u32 s21, s1, 0
	s_waitcnt lgkmcnt(0)
	s_mul_i32 s2, s23, s15
	s_delay_alu instid0(SALU_CYCLE_1) | instskip(NEXT) | instid1(SALU_CYCLE_1)
	s_add_i32 s2, s2, s14
	s_mul_i32 s2, s2, s22
	s_delay_alu instid0(SALU_CYCLE_1) | instskip(NEXT) | instid1(SALU_CYCLE_1)
	s_add_i32 s2, s2, s13
	s_cmp_ge_u32 s2, s18
	s_cbranch_scc1 .LBB8_53
; %bb.1:
	v_mov_b32_e32 v1, 0
	s_load_b64 s[4:5], s[0:1], 0x30
	s_lshr_b32 s26, s16, 10
	s_mov_b32 s15, 0
	s_cmp_lg_u32 s2, s26
	global_load_b32 v2, v1, s[20:21] offset:14
	s_mov_b32 s3, s15
	s_cselect_b32 s18, -1, 0
	s_lshl_b64 s[6:7], s[2:3], 2
	s_waitcnt lgkmcnt(0)
	s_add_u32 s4, s4, s6
	s_addc_u32 s5, s5, s7
	s_lshr_b32 s3, s17, 9
	s_load_b64 s[24:25], s[4:5], 0x0
	s_and_b32 s3, s3, 0x7ffffe
	s_load_b256 s[4:11], s[0:1], 0x0
	s_sub_i32 s0, 0, s3
	s_lshl_b32 s3, s2, 10
	s_and_b32 s1, s2, s0
	s_or_b32 s0, s2, s0
	s_lshl_b32 s12, s1, 11
	s_lshl_b32 s1, s1, 10
	s_add_i32 s12, s12, s17
	s_sub_i32 s14, s3, s1
	s_sub_i32 s1, s12, s1
	s_add_i32 s12, s12, s14
	s_min_u32 s14, s16, s1
	s_add_i32 s1, s1, s17
	s_waitcnt lgkmcnt(0)
	s_sub_i32 s17, s12, s24
	s_sub_i32 s23, s12, s25
	s_min_u32 s12, s16, s17
	s_addk_i32 s23, 0x400
	s_cmp_eq_u32 s0, -1
	s_cselect_b32 s0, s1, s23
	s_cselect_b32 s1, s14, s25
	s_min_u32 s0, s0, s16
	s_sub_i32 s17, s1, s24
	s_sub_i32 s23, s0, s12
	s_add_u32 s1, s4, s24
	s_mov_b32 s14, s24
	s_addc_u32 s24, s5, 0
	s_add_u32 s25, s4, s12
	s_addc_u32 s5, s5, 0
	s_cmp_lt_u32 s13, s22
	v_cmp_gt_u32_e32 vcc_lo, s17, v0
	s_cselect_b32 s0, 12, 18
	s_mov_b32 s13, s15
	s_add_u32 s20, s20, s0
	s_addc_u32 s21, s21, 0
	s_mov_b32 s0, -1
	s_cmp_eq_u32 s2, s26
	s_waitcnt vmcnt(0)
	v_lshrrev_b32_e32 v3, 16, v2
	v_and_b32_e32 v2, 0xffff, v2
	global_load_u16 v1, v1, s[20:21]
	v_mul_lo_u32 v2, v2, v3
	s_waitcnt vmcnt(0)
	s_delay_alu instid0(VALU_DEP_1) | instskip(NEXT) | instid1(VALU_DEP_1)
	v_mul_lo_u32 v1, v2, v1
	v_add_nc_u32_e32 v1, v1, v0
	s_cbranch_scc1 .LBB8_3
; %bb.2:
	v_subrev_nc_u32_e32 v2, s17, v0
	v_add_co_u32 v4, s0, s1, v0
	s_delay_alu instid0(VALU_DEP_3) | instskip(SKIP_1) | instid1(VALU_DEP_4)
	v_subrev_nc_u32_e32 v6, s17, v1
	v_add_co_ci_u32_e64 v3, null, s24, 0, s0
	v_add_co_u32 v2, s0, s25, v2
	s_delay_alu instid0(VALU_DEP_1) | instskip(SKIP_1) | instid1(VALU_DEP_1)
	v_add_co_ci_u32_e64 v5, null, s5, 0, s0
	v_add_co_u32 v8, s0, s1, v1
	v_add_co_ci_u32_e64 v7, null, s24, 0, s0
	v_add_co_u32 v6, s0, s25, v6
	s_delay_alu instid0(VALU_DEP_1) | instskip(SKIP_3) | instid1(VALU_DEP_2)
	v_add_co_ci_u32_e64 v9, null, s5, 0, s0
	v_cmp_gt_u32_e64 s0, s17, v1
	v_dual_cndmask_b32 v3, v5, v3 :: v_dual_cndmask_b32 v2, v2, v4
	s_add_i32 s4, s23, s17
	v_cndmask_b32_e64 v7, v9, v7, s0
	v_cndmask_b32_e64 v6, v6, v8, s0
	global_load_u8 v5, v[2:3], off
	global_load_u8 v7, v[6:7], off
	s_mov_b32 s0, s15
	s_delay_alu instid0(SALU_CYCLE_1)
	s_and_not1_b32 vcc_lo, exec_lo, s0
	s_cbranch_vccz .LBB8_4
	s_branch .LBB8_9
.LBB8_3:
                                        ; implicit-def: $vgpr5
                                        ; implicit-def: $vgpr7
                                        ; implicit-def: $sgpr4
	s_and_not1_b32 vcc_lo, exec_lo, s0
	s_cbranch_vccnz .LBB8_9
.LBB8_4:
	s_add_i32 s4, s23, s17
	s_mov_b32 s0, exec_lo
                                        ; implicit-def: $vgpr5
	v_cmpx_gt_u32_e64 s4, v0
	s_cbranch_execz .LBB8_6
; %bb.5:
	v_subrev_nc_u32_e32 v2, s17, v0
	v_add_co_u32 v4, s2, s1, v0
	s_delay_alu instid0(VALU_DEP_1) | instskip(NEXT) | instid1(VALU_DEP_3)
	v_add_co_ci_u32_e64 v3, null, s24, 0, s2
	v_add_co_u32 v2, s2, s25, v2
	s_waitcnt vmcnt(1)
	v_add_co_ci_u32_e64 v5, null, s5, 0, s2
	v_cmp_gt_u32_e32 vcc_lo, s17, v0
	s_delay_alu instid0(VALU_DEP_2)
	v_dual_cndmask_b32 v3, v5, v3 :: v_dual_cndmask_b32 v2, v2, v4
	global_load_u8 v5, v[2:3], off
.LBB8_6:
	s_or_b32 exec_lo, exec_lo, s0
	s_delay_alu instid0(SALU_CYCLE_1)
	s_mov_b32 s0, exec_lo
                                        ; implicit-def: $vgpr7
	v_cmpx_gt_u32_e64 s4, v1
	s_cbranch_execz .LBB8_8
; %bb.7:
	v_subrev_nc_u32_e32 v2, s17, v1
	v_add_co_u32 v3, s1, s1, v1
	s_delay_alu instid0(VALU_DEP_1) | instskip(NEXT) | instid1(VALU_DEP_3)
	v_add_co_ci_u32_e64 v4, null, s24, 0, s1
	v_add_co_u32 v6, s1, s25, v2
	s_delay_alu instid0(VALU_DEP_1) | instskip(SKIP_1) | instid1(VALU_DEP_3)
	v_add_co_ci_u32_e64 v2, null, s5, 0, s1
	v_cmp_gt_u32_e32 vcc_lo, s17, v1
	v_cndmask_b32_e32 v1, v6, v3, vcc_lo
	s_delay_alu instid0(VALU_DEP_3)
	v_cndmask_b32_e32 v2, v2, v4, vcc_lo
	global_load_u8 v7, v[1:2], off
.LBB8_8:
	s_or_b32 exec_lo, exec_lo, s0
.LBB8_9:
	v_lshlrev_b32_e32 v6, 1, v0
	s_mov_b32 s0, exec_lo
	s_waitcnt vmcnt(0)
	ds_store_b8 v0, v5
	ds_store_b8 v0, v7 offset:512
	s_waitcnt lgkmcnt(0)
	s_barrier
	v_min_u32_e32 v2, s4, v6
	buffer_gl0_inv
	v_sub_nc_u32_e64 v1, v2, s23 clamp
	v_min_u32_e32 v3, s17, v2
	s_delay_alu instid0(VALU_DEP_1)
	v_cmpx_lt_u32_e64 v1, v3
	s_cbranch_execz .LBB8_13
; %bb.10:
	v_add_nc_u32_e32 v4, s17, v2
	s_mov_b32 s1, 0
	.p2align	6
.LBB8_11:                               ; =>This Inner Loop Header: Depth=1
	v_add_nc_u32_e32 v8, v3, v1
	s_delay_alu instid0(VALU_DEP_1) | instskip(NEXT) | instid1(VALU_DEP_1)
	v_lshrrev_b32_e32 v8, 1, v8
	v_xad_u32 v9, v8, -1, v4
	v_add_nc_u32_e32 v11, 1, v8
	ds_load_u8 v10, v8
	ds_load_u8 v9, v9
	s_waitcnt lgkmcnt(1)
	v_and_b32_e32 v10, s19, v10
	s_waitcnt lgkmcnt(0)
	v_and_b32_e32 v9, s19, v9
	s_delay_alu instid0(VALU_DEP_2) | instskip(NEXT) | instid1(VALU_DEP_2)
	v_and_b32_e32 v10, 0xff, v10
	v_and_b32_e32 v9, 0xff, v9
	s_delay_alu instid0(VALU_DEP_1) | instskip(SKIP_2) | instid1(VALU_DEP_1)
	v_cmp_gt_u16_e32 vcc_lo, v9, v10
	v_cndmask_b32_e32 v1, v11, v1, vcc_lo
	v_cndmask_b32_e32 v3, v3, v8, vcc_lo
	v_cmp_ge_u32_e32 vcc_lo, v1, v3
	s_or_b32 s1, vcc_lo, s1
	s_delay_alu instid0(SALU_CYCLE_1)
	s_and_not1_b32 exec_lo, exec_lo, s1
	s_cbranch_execnz .LBB8_11
; %bb.12:
	s_or_b32 exec_lo, exec_lo, s1
.LBB8_13:
	s_delay_alu instid0(SALU_CYCLE_1) | instskip(SKIP_2) | instid1(VALU_DEP_2)
	s_or_b32 exec_lo, exec_lo, s0
	v_sub_nc_u32_e32 v2, v2, v1
	v_cmp_ge_u32_e32 vcc_lo, s17, v1
                                        ; implicit-def: $vgpr9
                                        ; implicit-def: $vgpr10
	v_add_nc_u32_e32 v2, s17, v2
	s_delay_alu instid0(VALU_DEP_1) | instskip(NEXT) | instid1(VALU_DEP_1)
	v_cmp_ge_u32_e64 s0, s4, v2
	s_or_b32 s0, vcc_lo, s0
	s_delay_alu instid0(SALU_CYCLE_1)
	s_and_saveexec_b32 s5, s0
	s_cbranch_execz .LBB8_19
; %bb.14:
	v_cmp_gt_u32_e32 vcc_lo, s17, v1
                                        ; implicit-def: $vgpr3
	s_and_saveexec_b32 s0, vcc_lo
	s_cbranch_execz .LBB8_16
; %bb.15:
	ds_load_u8 v3, v1
.LBB8_16:
	s_or_b32 exec_lo, exec_lo, s0
	v_cmp_le_u32_e64 s0, s4, v2
	s_mov_b32 s2, exec_lo
                                        ; implicit-def: $vgpr4
	v_cmpx_gt_u32_e64 s4, v2
	s_cbranch_execz .LBB8_18
; %bb.17:
	ds_load_u8 v4, v2
.LBB8_18:
	s_or_b32 exec_lo, exec_lo, s2
	s_waitcnt lgkmcnt(0)
	v_and_b32_e32 v5, s19, v4
	v_and_b32_e32 v7, s19, v3
	s_delay_alu instid0(VALU_DEP_2) | instskip(NEXT) | instid1(VALU_DEP_2)
	v_and_b32_e32 v5, 0xff, v5
	v_and_b32_e32 v7, 0xff, v7
	s_delay_alu instid0(VALU_DEP_1) | instskip(SKIP_1) | instid1(VALU_DEP_2)
	v_cmp_le_u16_e64 s1, v5, v7
	v_mov_b32_e32 v5, s17
	s_and_b32 s1, vcc_lo, s1
	s_delay_alu instid0(SALU_CYCLE_1) | instskip(SKIP_1) | instid1(VALU_DEP_2)
	s_or_b32 vcc_lo, s0, s1
	v_cndmask_b32_e32 v10, v2, v1, vcc_lo
	v_cndmask_b32_e32 v5, s4, v5, vcc_lo
	s_delay_alu instid0(VALU_DEP_2) | instskip(NEXT) | instid1(VALU_DEP_1)
	v_add_nc_u32_e32 v7, 1, v10
	v_dual_cndmask_b32 v2, v7, v2 :: v_dual_add_nc_u32 v5, -1, v5
	s_delay_alu instid0(VALU_DEP_1) | instskip(SKIP_1) | instid1(VALU_DEP_3)
	v_min_u32_e32 v5, v7, v5
	v_cndmask_b32_e32 v1, v1, v7, vcc_lo
	v_cmp_le_u32_e64 s2, s4, v2
	ds_load_u8 v5, v5
	v_cmp_gt_u32_e64 s0, s17, v1
	s_waitcnt lgkmcnt(0)
	v_dual_cndmask_b32 v8, v5, v4 :: v_dual_cndmask_b32 v11, v3, v5
	s_delay_alu instid0(VALU_DEP_1) | instskip(NEXT) | instid1(VALU_DEP_2)
	v_and_b32_e32 v5, s19, v8
	v_and_b32_e32 v9, s19, v11
	s_delay_alu instid0(VALU_DEP_2) | instskip(NEXT) | instid1(VALU_DEP_2)
	v_and_b32_e32 v5, 0xff, v5
	v_and_b32_e32 v9, 0xff, v9
	s_delay_alu instid0(VALU_DEP_1) | instskip(SKIP_1) | instid1(VALU_DEP_2)
	v_cmp_le_u16_e64 s1, v5, v9
	v_cndmask_b32_e32 v5, v4, v3, vcc_lo
	s_and_b32 s0, s0, s1
	s_delay_alu instid0(SALU_CYCLE_1)
	s_or_b32 vcc_lo, s2, s0
	v_cndmask_b32_e32 v9, v2, v1, vcc_lo
	v_cndmask_b32_e32 v7, v8, v11, vcc_lo
.LBB8_19:
	s_or_b32 exec_lo, exec_lo, s5
	s_lshl_b64 s[0:1], s[14:15], 3
	v_or_b32_e32 v8, 0x200, v0
	s_add_u32 s2, s8, s0
	s_addc_u32 s5, s9, s1
	s_lshl_b64 s[12:13], s[12:13], 3
	v_cmp_gt_u32_e64 s1, s17, v0
	v_cmp_le_u32_e64 s0, s17, v0
	s_add_u32 s8, s8, s12
	s_mov_b32 s14, 0
	s_addc_u32 s9, s9, s13
	s_and_not1_b32 vcc_lo, exec_lo, s18
	s_barrier
	buffer_gl0_inv
	s_cbranch_vccnz .LBB8_21
; %bb.20:
	v_subrev_nc_u32_e32 v1, s17, v0
	v_dual_mov_b32 v2, 0 :: v_dual_lshlrev_b32 v13, 3, v0
	s_mov_b32 s14, -1
	s_delay_alu instid0(VALU_DEP_1) | instskip(NEXT) | instid1(VALU_DEP_2)
	v_lshlrev_b64 v[3:4], 3, v[1:2]
	v_add_co_u32 v14, s12, s2, v13
	s_delay_alu instid0(VALU_DEP_1) | instskip(NEXT) | instid1(VALU_DEP_3)
	v_add_co_ci_u32_e64 v15, null, s5, 0, s12
	v_add_co_u32 v1, vcc_lo, s8, v3
	s_delay_alu instid0(VALU_DEP_4) | instskip(NEXT) | instid1(VALU_DEP_1)
	v_add_co_ci_u32_e32 v3, vcc_lo, s9, v4, vcc_lo
	v_cndmask_b32_e64 v4, v3, v15, s1
	s_delay_alu instid0(VALU_DEP_3)
	v_cndmask_b32_e64 v3, v1, v14, s1
	v_subrev_nc_u32_e32 v1, s17, v8
	global_load_b64 v[11:12], v[3:4], off
	v_lshlrev_b64 v[1:2], 3, v[1:2]
	v_add_co_u32 v3, vcc_lo, 0x1000, v14
	v_add_co_ci_u32_e32 v4, vcc_lo, 0, v15, vcc_lo
	s_delay_alu instid0(VALU_DEP_3) | instskip(NEXT) | instid1(VALU_DEP_4)
	v_add_co_u32 v1, vcc_lo, s8, v1
	v_add_co_ci_u32_e32 v2, vcc_lo, s9, v2, vcc_lo
	v_cmp_gt_u32_e32 vcc_lo, s17, v8
	s_delay_alu instid0(VALU_DEP_2)
	v_dual_cndmask_b32 v2, v2, v4 :: v_dual_cndmask_b32 v1, v1, v3
	v_or_b32_e32 v4, 0x1000, v13
	s_waitcnt vmcnt(0)
	ds_store_b64 v13, v[11:12]
	s_cbranch_execz .LBB8_22
	s_branch .LBB8_33
.LBB8_21:
                                        ; implicit-def: $vgpr4
                                        ; implicit-def: $vgpr1_vgpr2
.LBB8_22:
	s_mov_b32 s1, 0
                                        ; implicit-def: $vgpr1_vgpr2
	s_and_saveexec_b32 s12, s0
	s_delay_alu instid0(SALU_CYCLE_1)
	s_xor_b32 s0, exec_lo, s12
	s_cbranch_execnz .LBB8_54
; %bb.23:
	s_and_not1_saveexec_b32 s0, s0
	s_cbranch_execnz .LBB8_57
.LBB8_24:
	s_or_b32 exec_lo, exec_lo, s0
	s_and_saveexec_b32 s0, s1
	s_cbranch_execz .LBB8_26
.LBB8_25:
	global_load_b64 v[1:2], v[1:2], off
	v_mad_u32_u24 v3, v0, 7, v0
	s_waitcnt vmcnt(0)
	ds_store_b64 v3, v[1:2]
.LBB8_26:
	s_or_b32 exec_lo, exec_lo, s0
	s_delay_alu instid0(SALU_CYCLE_1)
	s_mov_b32 s0, exec_lo
                                        ; implicit-def: $vgpr4
                                        ; implicit-def: $vgpr1_vgpr2
	v_cmpx_le_u32_e64 s17, v8
	s_xor_b32 s0, exec_lo, s0
	s_cbranch_execz .LBB8_30
; %bb.27:
	v_subrev_nc_u32_e32 v3, s17, v8
	s_mov_b32 s12, s14
	s_mov_b32 s1, exec_lo
                                        ; implicit-def: $vgpr4
                                        ; implicit-def: $vgpr1_vgpr2
	s_delay_alu instid0(VALU_DEP_1)
	v_cmpx_gt_u32_e64 s23, v3
; %bb.28:
	v_mov_b32_e32 v4, 0
	v_mul_u32_u24_e32 v11, 7, v0
	s_or_b32 s12, s14, exec_lo
	s_delay_alu instid0(VALU_DEP_2) | instskip(NEXT) | instid1(VALU_DEP_2)
	v_lshlrev_b64 v[1:2], 3, v[3:4]
	v_add3_u32 v4, v0, v11, 0x1000
	s_delay_alu instid0(VALU_DEP_2) | instskip(NEXT) | instid1(VALU_DEP_3)
	v_add_co_u32 v1, vcc_lo, s8, v1
	v_add_co_ci_u32_e32 v2, vcc_lo, s9, v2, vcc_lo
; %bb.29:
	s_or_b32 exec_lo, exec_lo, s1
	s_delay_alu instid0(SALU_CYCLE_1) | instskip(SKIP_1) | instid1(SALU_CYCLE_1)
	s_and_not1_b32 s1, s14, exec_lo
	s_and_b32 s8, s12, exec_lo
	s_or_b32 s14, s1, s8
.LBB8_30:
	s_and_not1_saveexec_b32 s0, s0
; %bb.31:
	v_lshlrev_b32_e32 v1, 3, v8
	v_mul_u32_u24_e32 v3, 7, v0
	s_or_b32 s14, s14, exec_lo
	s_delay_alu instid0(VALU_DEP_2) | instskip(NEXT) | instid1(VALU_DEP_1)
	v_add_co_u32 v1, s1, s2, v1
	v_add_co_ci_u32_e64 v2, null, s5, 0, s1
	s_delay_alu instid0(VALU_DEP_3)
	v_add3_u32 v4, v0, v3, 0x1000
; %bb.32:
	s_or_b32 exec_lo, exec_lo, s0
.LBB8_33:
	s_and_saveexec_b32 s0, s14
	s_cbranch_execz .LBB8_35
; %bb.34:
	global_load_b64 v[1:2], v[1:2], off
	s_waitcnt vmcnt(0)
	ds_store_b64 v4, v[1:2]
.LBB8_35:
	s_or_b32 exec_lo, exec_lo, s0
	v_add_nc_u32_e32 v1, s3, v6
	s_and_not1_b32 vcc_lo, exec_lo, s18
	s_waitcnt lgkmcnt(0)
	s_barrier
	buffer_gl0_inv
	s_cbranch_vccnz .LBB8_37
; %bb.36:
	v_lshlrev_b32_e32 v2, 3, v10
	s_mov_b32 s0, -1
	ds_load_b64 v[3:4], v2
	v_mov_b32_e32 v2, 0
	s_delay_alu instid0(VALU_DEP_1) | instskip(NEXT) | instid1(VALU_DEP_1)
	v_lshlrev_b64 v[11:12], 3, v[1:2]
	v_add_co_u32 v11, vcc_lo, s10, v11
	s_delay_alu instid0(VALU_DEP_2)
	v_add_co_ci_u32_e32 v12, vcc_lo, s11, v12, vcc_lo
	s_waitcnt lgkmcnt(0)
	global_store_b64 v[11:12], v[3:4], off
	s_cbranch_execz .LBB8_38
	s_branch .LBB8_43
.LBB8_37:
	s_mov_b32 s0, 0
.LBB8_38:
	s_mov_b32 s1, exec_lo
	v_cmpx_gt_u32_e64 s4, v6
	s_cbranch_execz .LBB8_40
; %bb.39:
	v_lshlrev_b32_e32 v2, 3, v10
	ds_load_b64 v[3:4], v2
	v_mov_b32_e32 v2, 0
	s_delay_alu instid0(VALU_DEP_1) | instskip(NEXT) | instid1(VALU_DEP_1)
	v_lshlrev_b64 v[10:11], 3, v[1:2]
	v_add_co_u32 v10, vcc_lo, s10, v10
	s_delay_alu instid0(VALU_DEP_2)
	v_add_co_ci_u32_e32 v11, vcc_lo, s11, v11, vcc_lo
	s_waitcnt lgkmcnt(0)
	global_store_b64 v[10:11], v[3:4], off
.LBB8_40:
	s_or_b32 exec_lo, exec_lo, s1
	v_or_b32_e32 v2, 1, v6
	s_mov_b32 s1, exec_lo
	s_delay_alu instid0(VALU_DEP_1)
	v_cmpx_gt_u32_e64 s4, v2
; %bb.41:
	v_mov_b32_e32 v2, 0
	s_or_b32 s0, s0, exec_lo
; %bb.42:
	s_or_b32 exec_lo, exec_lo, s1
.LBB8_43:
	s_and_saveexec_b32 s1, s0
	s_cbranch_execz .LBB8_45
; %bb.44:
	v_lshlrev_b32_e32 v3, 3, v9
	v_lshlrev_b64 v[1:2], 3, v[1:2]
	ds_load_b64 v[3:4], v3
	v_add_co_u32 v1, vcc_lo, s10, v1
	v_add_co_ci_u32_e32 v2, vcc_lo, s11, v2, vcc_lo
	s_waitcnt lgkmcnt(0)
	global_store_b64 v[1:2], v[3:4], off offset:8
.LBB8_45:
	s_or_b32 exec_lo, exec_lo, s1
	v_lshrrev_b32_e32 v1, 4, v0
	v_and_b32_e32 v2, 0xff, v5
	v_lshlrev_b16 v3, 8, v7
	v_lshrrev_b32_e32 v4, 5, v8
	s_add_u32 s1, s6, s3
	v_and_b32_e32 v1, 28, v1
	s_waitcnt_vscnt null, 0x0
	v_or_b32_e32 v2, v2, v3
	v_lshrrev_b32_e32 v3, 5, v0
	v_and_b32_e32 v4, 28, v4
	v_add_nc_u32_e32 v1, v1, v6
	s_barrier
	buffer_gl0_inv
	s_barrier
	buffer_gl0_inv
	s_addc_u32 s2, s7, 0
	ds_store_b16 v1, v2
	v_add_co_u32 v1, s1, s1, v0
	v_and_b32_e32 v3, 12, v3
	v_add_co_ci_u32_e64 v2, null, s2, 0, s1
	v_add_nc_u32_e32 v5, v0, v4
	s_mov_b32 s0, 0
	s_and_b32 vcc_lo, exec_lo, s18
	s_waitcnt lgkmcnt(0)
	s_cbranch_vccz .LBB8_47
; %bb.46:
	v_add_nc_u32_e32 v4, v0, v3
	s_barrier
	buffer_gl0_inv
	s_mov_b32 s0, -1
	ds_load_u8 v6, v4
	ds_load_u8 v4, v5 offset:512
	s_waitcnt lgkmcnt(1)
	global_store_b8 v[1:2], v6, off
	s_cbranch_execz .LBB8_48
	s_branch .LBB8_51
.LBB8_47:
                                        ; implicit-def: $vgpr4
.LBB8_48:
	s_waitcnt lgkmcnt(0)
	s_waitcnt_vscnt null, 0x0
	s_barrier
	buffer_gl0_inv
	ds_load_u8 v4, v5 offset:512
	s_sub_i32 s0, s16, s3
	s_mov_b32 s1, exec_lo
	v_cmpx_gt_u32_e64 s0, v0
	s_cbranch_execz .LBB8_50
; %bb.49:
	v_add_nc_u32_e32 v0, v0, v3
	ds_load_u8 v0, v0
	s_waitcnt lgkmcnt(0)
	global_store_b8 v[1:2], v0, off
.LBB8_50:
	s_or_b32 exec_lo, exec_lo, s1
	v_cmp_gt_u32_e64 s0, s0, v8
.LBB8_51:
	s_delay_alu instid0(VALU_DEP_1)
	s_and_saveexec_b32 s1, s0
	s_cbranch_execz .LBB8_53
; %bb.52:
	s_waitcnt lgkmcnt(0)
	global_store_b8 v[1:2], v4, off offset:512
.LBB8_53:
	s_nop 0
	s_sendmsg sendmsg(MSG_DEALLOC_VGPRS)
	s_endpgm
.LBB8_54:
	v_subrev_nc_u32_e32 v3, s17, v0
	s_mov_b32 s12, exec_lo
                                        ; implicit-def: $vgpr1_vgpr2
	s_delay_alu instid0(VALU_DEP_1)
	v_cmpx_gt_u32_e64 s23, v3
	s_xor_b32 s12, exec_lo, s12
; %bb.55:
	v_mov_b32_e32 v4, 0
	s_mov_b32 s1, exec_lo
	s_delay_alu instid0(VALU_DEP_1) | instskip(NEXT) | instid1(VALU_DEP_1)
	v_lshlrev_b64 v[1:2], 3, v[3:4]
	v_add_co_u32 v1, vcc_lo, s8, v1
	s_delay_alu instid0(VALU_DEP_2)
	v_add_co_ci_u32_e32 v2, vcc_lo, s9, v2, vcc_lo
; %bb.56:
	s_or_b32 exec_lo, exec_lo, s12
	s_delay_alu instid0(SALU_CYCLE_1)
	s_and_b32 s1, s1, exec_lo
	s_and_not1_saveexec_b32 s0, s0
	s_cbranch_execz .LBB8_24
.LBB8_57:
	v_lshlrev_b32_e32 v1, 3, v0
	s_or_b32 s1, s1, exec_lo
	s_delay_alu instid0(VALU_DEP_1) | instskip(NEXT) | instid1(VALU_DEP_1)
	v_add_co_u32 v1, s12, s2, v1
	v_add_co_ci_u32_e64 v2, null, s5, 0, s12
	s_or_b32 exec_lo, exec_lo, s0
	s_and_saveexec_b32 s0, s1
	s_cbranch_execnz .LBB8_25
	s_branch .LBB8_26
	.section	.rodata,"a",@progbits
	.p2align	6, 0x0
	.amdhsa_kernel _ZN7rocprim17ROCPRIM_304000_NS6detail35device_block_merge_mergepath_kernelINS1_37wrapped_merge_sort_block_merge_configINS0_14default_configEhN2at4cuda3cub6detail10OpaqueTypeILi8EEEEEPhSC_PSA_SD_jNS1_19radix_merge_compareILb1ELb1EhNS0_19identity_decomposerEEEEEvT0_T1_T2_T3_T4_SL_jT5_PKSL_NS1_7vsmem_tE
		.amdhsa_group_segment_fixed_size 8208
		.amdhsa_private_segment_fixed_size 0
		.amdhsa_kernarg_size 320
		.amdhsa_user_sgpr_count 13
		.amdhsa_user_sgpr_dispatch_ptr 0
		.amdhsa_user_sgpr_queue_ptr 0
		.amdhsa_user_sgpr_kernarg_segment_ptr 1
		.amdhsa_user_sgpr_dispatch_id 0
		.amdhsa_user_sgpr_private_segment_size 0
		.amdhsa_wavefront_size32 1
		.amdhsa_uses_dynamic_stack 0
		.amdhsa_enable_private_segment 0
		.amdhsa_system_sgpr_workgroup_id_x 1
		.amdhsa_system_sgpr_workgroup_id_y 1
		.amdhsa_system_sgpr_workgroup_id_z 1
		.amdhsa_system_sgpr_workgroup_info 0
		.amdhsa_system_vgpr_workitem_id 0
		.amdhsa_next_free_vgpr 16
		.amdhsa_next_free_sgpr 27
		.amdhsa_reserve_vcc 1
		.amdhsa_float_round_mode_32 0
		.amdhsa_float_round_mode_16_64 0
		.amdhsa_float_denorm_mode_32 3
		.amdhsa_float_denorm_mode_16_64 3
		.amdhsa_dx10_clamp 1
		.amdhsa_ieee_mode 1
		.amdhsa_fp16_overflow 0
		.amdhsa_workgroup_processor_mode 1
		.amdhsa_memory_ordered 1
		.amdhsa_forward_progress 0
		.amdhsa_shared_vgpr_count 0
		.amdhsa_exception_fp_ieee_invalid_op 0
		.amdhsa_exception_fp_denorm_src 0
		.amdhsa_exception_fp_ieee_div_zero 0
		.amdhsa_exception_fp_ieee_overflow 0
		.amdhsa_exception_fp_ieee_underflow 0
		.amdhsa_exception_fp_ieee_inexact 0
		.amdhsa_exception_int_div_zero 0
	.end_amdhsa_kernel
	.section	.text._ZN7rocprim17ROCPRIM_304000_NS6detail35device_block_merge_mergepath_kernelINS1_37wrapped_merge_sort_block_merge_configINS0_14default_configEhN2at4cuda3cub6detail10OpaqueTypeILi8EEEEEPhSC_PSA_SD_jNS1_19radix_merge_compareILb1ELb1EhNS0_19identity_decomposerEEEEEvT0_T1_T2_T3_T4_SL_jT5_PKSL_NS1_7vsmem_tE,"axG",@progbits,_ZN7rocprim17ROCPRIM_304000_NS6detail35device_block_merge_mergepath_kernelINS1_37wrapped_merge_sort_block_merge_configINS0_14default_configEhN2at4cuda3cub6detail10OpaqueTypeILi8EEEEEPhSC_PSA_SD_jNS1_19radix_merge_compareILb1ELb1EhNS0_19identity_decomposerEEEEEvT0_T1_T2_T3_T4_SL_jT5_PKSL_NS1_7vsmem_tE,comdat
.Lfunc_end8:
	.size	_ZN7rocprim17ROCPRIM_304000_NS6detail35device_block_merge_mergepath_kernelINS1_37wrapped_merge_sort_block_merge_configINS0_14default_configEhN2at4cuda3cub6detail10OpaqueTypeILi8EEEEEPhSC_PSA_SD_jNS1_19radix_merge_compareILb1ELb1EhNS0_19identity_decomposerEEEEEvT0_T1_T2_T3_T4_SL_jT5_PKSL_NS1_7vsmem_tE, .Lfunc_end8-_ZN7rocprim17ROCPRIM_304000_NS6detail35device_block_merge_mergepath_kernelINS1_37wrapped_merge_sort_block_merge_configINS0_14default_configEhN2at4cuda3cub6detail10OpaqueTypeILi8EEEEEPhSC_PSA_SD_jNS1_19radix_merge_compareILb1ELb1EhNS0_19identity_decomposerEEEEEvT0_T1_T2_T3_T4_SL_jT5_PKSL_NS1_7vsmem_tE
                                        ; -- End function
	.section	.AMDGPU.csdata,"",@progbits
; Kernel info:
; codeLenInByte = 2432
; NumSgprs: 29
; NumVgprs: 16
; ScratchSize: 0
; MemoryBound: 1
; FloatMode: 240
; IeeeMode: 1
; LDSByteSize: 8208 bytes/workgroup (compile time only)
; SGPRBlocks: 3
; VGPRBlocks: 1
; NumSGPRsForWavesPerEU: 29
; NumVGPRsForWavesPerEU: 16
; Occupancy: 16
; WaveLimiterHint : 1
; COMPUTE_PGM_RSRC2:SCRATCH_EN: 0
; COMPUTE_PGM_RSRC2:USER_SGPR: 13
; COMPUTE_PGM_RSRC2:TRAP_HANDLER: 0
; COMPUTE_PGM_RSRC2:TGID_X_EN: 1
; COMPUTE_PGM_RSRC2:TGID_Y_EN: 1
; COMPUTE_PGM_RSRC2:TGID_Z_EN: 1
; COMPUTE_PGM_RSRC2:TIDIG_COMP_CNT: 0
	.section	.text._ZN7rocprim17ROCPRIM_304000_NS6detail33device_block_merge_oddeven_kernelINS1_37wrapped_merge_sort_block_merge_configINS0_14default_configEhN2at4cuda3cub6detail10OpaqueTypeILi8EEEEEPhSC_PSA_SD_jNS1_19radix_merge_compareILb1ELb1EhNS0_19identity_decomposerEEEEEvT0_T1_T2_T3_T4_SL_T5_,"axG",@progbits,_ZN7rocprim17ROCPRIM_304000_NS6detail33device_block_merge_oddeven_kernelINS1_37wrapped_merge_sort_block_merge_configINS0_14default_configEhN2at4cuda3cub6detail10OpaqueTypeILi8EEEEEPhSC_PSA_SD_jNS1_19radix_merge_compareILb1ELb1EhNS0_19identity_decomposerEEEEEvT0_T1_T2_T3_T4_SL_T5_,comdat
	.protected	_ZN7rocprim17ROCPRIM_304000_NS6detail33device_block_merge_oddeven_kernelINS1_37wrapped_merge_sort_block_merge_configINS0_14default_configEhN2at4cuda3cub6detail10OpaqueTypeILi8EEEEEPhSC_PSA_SD_jNS1_19radix_merge_compareILb1ELb1EhNS0_19identity_decomposerEEEEEvT0_T1_T2_T3_T4_SL_T5_ ; -- Begin function _ZN7rocprim17ROCPRIM_304000_NS6detail33device_block_merge_oddeven_kernelINS1_37wrapped_merge_sort_block_merge_configINS0_14default_configEhN2at4cuda3cub6detail10OpaqueTypeILi8EEEEEPhSC_PSA_SD_jNS1_19radix_merge_compareILb1ELb1EhNS0_19identity_decomposerEEEEEvT0_T1_T2_T3_T4_SL_T5_
	.globl	_ZN7rocprim17ROCPRIM_304000_NS6detail33device_block_merge_oddeven_kernelINS1_37wrapped_merge_sort_block_merge_configINS0_14default_configEhN2at4cuda3cub6detail10OpaqueTypeILi8EEEEEPhSC_PSA_SD_jNS1_19radix_merge_compareILb1ELb1EhNS0_19identity_decomposerEEEEEvT0_T1_T2_T3_T4_SL_T5_
	.p2align	8
	.type	_ZN7rocprim17ROCPRIM_304000_NS6detail33device_block_merge_oddeven_kernelINS1_37wrapped_merge_sort_block_merge_configINS0_14default_configEhN2at4cuda3cub6detail10OpaqueTypeILi8EEEEEPhSC_PSA_SD_jNS1_19radix_merge_compareILb1ELb1EhNS0_19identity_decomposerEEEEEvT0_T1_T2_T3_T4_SL_T5_,@function
_ZN7rocprim17ROCPRIM_304000_NS6detail33device_block_merge_oddeven_kernelINS1_37wrapped_merge_sort_block_merge_configINS0_14default_configEhN2at4cuda3cub6detail10OpaqueTypeILi8EEEEEPhSC_PSA_SD_jNS1_19radix_merge_compareILb1ELb1EhNS0_19identity_decomposerEEEEEvT0_T1_T2_T3_T4_SL_T5_: ; @_ZN7rocprim17ROCPRIM_304000_NS6detail33device_block_merge_oddeven_kernelINS1_37wrapped_merge_sort_block_merge_configINS0_14default_configEhN2at4cuda3cub6detail10OpaqueTypeILi8EEEEEPhSC_PSA_SD_jNS1_19radix_merge_compareILb1ELb1EhNS0_19identity_decomposerEEEEEvT0_T1_T2_T3_T4_SL_T5_
; %bb.0:
	s_load_b128 s[16:19], s[0:1], 0x20
	s_waitcnt lgkmcnt(0)
	s_lshr_b32 s2, s16, 8
	s_delay_alu instid0(SALU_CYCLE_1) | instskip(SKIP_4) | instid1(SALU_CYCLE_1)
	s_cmp_lg_u32 s15, s2
	s_cselect_b32 s4, -1, 0
	s_cmp_eq_u32 s15, s2
	s_cselect_b32 s3, -1, 0
	s_lshl_b32 s12, s15, 8
	s_sub_i32 s2, s16, s12
	s_delay_alu instid0(SALU_CYCLE_1) | instskip(NEXT) | instid1(VALU_DEP_1)
	v_cmp_gt_u32_e64 s2, s2, v0
	s_or_b32 s4, s4, s2
	s_delay_alu instid0(SALU_CYCLE_1)
	s_and_saveexec_b32 s5, s4
	s_cbranch_execz .LBB9_26
; %bb.1:
	s_load_b256 s[4:11], s[0:1], 0x0
	s_mov_b32 s13, 0
	v_lshlrev_b32_e32 v1, 3, v0
	v_add_nc_u32_e32 v5, s12, v0
	s_waitcnt lgkmcnt(0)
	s_add_u32 s0, s4, s12
	s_addc_u32 s1, s5, 0
	s_lshl_b64 s[20:21], s[12:13], 3
	s_delay_alu instid0(SALU_CYCLE_1) | instskip(SKIP_4) | instid1(SALU_CYCLE_1)
	s_add_u32 s8, s8, s20
	s_addc_u32 s9, s9, s21
	global_load_b64 v[1:2], v1, s[8:9]
	global_load_u8 v7, v0, s[0:1]
	s_lshr_b32 s0, s17, 8
	s_sub_i32 s1, 0, s0
	s_delay_alu instid0(SALU_CYCLE_1) | instskip(NEXT) | instid1(SALU_CYCLE_1)
	s_and_b32 s1, s15, s1
	s_and_b32 s0, s1, s0
	s_lshl_b32 s9, s1, 8
	s_sub_i32 s1, 0, s17
	s_cmp_eq_u32 s0, 0
	s_cselect_b32 s0, -1, 0
	s_delay_alu instid0(SALU_CYCLE_1) | instskip(SKIP_1) | instid1(SALU_CYCLE_1)
	s_and_b32 s8, s0, exec_lo
	s_cselect_b32 s1, s17, s1
	s_add_i32 s1, s1, s9
	s_delay_alu instid0(SALU_CYCLE_1)
	s_cmp_lt_u32 s1, s16
	s_cbranch_scc1 .LBB9_6
; %bb.2:
	s_and_b32 vcc_lo, exec_lo, s3
	s_cbranch_vccz .LBB9_7
; %bb.3:
	s_mov_b32 s8, 0
	s_mov_b32 s12, exec_lo
                                        ; implicit-def: $vgpr3_vgpr4
	v_cmpx_gt_u32_e64 s16, v5
	s_cbranch_execz .LBB9_5
; %bb.4:
	v_mov_b32_e32 v6, 0
	s_mov_b32 s13, exec_lo
	s_waitcnt vmcnt(0)
	global_store_b8 v5, v7, s[6:7]
	v_lshlrev_b64 v[3:4], 3, v[5:6]
	s_delay_alu instid0(VALU_DEP_1) | instskip(NEXT) | instid1(VALU_DEP_2)
	v_add_co_u32 v3, vcc_lo, s10, v3
	v_add_co_ci_u32_e32 v4, vcc_lo, s11, v4, vcc_lo
.LBB9_5:
	s_or_b32 exec_lo, exec_lo, s12
	s_delay_alu instid0(SALU_CYCLE_1)
	s_and_b32 vcc_lo, exec_lo, s8
	s_cbranch_vccnz .LBB9_8
	s_branch .LBB9_9
.LBB9_6:
                                        ; implicit-def: $vgpr3_vgpr4
	s_cbranch_execnz .LBB9_10
	s_branch .LBB9_24
.LBB9_7:
                                        ; implicit-def: $vgpr3_vgpr4
	s_cbranch_execz .LBB9_9
.LBB9_8:
	v_mov_b32_e32 v6, 0
	s_or_b32 s13, s13, exec_lo
	s_waitcnt vmcnt(0)
	global_store_b8 v5, v7, s[6:7]
	v_lshlrev_b64 v[3:4], 3, v[5:6]
	s_delay_alu instid0(VALU_DEP_1) | instskip(NEXT) | instid1(VALU_DEP_2)
	v_add_co_u32 v3, vcc_lo, s10, v3
	v_add_co_ci_u32_e32 v4, vcc_lo, s11, v4, vcc_lo
.LBB9_9:
	s_branch .LBB9_24
.LBB9_10:
	s_min_u32 s8, s1, s16
	s_and_b32 vcc_lo, exec_lo, s3
	s_add_i32 s12, s9, s8
	s_min_u32 s9, s9, s8
	v_subrev_nc_u32_e32 v0, s12, v5
	s_add_i32 s12, s8, s17
	s_delay_alu instid0(SALU_CYCLE_1) | instskip(NEXT) | instid1(VALU_DEP_1)
	s_min_u32 s3, s12, s16
	v_add_nc_u32_e32 v0, s9, v0
	s_cbranch_vccz .LBB9_18
; %bb.11:
                                        ; implicit-def: $vgpr3_vgpr4
	s_and_saveexec_b32 s9, s2
	s_cbranch_execz .LBB9_17
; %bb.12:
	v_mov_b32_e32 v3, s8
	s_cmp_ge_u32 s1, s3
	s_cbranch_scc1 .LBB9_16
; %bb.13:
	s_waitcnt vmcnt(0)
	v_dual_mov_b32 v3, s8 :: v_dual_and_b32 v6, s18, v7
	v_mov_b32_e32 v4, s3
	v_and_b32_e64 v5, 0xff, s18
	s_mov_b32 s2, 0
	s_delay_alu instid0(VALU_DEP_3)
	v_and_b32_e32 v6, 0xff, v6
	.p2align	6
.LBB9_14:                               ; =>This Inner Loop Header: Depth=1
	s_delay_alu instid0(VALU_DEP_3) | instskip(NEXT) | instid1(VALU_DEP_1)
	v_add_nc_u32_e32 v8, v3, v4
	v_lshrrev_b32_e32 v8, 1, v8
	global_load_u8 v9, v8, s[4:5]
	s_waitcnt vmcnt(0)
	v_and_b32_e32 v9, v9, v5
	s_delay_alu instid0(VALU_DEP_1) | instskip(SKIP_3) | instid1(VALU_DEP_1)
	v_cmp_gt_u16_e32 vcc_lo, v9, v6
	v_cndmask_b32_e64 v10, 0, 1, vcc_lo
	v_cmp_le_u16_e32 vcc_lo, v6, v9
	v_cndmask_b32_e64 v9, 0, 1, vcc_lo
	v_cndmask_b32_e64 v9, v9, v10, s0
	v_add_nc_u32_e32 v10, 1, v8
	s_delay_alu instid0(VALU_DEP_2) | instskip(NEXT) | instid1(VALU_DEP_1)
	v_and_b32_e32 v9, 1, v9
	v_cmp_eq_u32_e32 vcc_lo, 1, v9
	s_delay_alu instid0(VALU_DEP_3) | instskip(NEXT) | instid1(VALU_DEP_1)
	v_dual_cndmask_b32 v4, v8, v4 :: v_dual_cndmask_b32 v3, v3, v10
	v_cmp_ge_u32_e32 vcc_lo, v3, v4
	s_or_b32 s2, vcc_lo, s2
	s_delay_alu instid0(SALU_CYCLE_1)
	s_and_not1_b32 exec_lo, exec_lo, s2
	s_cbranch_execnz .LBB9_14
; %bb.15:
	s_or_b32 exec_lo, exec_lo, s2
.LBB9_16:
	s_delay_alu instid0(VALU_DEP_1) | instskip(SKIP_4) | instid1(VALU_DEP_1)
	v_dual_mov_b32 v6, 0 :: v_dual_add_nc_u32 v5, v3, v0
	s_or_b32 s13, s13, exec_lo
	s_waitcnt vmcnt(0)
	global_store_b8 v5, v7, s[6:7]
	v_lshlrev_b64 v[3:4], 3, v[5:6]
	v_add_co_u32 v3, vcc_lo, s10, v3
	s_delay_alu instid0(VALU_DEP_2)
	v_add_co_ci_u32_e32 v4, vcc_lo, s11, v4, vcc_lo
.LBB9_17:
	s_or_b32 exec_lo, exec_lo, s9
	s_branch .LBB9_24
.LBB9_18:
                                        ; implicit-def: $vgpr3_vgpr4
	s_cbranch_execz .LBB9_24
; %bb.19:
	v_mov_b32_e32 v3, s8
	s_cmp_ge_u32 s1, s3
	s_cbranch_scc1 .LBB9_23
; %bb.20:
	s_waitcnt vmcnt(0)
	v_dual_mov_b32 v3, s8 :: v_dual_and_b32 v6, s18, v7
	v_mov_b32_e32 v4, s3
	v_and_b32_e64 v5, 0xff, s18
	s_mov_b32 s1, 0
	s_delay_alu instid0(VALU_DEP_3)
	v_and_b32_e32 v6, 0xff, v6
	.p2align	6
.LBB9_21:                               ; =>This Inner Loop Header: Depth=1
	s_delay_alu instid0(VALU_DEP_3) | instskip(NEXT) | instid1(VALU_DEP_1)
	v_add_nc_u32_e32 v8, v3, v4
	v_lshrrev_b32_e32 v8, 1, v8
	global_load_u8 v9, v8, s[4:5]
	s_waitcnt vmcnt(0)
	v_and_b32_e32 v9, v9, v5
	s_delay_alu instid0(VALU_DEP_1) | instskip(SKIP_3) | instid1(VALU_DEP_1)
	v_cmp_gt_u16_e32 vcc_lo, v9, v6
	v_cndmask_b32_e64 v10, 0, 1, vcc_lo
	v_cmp_le_u16_e32 vcc_lo, v6, v9
	v_cndmask_b32_e64 v9, 0, 1, vcc_lo
	v_cndmask_b32_e64 v9, v9, v10, s0
	v_add_nc_u32_e32 v10, 1, v8
	s_delay_alu instid0(VALU_DEP_2) | instskip(NEXT) | instid1(VALU_DEP_1)
	v_and_b32_e32 v9, 1, v9
	v_cmp_eq_u32_e32 vcc_lo, 1, v9
	s_delay_alu instid0(VALU_DEP_3) | instskip(NEXT) | instid1(VALU_DEP_1)
	v_dual_cndmask_b32 v4, v8, v4 :: v_dual_cndmask_b32 v3, v3, v10
	v_cmp_ge_u32_e32 vcc_lo, v3, v4
	s_or_b32 s1, vcc_lo, s1
	s_delay_alu instid0(SALU_CYCLE_1)
	s_and_not1_b32 exec_lo, exec_lo, s1
	s_cbranch_execnz .LBB9_21
; %bb.22:
	s_or_b32 exec_lo, exec_lo, s1
.LBB9_23:
	s_delay_alu instid0(VALU_DEP_1) | instskip(SKIP_4) | instid1(VALU_DEP_1)
	v_dual_mov_b32 v6, 0 :: v_dual_add_nc_u32 v5, v3, v0
	s_mov_b32 s13, -1
	s_waitcnt vmcnt(0)
	global_store_b8 v5, v7, s[6:7]
	v_lshlrev_b64 v[3:4], 3, v[5:6]
	v_add_co_u32 v3, vcc_lo, s10, v3
	s_delay_alu instid0(VALU_DEP_2)
	v_add_co_ci_u32_e32 v4, vcc_lo, s11, v4, vcc_lo
.LBB9_24:
	s_and_b32 exec_lo, exec_lo, s13
	s_cbranch_execz .LBB9_26
; %bb.25:
	s_waitcnt vmcnt(1)
	global_store_b64 v[3:4], v[1:2], off
.LBB9_26:
	s_nop 0
	s_sendmsg sendmsg(MSG_DEALLOC_VGPRS)
	s_endpgm
	.section	.rodata,"a",@progbits
	.p2align	6, 0x0
	.amdhsa_kernel _ZN7rocprim17ROCPRIM_304000_NS6detail33device_block_merge_oddeven_kernelINS1_37wrapped_merge_sort_block_merge_configINS0_14default_configEhN2at4cuda3cub6detail10OpaqueTypeILi8EEEEEPhSC_PSA_SD_jNS1_19radix_merge_compareILb1ELb1EhNS0_19identity_decomposerEEEEEvT0_T1_T2_T3_T4_SL_T5_
		.amdhsa_group_segment_fixed_size 0
		.amdhsa_private_segment_fixed_size 0
		.amdhsa_kernarg_size 44
		.amdhsa_user_sgpr_count 15
		.amdhsa_user_sgpr_dispatch_ptr 0
		.amdhsa_user_sgpr_queue_ptr 0
		.amdhsa_user_sgpr_kernarg_segment_ptr 1
		.amdhsa_user_sgpr_dispatch_id 0
		.amdhsa_user_sgpr_private_segment_size 0
		.amdhsa_wavefront_size32 1
		.amdhsa_uses_dynamic_stack 0
		.amdhsa_enable_private_segment 0
		.amdhsa_system_sgpr_workgroup_id_x 1
		.amdhsa_system_sgpr_workgroup_id_y 0
		.amdhsa_system_sgpr_workgroup_id_z 0
		.amdhsa_system_sgpr_workgroup_info 0
		.amdhsa_system_vgpr_workitem_id 0
		.amdhsa_next_free_vgpr 11
		.amdhsa_next_free_sgpr 22
		.amdhsa_reserve_vcc 1
		.amdhsa_float_round_mode_32 0
		.amdhsa_float_round_mode_16_64 0
		.amdhsa_float_denorm_mode_32 3
		.amdhsa_float_denorm_mode_16_64 3
		.amdhsa_dx10_clamp 1
		.amdhsa_ieee_mode 1
		.amdhsa_fp16_overflow 0
		.amdhsa_workgroup_processor_mode 1
		.amdhsa_memory_ordered 1
		.amdhsa_forward_progress 0
		.amdhsa_shared_vgpr_count 0
		.amdhsa_exception_fp_ieee_invalid_op 0
		.amdhsa_exception_fp_denorm_src 0
		.amdhsa_exception_fp_ieee_div_zero 0
		.amdhsa_exception_fp_ieee_overflow 0
		.amdhsa_exception_fp_ieee_underflow 0
		.amdhsa_exception_fp_ieee_inexact 0
		.amdhsa_exception_int_div_zero 0
	.end_amdhsa_kernel
	.section	.text._ZN7rocprim17ROCPRIM_304000_NS6detail33device_block_merge_oddeven_kernelINS1_37wrapped_merge_sort_block_merge_configINS0_14default_configEhN2at4cuda3cub6detail10OpaqueTypeILi8EEEEEPhSC_PSA_SD_jNS1_19radix_merge_compareILb1ELb1EhNS0_19identity_decomposerEEEEEvT0_T1_T2_T3_T4_SL_T5_,"axG",@progbits,_ZN7rocprim17ROCPRIM_304000_NS6detail33device_block_merge_oddeven_kernelINS1_37wrapped_merge_sort_block_merge_configINS0_14default_configEhN2at4cuda3cub6detail10OpaqueTypeILi8EEEEEPhSC_PSA_SD_jNS1_19radix_merge_compareILb1ELb1EhNS0_19identity_decomposerEEEEEvT0_T1_T2_T3_T4_SL_T5_,comdat
.Lfunc_end9:
	.size	_ZN7rocprim17ROCPRIM_304000_NS6detail33device_block_merge_oddeven_kernelINS1_37wrapped_merge_sort_block_merge_configINS0_14default_configEhN2at4cuda3cub6detail10OpaqueTypeILi8EEEEEPhSC_PSA_SD_jNS1_19radix_merge_compareILb1ELb1EhNS0_19identity_decomposerEEEEEvT0_T1_T2_T3_T4_SL_T5_, .Lfunc_end9-_ZN7rocprim17ROCPRIM_304000_NS6detail33device_block_merge_oddeven_kernelINS1_37wrapped_merge_sort_block_merge_configINS0_14default_configEhN2at4cuda3cub6detail10OpaqueTypeILi8EEEEEPhSC_PSA_SD_jNS1_19radix_merge_compareILb1ELb1EhNS0_19identity_decomposerEEEEEvT0_T1_T2_T3_T4_SL_T5_
                                        ; -- End function
	.section	.AMDGPU.csdata,"",@progbits
; Kernel info:
; codeLenInByte = 892
; NumSgprs: 24
; NumVgprs: 11
; ScratchSize: 0
; MemoryBound: 0
; FloatMode: 240
; IeeeMode: 1
; LDSByteSize: 0 bytes/workgroup (compile time only)
; SGPRBlocks: 2
; VGPRBlocks: 1
; NumSGPRsForWavesPerEU: 24
; NumVGPRsForWavesPerEU: 11
; Occupancy: 16
; WaveLimiterHint : 0
; COMPUTE_PGM_RSRC2:SCRATCH_EN: 0
; COMPUTE_PGM_RSRC2:USER_SGPR: 15
; COMPUTE_PGM_RSRC2:TRAP_HANDLER: 0
; COMPUTE_PGM_RSRC2:TGID_X_EN: 1
; COMPUTE_PGM_RSRC2:TGID_Y_EN: 0
; COMPUTE_PGM_RSRC2:TGID_Z_EN: 0
; COMPUTE_PGM_RSRC2:TIDIG_COMP_CNT: 0
	.section	.text._ZN7rocprim17ROCPRIM_304000_NS6detail26onesweep_histograms_kernelINS1_34wrapped_radix_sort_onesweep_configINS0_14default_configEhN2at4cuda3cub6detail10OpaqueTypeILi8EEEEELb1EPKhmNS0_19identity_decomposerEEEvT1_PT2_SG_SG_T3_jj,"axG",@progbits,_ZN7rocprim17ROCPRIM_304000_NS6detail26onesweep_histograms_kernelINS1_34wrapped_radix_sort_onesweep_configINS0_14default_configEhN2at4cuda3cub6detail10OpaqueTypeILi8EEEEELb1EPKhmNS0_19identity_decomposerEEEvT1_PT2_SG_SG_T3_jj,comdat
	.protected	_ZN7rocprim17ROCPRIM_304000_NS6detail26onesweep_histograms_kernelINS1_34wrapped_radix_sort_onesweep_configINS0_14default_configEhN2at4cuda3cub6detail10OpaqueTypeILi8EEEEELb1EPKhmNS0_19identity_decomposerEEEvT1_PT2_SG_SG_T3_jj ; -- Begin function _ZN7rocprim17ROCPRIM_304000_NS6detail26onesweep_histograms_kernelINS1_34wrapped_radix_sort_onesweep_configINS0_14default_configEhN2at4cuda3cub6detail10OpaqueTypeILi8EEEEELb1EPKhmNS0_19identity_decomposerEEEvT1_PT2_SG_SG_T3_jj
	.globl	_ZN7rocprim17ROCPRIM_304000_NS6detail26onesweep_histograms_kernelINS1_34wrapped_radix_sort_onesweep_configINS0_14default_configEhN2at4cuda3cub6detail10OpaqueTypeILi8EEEEELb1EPKhmNS0_19identity_decomposerEEEvT1_PT2_SG_SG_T3_jj
	.p2align	8
	.type	_ZN7rocprim17ROCPRIM_304000_NS6detail26onesweep_histograms_kernelINS1_34wrapped_radix_sort_onesweep_configINS0_14default_configEhN2at4cuda3cub6detail10OpaqueTypeILi8EEEEELb1EPKhmNS0_19identity_decomposerEEEvT1_PT2_SG_SG_T3_jj,@function
_ZN7rocprim17ROCPRIM_304000_NS6detail26onesweep_histograms_kernelINS1_34wrapped_radix_sort_onesweep_configINS0_14default_configEhN2at4cuda3cub6detail10OpaqueTypeILi8EEEEELb1EPKhmNS0_19identity_decomposerEEEvT1_PT2_SG_SG_T3_jj: ; @_ZN7rocprim17ROCPRIM_304000_NS6detail26onesweep_histograms_kernelINS1_34wrapped_radix_sort_onesweep_configINS0_14default_configEhN2at4cuda3cub6detail10OpaqueTypeILi8EEEEELb1EPKhmNS0_19identity_decomposerEEEvT1_PT2_SG_SG_T3_jj
; %bb.0:
	s_clause 0x1
	s_load_b256 s[20:27], s[0:1], 0x0
	s_load_b64 s[28:29], s[0:1], 0x24
	s_mov_b32 s2, s15
	s_mov_b32 s3, 0
	s_mul_i32 s1, s15, 0x1600
	s_waitcnt lgkmcnt(0)
	v_cmp_ge_u64_e64 s0, s[2:3], s[26:27]
	s_mul_hi_u32 s2, s15, 0x1600
	s_add_u32 s30, s20, s1
	s_addc_u32 s31, s21, s2
	s_delay_alu instid0(VALU_DEP_1)
	s_and_b32 vcc_lo, exec_lo, s0
	s_mov_b32 s0, -1
	s_cbranch_vccz .LBB10_142
; %bb.1:
	s_mul_i32 s21, s26, 0xffffea00
	v_add_co_u32 v1, s0, s30, v0
	s_add_i32 s21, s21, s24
	v_add_co_ci_u32_e64 v2, null, s31, 0, s0
	v_cmp_gt_u32_e64 s20, s21, v0
                                        ; implicit-def: $vgpr24
	s_delay_alu instid0(VALU_DEP_1)
	s_and_saveexec_b32 s0, s20
	s_cbranch_execz .LBB10_3
; %bb.2:
	global_load_u8 v24, v[1:2], off
.LBB10_3:
	s_or_b32 exec_lo, exec_lo, s0
	v_or_b32_e32 v3, 0x100, v0
                                        ; implicit-def: $vgpr23
	s_delay_alu instid0(VALU_DEP_1) | instskip(NEXT) | instid1(VALU_DEP_1)
	v_cmp_gt_u32_e64 s19, s21, v3
	s_and_saveexec_b32 s0, s19
	s_cbranch_execz .LBB10_5
; %bb.4:
	global_load_u8 v23, v[1:2], off offset:256
.LBB10_5:
	s_or_b32 exec_lo, exec_lo, s0
	v_or_b32_e32 v3, 0x200, v0
                                        ; implicit-def: $vgpr22
	s_delay_alu instid0(VALU_DEP_1) | instskip(NEXT) | instid1(VALU_DEP_1)
	v_cmp_gt_u32_e64 s18, s21, v3
	s_and_saveexec_b32 s0, s18
	s_cbranch_execz .LBB10_7
; %bb.6:
	global_load_u8 v22, v[1:2], off offset:512
.LBB10_7:
	s_or_b32 exec_lo, exec_lo, s0
	v_or_b32_e32 v3, 0x300, v0
                                        ; implicit-def: $vgpr21
	s_delay_alu instid0(VALU_DEP_1) | instskip(NEXT) | instid1(VALU_DEP_1)
	v_cmp_gt_u32_e64 s17, s21, v3
	s_and_saveexec_b32 s0, s17
	s_cbranch_execz .LBB10_9
; %bb.8:
	global_load_u8 v21, v[1:2], off offset:768
.LBB10_9:
	s_or_b32 exec_lo, exec_lo, s0
	v_or_b32_e32 v3, 0x400, v0
                                        ; implicit-def: $vgpr20
	s_delay_alu instid0(VALU_DEP_1) | instskip(NEXT) | instid1(VALU_DEP_1)
	v_cmp_gt_u32_e64 s16, s21, v3
	s_and_saveexec_b32 s0, s16
	s_cbranch_execz .LBB10_11
; %bb.10:
	global_load_u8 v20, v[1:2], off offset:1024
.LBB10_11:
	s_or_b32 exec_lo, exec_lo, s0
	v_or_b32_e32 v3, 0x500, v0
                                        ; implicit-def: $vgpr19
	s_delay_alu instid0(VALU_DEP_1) | instskip(NEXT) | instid1(VALU_DEP_1)
	v_cmp_gt_u32_e64 s15, s21, v3
	s_and_saveexec_b32 s0, s15
	s_cbranch_execz .LBB10_13
; %bb.12:
	global_load_u8 v19, v[1:2], off offset:1280
.LBB10_13:
	s_or_b32 exec_lo, exec_lo, s0
	v_or_b32_e32 v3, 0x600, v0
                                        ; implicit-def: $vgpr18
	s_delay_alu instid0(VALU_DEP_1) | instskip(NEXT) | instid1(VALU_DEP_1)
	v_cmp_gt_u32_e64 s14, s21, v3
	s_and_saveexec_b32 s0, s14
	s_cbranch_execz .LBB10_15
; %bb.14:
	global_load_u8 v18, v[1:2], off offset:1536
.LBB10_15:
	s_or_b32 exec_lo, exec_lo, s0
	v_or_b32_e32 v3, 0x700, v0
                                        ; implicit-def: $vgpr17
	s_delay_alu instid0(VALU_DEP_1) | instskip(NEXT) | instid1(VALU_DEP_1)
	v_cmp_gt_u32_e64 s13, s21, v3
	s_and_saveexec_b32 s0, s13
	s_cbranch_execz .LBB10_17
; %bb.16:
	global_load_u8 v17, v[1:2], off offset:1792
.LBB10_17:
	s_or_b32 exec_lo, exec_lo, s0
	v_or_b32_e32 v3, 0x800, v0
                                        ; implicit-def: $vgpr16
	s_delay_alu instid0(VALU_DEP_1) | instskip(NEXT) | instid1(VALU_DEP_1)
	v_cmp_gt_u32_e64 s12, s21, v3
	s_and_saveexec_b32 s0, s12
	s_cbranch_execz .LBB10_19
; %bb.18:
	global_load_u8 v16, v[1:2], off offset:2048
.LBB10_19:
	s_or_b32 exec_lo, exec_lo, s0
	v_or_b32_e32 v3, 0x900, v0
                                        ; implicit-def: $vgpr15
	s_delay_alu instid0(VALU_DEP_1) | instskip(NEXT) | instid1(VALU_DEP_1)
	v_cmp_gt_u32_e64 s11, s21, v3
	s_and_saveexec_b32 s0, s11
	s_cbranch_execz .LBB10_21
; %bb.20:
	global_load_u8 v15, v[1:2], off offset:2304
.LBB10_21:
	s_or_b32 exec_lo, exec_lo, s0
	v_or_b32_e32 v3, 0xa00, v0
                                        ; implicit-def: $vgpr14
	s_delay_alu instid0(VALU_DEP_1) | instskip(NEXT) | instid1(VALU_DEP_1)
	v_cmp_gt_u32_e64 s10, s21, v3
	s_and_saveexec_b32 s0, s10
	s_cbranch_execz .LBB10_23
; %bb.22:
	global_load_u8 v14, v[1:2], off offset:2560
.LBB10_23:
	s_or_b32 exec_lo, exec_lo, s0
	v_or_b32_e32 v3, 0xb00, v0
                                        ; implicit-def: $vgpr13
	s_delay_alu instid0(VALU_DEP_1) | instskip(NEXT) | instid1(VALU_DEP_1)
	v_cmp_gt_u32_e64 s9, s21, v3
	s_and_saveexec_b32 s0, s9
	s_cbranch_execz .LBB10_25
; %bb.24:
	global_load_u8 v13, v[1:2], off offset:2816
.LBB10_25:
	s_or_b32 exec_lo, exec_lo, s0
	v_or_b32_e32 v3, 0xc00, v0
                                        ; implicit-def: $vgpr12
	s_delay_alu instid0(VALU_DEP_1) | instskip(NEXT) | instid1(VALU_DEP_1)
	v_cmp_gt_u32_e64 s8, s21, v3
	s_and_saveexec_b32 s0, s8
	s_cbranch_execz .LBB10_27
; %bb.26:
	global_load_u8 v12, v[1:2], off offset:3072
.LBB10_27:
	s_or_b32 exec_lo, exec_lo, s0
	v_or_b32_e32 v3, 0xd00, v0
                                        ; implicit-def: $vgpr11
	s_delay_alu instid0(VALU_DEP_1) | instskip(NEXT) | instid1(VALU_DEP_1)
	v_cmp_gt_u32_e64 s7, s21, v3
	s_and_saveexec_b32 s0, s7
	s_cbranch_execz .LBB10_29
; %bb.28:
	global_load_u8 v11, v[1:2], off offset:3328
.LBB10_29:
	s_or_b32 exec_lo, exec_lo, s0
	v_or_b32_e32 v3, 0xe00, v0
                                        ; implicit-def: $vgpr10
	s_delay_alu instid0(VALU_DEP_1) | instskip(NEXT) | instid1(VALU_DEP_1)
	v_cmp_gt_u32_e64 s6, s21, v3
	s_and_saveexec_b32 s0, s6
	s_cbranch_execz .LBB10_31
; %bb.30:
	global_load_u8 v10, v[1:2], off offset:3584
.LBB10_31:
	s_or_b32 exec_lo, exec_lo, s0
	v_or_b32_e32 v3, 0xf00, v0
                                        ; implicit-def: $vgpr9
	s_delay_alu instid0(VALU_DEP_1) | instskip(NEXT) | instid1(VALU_DEP_1)
	v_cmp_gt_u32_e64 s5, s21, v3
	s_and_saveexec_b32 s0, s5
	s_cbranch_execz .LBB10_33
; %bb.32:
	global_load_u8 v9, v[1:2], off offset:3840
.LBB10_33:
	s_or_b32 exec_lo, exec_lo, s0
	v_or_b32_e32 v3, 0x1000, v0
                                        ; implicit-def: $vgpr8
	s_delay_alu instid0(VALU_DEP_1) | instskip(NEXT) | instid1(VALU_DEP_1)
	v_cmp_gt_u32_e64 s4, s21, v3
	s_and_saveexec_b32 s0, s4
	s_cbranch_execz .LBB10_35
; %bb.34:
	v_add_co_u32 v3, vcc_lo, 0x1000, v1
	v_add_co_ci_u32_e32 v4, vcc_lo, 0, v2, vcc_lo
	global_load_u8 v8, v[3:4], off
.LBB10_35:
	s_or_b32 exec_lo, exec_lo, s0
	v_or_b32_e32 v3, 0x1100, v0
                                        ; implicit-def: $vgpr7
	s_delay_alu instid0(VALU_DEP_1) | instskip(NEXT) | instid1(VALU_DEP_1)
	v_cmp_gt_u32_e64 s3, s21, v3
	s_and_saveexec_b32 s0, s3
	s_cbranch_execz .LBB10_37
; %bb.36:
	v_add_co_u32 v3, vcc_lo, 0x1000, v1
	v_add_co_ci_u32_e32 v4, vcc_lo, 0, v2, vcc_lo
	global_load_u8 v7, v[3:4], off offset:256
.LBB10_37:
	s_or_b32 exec_lo, exec_lo, s0
	v_or_b32_e32 v3, 0x1200, v0
                                        ; implicit-def: $vgpr6
	s_delay_alu instid0(VALU_DEP_1) | instskip(NEXT) | instid1(VALU_DEP_1)
	v_cmp_gt_u32_e64 s2, s21, v3
	s_and_saveexec_b32 s0, s2
	s_cbranch_execz .LBB10_39
; %bb.38:
	v_add_co_u32 v3, vcc_lo, 0x1000, v1
	v_add_co_ci_u32_e32 v4, vcc_lo, 0, v2, vcc_lo
	global_load_u8 v6, v[3:4], off offset:512
.LBB10_39:
	s_or_b32 exec_lo, exec_lo, s0
	v_or_b32_e32 v3, 0x1300, v0
                                        ; implicit-def: $vgpr5
	s_delay_alu instid0(VALU_DEP_1) | instskip(NEXT) | instid1(VALU_DEP_1)
	v_cmp_gt_u32_e64 s1, s21, v3
	s_and_saveexec_b32 s0, s1
	s_cbranch_execz .LBB10_41
; %bb.40:
	v_add_co_u32 v3, vcc_lo, 0x1000, v1
	v_add_co_ci_u32_e32 v4, vcc_lo, 0, v2, vcc_lo
	global_load_u8 v5, v[3:4], off offset:768
.LBB10_41:
	s_or_b32 exec_lo, exec_lo, s0
	v_or_b32_e32 v3, 0x1400, v0
                                        ; implicit-def: $vgpr4
	s_delay_alu instid0(VALU_DEP_1) | instskip(NEXT) | instid1(VALU_DEP_1)
	v_cmp_gt_u32_e64 s0, s21, v3
	s_and_saveexec_b32 s24, s0
	s_cbranch_execz .LBB10_43
; %bb.42:
	v_add_co_u32 v3, vcc_lo, 0x1000, v1
	v_add_co_ci_u32_e32 v4, vcc_lo, 0, v2, vcc_lo
	global_load_u8 v4, v[3:4], off offset:1024
.LBB10_43:
	s_or_b32 exec_lo, exec_lo, s24
	v_or_b32_e32 v3, 0x1500, v0
	s_delay_alu instid0(VALU_DEP_1)
	v_cmp_gt_u32_e32 vcc_lo, s21, v3
                                        ; implicit-def: $vgpr3
	s_and_saveexec_b32 s24, vcc_lo
	s_cbranch_execz .LBB10_45
; %bb.44:
	v_add_co_u32 v1, s21, 0x1000, v1
	s_delay_alu instid0(VALU_DEP_1)
	v_add_co_ci_u32_e64 v2, s21, 0, v2, s21
	global_load_u8 v3, v[1:2], off offset:1280
.LBB10_45:
	s_or_b32 exec_lo, exec_lo, s24
	v_or_b32_e32 v1, 0xffffff00, v0
	v_dual_mov_b32 v25, 0 :: v_dual_lshlrev_b32 v2, 2, v0
	s_mov_b32 s24, 0
.LBB10_46:                              ; =>This Inner Loop Header: Depth=1
	s_delay_alu instid0(VALU_DEP_2) | instskip(SKIP_3) | instid1(VALU_DEP_1)
	v_add_nc_u32_e32 v1, 0x100, v1
	ds_store_b32 v2, v25
	v_add_nc_u32_e32 v2, 0x400, v2
	v_cmp_lt_u32_e64 s21, 0x2ff, v1
	s_or_b32 s24, s21, s24
	s_delay_alu instid0(SALU_CYCLE_1)
	s_and_not1_b32 exec_lo, exec_lo, s24
	s_cbranch_execnz .LBB10_46
; %bb.47:
	s_or_b32 exec_lo, exec_lo, s24
	s_cmp_gt_u32 s29, s28
	s_waitcnt vmcnt(0) lgkmcnt(0)
	s_cselect_b32 s21, -1, 0
	s_cmp_le_u32 s29, s28
	s_barrier
	buffer_gl0_inv
	s_cbranch_scc1 .LBB10_136
; %bb.48:
	v_and_b32_e32 v1, 3, v0
	v_xor_b32_e32 v2, -1, v24
	v_mov_b32_e32 v24, 1
	s_sub_i32 s24, s29, s28
	s_mov_b32 s26, s28
	v_lshlrev_b32_e32 v1, 2, v1
	v_and_b32_e32 v2, 0xff, v2
	s_mov_b32 s25, s24
	s_delay_alu instid0(VALU_DEP_2)
	v_mov_b32_e32 v25, v1
	s_branch .LBB10_50
	.p2align	6
.LBB10_49:                              ;   in Loop: Header=BB10_50 Depth=1
	s_or_b32 exec_lo, exec_lo, s27
	v_add_nc_u32_e32 v25, 0x1000, v25
	s_add_i32 s26, s26, 8
	s_add_i32 s25, s25, -8
	s_cmp_ge_u32 s26, s29
	s_cbranch_scc1 .LBB10_52
.LBB10_50:                              ; =>This Inner Loop Header: Depth=1
	s_and_saveexec_b32 s27, s20
	s_cbranch_execz .LBB10_49
; %bb.51:                               ;   in Loop: Header=BB10_50 Depth=1
	v_lshrrev_b32_e32 v26, s26, v2
	s_min_u32 s33, s25, 8
	s_delay_alu instid0(VALU_DEP_1) | instid1(SALU_CYCLE_1)
	v_bfe_u32 v26, v26, 0, s33
	s_delay_alu instid0(VALU_DEP_1)
	v_lshl_add_u32 v26, v26, 4, v25
	ds_add_u32 v26, v24
	s_branch .LBB10_49
.LBB10_52:
	v_xor_b32_e32 v23, -1, v23
	v_mov_b32_e32 v2, 1
	v_mov_b32_e32 v24, v1
	s_mov_b32 s20, s24
	s_mov_b32 s25, s28
	v_and_b32_e32 v23, 0xff, v23
	s_branch .LBB10_54
	.p2align	6
.LBB10_53:                              ;   in Loop: Header=BB10_54 Depth=1
	s_or_b32 exec_lo, exec_lo, s26
	v_add_nc_u32_e32 v24, 0x1000, v24
	s_add_i32 s25, s25, 8
	s_add_i32 s20, s20, -8
	s_cmp_lt_u32 s25, s29
	s_cbranch_scc0 .LBB10_56
.LBB10_54:                              ; =>This Inner Loop Header: Depth=1
	s_and_saveexec_b32 s26, s19
	s_cbranch_execz .LBB10_53
; %bb.55:                               ;   in Loop: Header=BB10_54 Depth=1
	s_delay_alu instid0(VALU_DEP_1)
	v_lshrrev_b32_e32 v25, s25, v23
	s_min_u32 s27, s20, 8
	s_delay_alu instid0(VALU_DEP_1) | instid1(SALU_CYCLE_1)
	v_bfe_u32 v25, v25, 0, s27
	s_delay_alu instid0(VALU_DEP_1)
	v_lshl_add_u32 v25, v25, 4, v24
	ds_add_u32 v25, v2
	s_branch .LBB10_53
.LBB10_56:
	v_xor_b32_e32 v22, -1, v22
	v_dual_mov_b32 v2, 1 :: v_dual_mov_b32 v23, v1
	s_mov_b32 s19, s24
	s_mov_b32 s20, s28
	s_delay_alu instid0(VALU_DEP_2)
	v_and_b32_e32 v22, 0xff, v22
	s_branch .LBB10_58
	.p2align	6
.LBB10_57:                              ;   in Loop: Header=BB10_58 Depth=1
	s_or_b32 exec_lo, exec_lo, s25
	v_add_nc_u32_e32 v23, 0x1000, v23
	s_add_i32 s20, s20, 8
	s_add_i32 s19, s19, -8
	s_cmp_lt_u32 s20, s29
	s_cbranch_scc0 .LBB10_60
.LBB10_58:                              ; =>This Inner Loop Header: Depth=1
	s_and_saveexec_b32 s25, s18
	s_cbranch_execz .LBB10_57
; %bb.59:                               ;   in Loop: Header=BB10_58 Depth=1
	s_delay_alu instid0(VALU_DEP_1)
	v_lshrrev_b32_e32 v24, s20, v22
	s_min_u32 s26, s19, 8
	s_delay_alu instid0(VALU_DEP_1) | instid1(SALU_CYCLE_1)
	v_bfe_u32 v24, v24, 0, s26
	s_delay_alu instid0(VALU_DEP_1)
	v_lshl_add_u32 v24, v24, 4, v23
	ds_add_u32 v24, v2
	s_branch .LBB10_57
.LBB10_60:
	v_xor_b32_e32 v21, -1, v21
	v_mov_b32_e32 v2, 1
	v_mov_b32_e32 v22, v1
	s_mov_b32 s18, s24
	s_mov_b32 s19, s28
	v_and_b32_e32 v21, 0xff, v21
	s_branch .LBB10_62
	.p2align	6
.LBB10_61:                              ;   in Loop: Header=BB10_62 Depth=1
	s_or_b32 exec_lo, exec_lo, s20
	v_add_nc_u32_e32 v22, 0x1000, v22
	s_add_i32 s19, s19, 8
	s_add_i32 s18, s18, -8
	s_cmp_lt_u32 s19, s29
	s_cbranch_scc0 .LBB10_64
.LBB10_62:                              ; =>This Inner Loop Header: Depth=1
	s_and_saveexec_b32 s20, s17
	s_cbranch_execz .LBB10_61
; %bb.63:                               ;   in Loop: Header=BB10_62 Depth=1
	s_delay_alu instid0(VALU_DEP_1)
	v_lshrrev_b32_e32 v23, s19, v21
	s_min_u32 s25, s18, 8
	s_delay_alu instid0(VALU_DEP_1) | instid1(SALU_CYCLE_1)
	v_bfe_u32 v23, v23, 0, s25
	s_delay_alu instid0(VALU_DEP_1)
	v_lshl_add_u32 v23, v23, 4, v22
	ds_add_u32 v23, v2
	s_branch .LBB10_61
.LBB10_64:
	v_xor_b32_e32 v20, -1, v20
	v_dual_mov_b32 v2, 1 :: v_dual_mov_b32 v21, v1
	s_mov_b32 s17, s24
	s_mov_b32 s18, s28
	s_delay_alu instid0(VALU_DEP_2)
	v_and_b32_e32 v20, 0xff, v20
	s_branch .LBB10_66
	.p2align	6
.LBB10_65:                              ;   in Loop: Header=BB10_66 Depth=1
	s_or_b32 exec_lo, exec_lo, s19
	v_add_nc_u32_e32 v21, 0x1000, v21
	s_add_i32 s18, s18, 8
	s_add_i32 s17, s17, -8
	s_cmp_lt_u32 s18, s29
	s_cbranch_scc0 .LBB10_68
.LBB10_66:                              ; =>This Inner Loop Header: Depth=1
	s_and_saveexec_b32 s19, s16
	s_cbranch_execz .LBB10_65
; %bb.67:                               ;   in Loop: Header=BB10_66 Depth=1
	s_delay_alu instid0(VALU_DEP_1)
	v_lshrrev_b32_e32 v22, s18, v20
	s_min_u32 s20, s17, 8
	s_delay_alu instid0(VALU_DEP_1) | instid1(SALU_CYCLE_1)
	v_bfe_u32 v22, v22, 0, s20
	s_delay_alu instid0(VALU_DEP_1)
	v_lshl_add_u32 v22, v22, 4, v21
	ds_add_u32 v22, v2
	s_branch .LBB10_65
.LBB10_68:
	v_xor_b32_e32 v19, -1, v19
	v_mov_b32_e32 v2, 1
	v_mov_b32_e32 v20, v1
	s_mov_b32 s16, s24
	s_mov_b32 s17, s28
	v_and_b32_e32 v19, 0xff, v19
	s_branch .LBB10_70
	.p2align	6
.LBB10_69:                              ;   in Loop: Header=BB10_70 Depth=1
	s_or_b32 exec_lo, exec_lo, s18
	v_add_nc_u32_e32 v20, 0x1000, v20
	s_add_i32 s17, s17, 8
	s_add_i32 s16, s16, -8
	s_cmp_lt_u32 s17, s29
	s_cbranch_scc0 .LBB10_72
.LBB10_70:                              ; =>This Inner Loop Header: Depth=1
	s_and_saveexec_b32 s18, s15
	s_cbranch_execz .LBB10_69
; %bb.71:                               ;   in Loop: Header=BB10_70 Depth=1
	s_delay_alu instid0(VALU_DEP_1)
	v_lshrrev_b32_e32 v21, s17, v19
	s_min_u32 s19, s16, 8
	s_delay_alu instid0(VALU_DEP_1) | instid1(SALU_CYCLE_1)
	v_bfe_u32 v21, v21, 0, s19
	s_delay_alu instid0(VALU_DEP_1)
	v_lshl_add_u32 v21, v21, 4, v20
	ds_add_u32 v21, v2
	s_branch .LBB10_69
.LBB10_72:
	v_xor_b32_e32 v18, -1, v18
	v_dual_mov_b32 v2, 1 :: v_dual_mov_b32 v19, v1
	s_mov_b32 s15, s24
	s_mov_b32 s16, s28
	s_delay_alu instid0(VALU_DEP_2)
	v_and_b32_e32 v18, 0xff, v18
	s_branch .LBB10_74
	.p2align	6
.LBB10_73:                              ;   in Loop: Header=BB10_74 Depth=1
	s_or_b32 exec_lo, exec_lo, s17
	v_add_nc_u32_e32 v19, 0x1000, v19
	s_add_i32 s16, s16, 8
	s_add_i32 s15, s15, -8
	s_cmp_lt_u32 s16, s29
	s_cbranch_scc0 .LBB10_76
.LBB10_74:                              ; =>This Inner Loop Header: Depth=1
	s_and_saveexec_b32 s17, s14
	s_cbranch_execz .LBB10_73
; %bb.75:                               ;   in Loop: Header=BB10_74 Depth=1
	s_delay_alu instid0(VALU_DEP_1)
	v_lshrrev_b32_e32 v20, s16, v18
	s_min_u32 s18, s15, 8
	s_delay_alu instid0(VALU_DEP_1) | instid1(SALU_CYCLE_1)
	v_bfe_u32 v20, v20, 0, s18
	s_delay_alu instid0(VALU_DEP_1)
	v_lshl_add_u32 v20, v20, 4, v19
	ds_add_u32 v20, v2
	s_branch .LBB10_73
.LBB10_76:
	v_xor_b32_e32 v17, -1, v17
	v_mov_b32_e32 v2, 1
	v_mov_b32_e32 v18, v1
	s_mov_b32 s14, s24
	s_mov_b32 s15, s28
	v_and_b32_e32 v17, 0xff, v17
	s_branch .LBB10_78
	.p2align	6
.LBB10_77:                              ;   in Loop: Header=BB10_78 Depth=1
	s_or_b32 exec_lo, exec_lo, s16
	v_add_nc_u32_e32 v18, 0x1000, v18
	s_add_i32 s15, s15, 8
	s_add_i32 s14, s14, -8
	s_cmp_lt_u32 s15, s29
	s_cbranch_scc0 .LBB10_80
.LBB10_78:                              ; =>This Inner Loop Header: Depth=1
	s_and_saveexec_b32 s16, s13
	s_cbranch_execz .LBB10_77
; %bb.79:                               ;   in Loop: Header=BB10_78 Depth=1
	s_delay_alu instid0(VALU_DEP_1)
	v_lshrrev_b32_e32 v19, s15, v17
	s_min_u32 s17, s14, 8
	s_delay_alu instid0(VALU_DEP_1) | instid1(SALU_CYCLE_1)
	v_bfe_u32 v19, v19, 0, s17
	s_delay_alu instid0(VALU_DEP_1)
	v_lshl_add_u32 v19, v19, 4, v18
	ds_add_u32 v19, v2
	s_branch .LBB10_77
.LBB10_80:
	v_xor_b32_e32 v16, -1, v16
	v_dual_mov_b32 v2, 1 :: v_dual_mov_b32 v17, v1
	s_mov_b32 s13, s24
	s_mov_b32 s14, s28
	s_delay_alu instid0(VALU_DEP_2)
	v_and_b32_e32 v16, 0xff, v16
	s_branch .LBB10_82
	.p2align	6
.LBB10_81:                              ;   in Loop: Header=BB10_82 Depth=1
	s_or_b32 exec_lo, exec_lo, s15
	v_add_nc_u32_e32 v17, 0x1000, v17
	s_add_i32 s14, s14, 8
	s_add_i32 s13, s13, -8
	s_cmp_lt_u32 s14, s29
	s_cbranch_scc0 .LBB10_84
.LBB10_82:                              ; =>This Inner Loop Header: Depth=1
	s_and_saveexec_b32 s15, s12
	s_cbranch_execz .LBB10_81
; %bb.83:                               ;   in Loop: Header=BB10_82 Depth=1
	s_delay_alu instid0(VALU_DEP_1)
	v_lshrrev_b32_e32 v18, s14, v16
	s_min_u32 s16, s13, 8
	s_delay_alu instid0(VALU_DEP_1) | instid1(SALU_CYCLE_1)
	v_bfe_u32 v18, v18, 0, s16
	s_delay_alu instid0(VALU_DEP_1)
	v_lshl_add_u32 v18, v18, 4, v17
	ds_add_u32 v18, v2
	s_branch .LBB10_81
.LBB10_84:
	v_xor_b32_e32 v15, -1, v15
	v_mov_b32_e32 v2, 1
	v_mov_b32_e32 v16, v1
	s_mov_b32 s12, s24
	s_mov_b32 s13, s28
	v_and_b32_e32 v15, 0xff, v15
	s_branch .LBB10_86
	.p2align	6
.LBB10_85:                              ;   in Loop: Header=BB10_86 Depth=1
	s_or_b32 exec_lo, exec_lo, s14
	v_add_nc_u32_e32 v16, 0x1000, v16
	s_add_i32 s13, s13, 8
	s_add_i32 s12, s12, -8
	s_cmp_lt_u32 s13, s29
	s_cbranch_scc0 .LBB10_88
.LBB10_86:                              ; =>This Inner Loop Header: Depth=1
	s_and_saveexec_b32 s14, s11
	s_cbranch_execz .LBB10_85
; %bb.87:                               ;   in Loop: Header=BB10_86 Depth=1
	s_delay_alu instid0(VALU_DEP_1)
	v_lshrrev_b32_e32 v17, s13, v15
	s_min_u32 s15, s12, 8
	s_delay_alu instid0(VALU_DEP_1) | instid1(SALU_CYCLE_1)
	v_bfe_u32 v17, v17, 0, s15
	s_delay_alu instid0(VALU_DEP_1)
	v_lshl_add_u32 v17, v17, 4, v16
	ds_add_u32 v17, v2
	s_branch .LBB10_85
.LBB10_88:
	v_xor_b32_e32 v14, -1, v14
	v_dual_mov_b32 v2, 1 :: v_dual_mov_b32 v15, v1
	s_mov_b32 s11, s24
	s_mov_b32 s12, s28
	s_delay_alu instid0(VALU_DEP_2)
	v_and_b32_e32 v14, 0xff, v14
	s_branch .LBB10_90
	.p2align	6
.LBB10_89:                              ;   in Loop: Header=BB10_90 Depth=1
	s_or_b32 exec_lo, exec_lo, s13
	v_add_nc_u32_e32 v15, 0x1000, v15
	s_add_i32 s12, s12, 8
	s_add_i32 s11, s11, -8
	s_cmp_lt_u32 s12, s29
	s_cbranch_scc0 .LBB10_92
.LBB10_90:                              ; =>This Inner Loop Header: Depth=1
	s_and_saveexec_b32 s13, s10
	s_cbranch_execz .LBB10_89
; %bb.91:                               ;   in Loop: Header=BB10_90 Depth=1
	s_delay_alu instid0(VALU_DEP_1)
	v_lshrrev_b32_e32 v16, s12, v14
	s_min_u32 s14, s11, 8
	s_delay_alu instid0(VALU_DEP_1) | instid1(SALU_CYCLE_1)
	v_bfe_u32 v16, v16, 0, s14
	s_delay_alu instid0(VALU_DEP_1)
	v_lshl_add_u32 v16, v16, 4, v15
	ds_add_u32 v16, v2
	s_branch .LBB10_89
.LBB10_92:
	v_xor_b32_e32 v13, -1, v13
	v_mov_b32_e32 v2, 1
	v_mov_b32_e32 v14, v1
	s_mov_b32 s10, s24
	s_mov_b32 s11, s28
	v_and_b32_e32 v13, 0xff, v13
	s_branch .LBB10_94
	.p2align	6
.LBB10_93:                              ;   in Loop: Header=BB10_94 Depth=1
	s_or_b32 exec_lo, exec_lo, s12
	v_add_nc_u32_e32 v14, 0x1000, v14
	s_add_i32 s11, s11, 8
	s_add_i32 s10, s10, -8
	s_cmp_lt_u32 s11, s29
	s_cbranch_scc0 .LBB10_96
.LBB10_94:                              ; =>This Inner Loop Header: Depth=1
	s_and_saveexec_b32 s12, s9
	s_cbranch_execz .LBB10_93
; %bb.95:                               ;   in Loop: Header=BB10_94 Depth=1
	s_delay_alu instid0(VALU_DEP_1)
	v_lshrrev_b32_e32 v15, s11, v13
	s_min_u32 s13, s10, 8
	s_delay_alu instid0(VALU_DEP_1) | instid1(SALU_CYCLE_1)
	v_bfe_u32 v15, v15, 0, s13
	s_delay_alu instid0(VALU_DEP_1)
	v_lshl_add_u32 v15, v15, 4, v14
	ds_add_u32 v15, v2
	s_branch .LBB10_93
.LBB10_96:
	v_xor_b32_e32 v12, -1, v12
	v_dual_mov_b32 v2, 1 :: v_dual_mov_b32 v13, v1
	s_mov_b32 s9, s24
	s_mov_b32 s10, s28
	s_delay_alu instid0(VALU_DEP_2)
	v_and_b32_e32 v12, 0xff, v12
	s_branch .LBB10_98
	.p2align	6
.LBB10_97:                              ;   in Loop: Header=BB10_98 Depth=1
	s_or_b32 exec_lo, exec_lo, s11
	v_add_nc_u32_e32 v13, 0x1000, v13
	s_add_i32 s10, s10, 8
	s_add_i32 s9, s9, -8
	s_cmp_lt_u32 s10, s29
	s_cbranch_scc0 .LBB10_100
.LBB10_98:                              ; =>This Inner Loop Header: Depth=1
	s_and_saveexec_b32 s11, s8
	s_cbranch_execz .LBB10_97
; %bb.99:                               ;   in Loop: Header=BB10_98 Depth=1
	s_delay_alu instid0(VALU_DEP_1)
	v_lshrrev_b32_e32 v14, s10, v12
	s_min_u32 s12, s9, 8
	s_delay_alu instid0(VALU_DEP_1) | instid1(SALU_CYCLE_1)
	v_bfe_u32 v14, v14, 0, s12
	s_delay_alu instid0(VALU_DEP_1)
	v_lshl_add_u32 v14, v14, 4, v13
	ds_add_u32 v14, v2
	s_branch .LBB10_97
.LBB10_100:
	v_xor_b32_e32 v11, -1, v11
	v_mov_b32_e32 v2, 1
	v_mov_b32_e32 v12, v1
	s_mov_b32 s8, s24
	s_mov_b32 s9, s28
	v_and_b32_e32 v11, 0xff, v11
	s_branch .LBB10_102
	.p2align	6
.LBB10_101:                             ;   in Loop: Header=BB10_102 Depth=1
	s_or_b32 exec_lo, exec_lo, s10
	v_add_nc_u32_e32 v12, 0x1000, v12
	s_add_i32 s9, s9, 8
	s_add_i32 s8, s8, -8
	s_cmp_lt_u32 s9, s29
	s_cbranch_scc0 .LBB10_104
.LBB10_102:                             ; =>This Inner Loop Header: Depth=1
	s_and_saveexec_b32 s10, s7
	s_cbranch_execz .LBB10_101
; %bb.103:                              ;   in Loop: Header=BB10_102 Depth=1
	s_delay_alu instid0(VALU_DEP_1)
	v_lshrrev_b32_e32 v13, s9, v11
	s_min_u32 s11, s8, 8
	s_delay_alu instid0(VALU_DEP_1) | instid1(SALU_CYCLE_1)
	v_bfe_u32 v13, v13, 0, s11
	s_delay_alu instid0(VALU_DEP_1)
	v_lshl_add_u32 v13, v13, 4, v12
	ds_add_u32 v13, v2
	s_branch .LBB10_101
.LBB10_104:
	v_xor_b32_e32 v10, -1, v10
	v_dual_mov_b32 v2, 1 :: v_dual_mov_b32 v11, v1
	s_mov_b32 s7, s24
	s_mov_b32 s8, s28
	s_delay_alu instid0(VALU_DEP_2)
	v_and_b32_e32 v10, 0xff, v10
	s_branch .LBB10_106
	.p2align	6
.LBB10_105:                             ;   in Loop: Header=BB10_106 Depth=1
	s_or_b32 exec_lo, exec_lo, s9
	v_add_nc_u32_e32 v11, 0x1000, v11
	s_add_i32 s8, s8, 8
	s_add_i32 s7, s7, -8
	s_cmp_lt_u32 s8, s29
	s_cbranch_scc0 .LBB10_108
.LBB10_106:                             ; =>This Inner Loop Header: Depth=1
	s_and_saveexec_b32 s9, s6
	s_cbranch_execz .LBB10_105
; %bb.107:                              ;   in Loop: Header=BB10_106 Depth=1
	s_delay_alu instid0(VALU_DEP_1)
	v_lshrrev_b32_e32 v12, s8, v10
	s_min_u32 s10, s7, 8
	s_delay_alu instid0(VALU_DEP_1) | instid1(SALU_CYCLE_1)
	v_bfe_u32 v12, v12, 0, s10
	s_delay_alu instid0(VALU_DEP_1)
	v_lshl_add_u32 v12, v12, 4, v11
	ds_add_u32 v12, v2
	s_branch .LBB10_105
.LBB10_108:
	v_xor_b32_e32 v9, -1, v9
	v_mov_b32_e32 v2, 1
	v_mov_b32_e32 v10, v1
	s_mov_b32 s6, s24
	s_mov_b32 s7, s28
	v_and_b32_e32 v9, 0xff, v9
	s_branch .LBB10_110
	.p2align	6
.LBB10_109:                             ;   in Loop: Header=BB10_110 Depth=1
	s_or_b32 exec_lo, exec_lo, s8
	v_add_nc_u32_e32 v10, 0x1000, v10
	s_add_i32 s7, s7, 8
	s_add_i32 s6, s6, -8
	s_cmp_lt_u32 s7, s29
	s_cbranch_scc0 .LBB10_112
.LBB10_110:                             ; =>This Inner Loop Header: Depth=1
	s_and_saveexec_b32 s8, s5
	s_cbranch_execz .LBB10_109
; %bb.111:                              ;   in Loop: Header=BB10_110 Depth=1
	s_delay_alu instid0(VALU_DEP_1)
	v_lshrrev_b32_e32 v11, s7, v9
	s_min_u32 s9, s6, 8
	s_delay_alu instid0(VALU_DEP_1) | instid1(SALU_CYCLE_1)
	v_bfe_u32 v11, v11, 0, s9
	s_delay_alu instid0(VALU_DEP_1)
	v_lshl_add_u32 v11, v11, 4, v10
	ds_add_u32 v11, v2
	s_branch .LBB10_109
.LBB10_112:
	v_xor_b32_e32 v8, -1, v8
	v_dual_mov_b32 v2, 1 :: v_dual_mov_b32 v9, v1
	s_mov_b32 s5, s24
	s_mov_b32 s6, s28
	s_delay_alu instid0(VALU_DEP_2)
	v_and_b32_e32 v8, 0xff, v8
	s_branch .LBB10_114
	.p2align	6
.LBB10_113:                             ;   in Loop: Header=BB10_114 Depth=1
	s_or_b32 exec_lo, exec_lo, s7
	v_add_nc_u32_e32 v9, 0x1000, v9
	s_add_i32 s6, s6, 8
	s_add_i32 s5, s5, -8
	s_cmp_lt_u32 s6, s29
	s_cbranch_scc0 .LBB10_116
.LBB10_114:                             ; =>This Inner Loop Header: Depth=1
	s_and_saveexec_b32 s7, s4
	s_cbranch_execz .LBB10_113
; %bb.115:                              ;   in Loop: Header=BB10_114 Depth=1
	s_delay_alu instid0(VALU_DEP_1)
	v_lshrrev_b32_e32 v10, s6, v8
	s_min_u32 s8, s5, 8
	s_delay_alu instid0(VALU_DEP_1) | instid1(SALU_CYCLE_1)
	v_bfe_u32 v10, v10, 0, s8
	s_delay_alu instid0(VALU_DEP_1)
	v_lshl_add_u32 v10, v10, 4, v9
	ds_add_u32 v10, v2
	s_branch .LBB10_113
.LBB10_116:
	v_xor_b32_e32 v7, -1, v7
	v_mov_b32_e32 v2, 1
	v_mov_b32_e32 v8, v1
	s_mov_b32 s4, s24
	s_mov_b32 s5, s28
	v_and_b32_e32 v7, 0xff, v7
	s_branch .LBB10_118
	.p2align	6
.LBB10_117:                             ;   in Loop: Header=BB10_118 Depth=1
	s_or_b32 exec_lo, exec_lo, s6
	v_add_nc_u32_e32 v8, 0x1000, v8
	s_add_i32 s5, s5, 8
	s_add_i32 s4, s4, -8
	s_cmp_lt_u32 s5, s29
	s_cbranch_scc0 .LBB10_120
.LBB10_118:                             ; =>This Inner Loop Header: Depth=1
	s_and_saveexec_b32 s6, s3
	s_cbranch_execz .LBB10_117
; %bb.119:                              ;   in Loop: Header=BB10_118 Depth=1
	s_delay_alu instid0(VALU_DEP_1)
	v_lshrrev_b32_e32 v9, s5, v7
	s_min_u32 s7, s4, 8
	s_delay_alu instid0(VALU_DEP_1) | instid1(SALU_CYCLE_1)
	v_bfe_u32 v9, v9, 0, s7
	s_delay_alu instid0(VALU_DEP_1)
	v_lshl_add_u32 v9, v9, 4, v8
	ds_add_u32 v9, v2
	s_branch .LBB10_117
.LBB10_120:
	v_xor_b32_e32 v6, -1, v6
	v_dual_mov_b32 v2, 1 :: v_dual_mov_b32 v7, v1
	s_mov_b32 s3, s24
	s_mov_b32 s4, s28
	s_delay_alu instid0(VALU_DEP_2)
	v_and_b32_e32 v6, 0xff, v6
	s_branch .LBB10_122
	.p2align	6
.LBB10_121:                             ;   in Loop: Header=BB10_122 Depth=1
	s_or_b32 exec_lo, exec_lo, s5
	v_add_nc_u32_e32 v7, 0x1000, v7
	s_add_i32 s4, s4, 8
	s_add_i32 s3, s3, -8
	s_cmp_lt_u32 s4, s29
	s_cbranch_scc0 .LBB10_124
.LBB10_122:                             ; =>This Inner Loop Header: Depth=1
	s_and_saveexec_b32 s5, s2
	s_cbranch_execz .LBB10_121
; %bb.123:                              ;   in Loop: Header=BB10_122 Depth=1
	s_delay_alu instid0(VALU_DEP_1)
	v_lshrrev_b32_e32 v8, s4, v6
	s_min_u32 s6, s3, 8
	s_delay_alu instid0(VALU_DEP_1) | instid1(SALU_CYCLE_1)
	v_bfe_u32 v8, v8, 0, s6
	s_delay_alu instid0(VALU_DEP_1)
	v_lshl_add_u32 v8, v8, 4, v7
	ds_add_u32 v8, v2
	s_branch .LBB10_121
.LBB10_124:
	v_xor_b32_e32 v5, -1, v5
	v_mov_b32_e32 v2, 1
	v_mov_b32_e32 v6, v1
	s_mov_b32 s2, s24
	s_mov_b32 s3, s28
	v_and_b32_e32 v5, 0xff, v5
	s_branch .LBB10_126
	.p2align	6
.LBB10_125:                             ;   in Loop: Header=BB10_126 Depth=1
	s_or_b32 exec_lo, exec_lo, s4
	v_add_nc_u32_e32 v6, 0x1000, v6
	s_add_i32 s3, s3, 8
	s_add_i32 s2, s2, -8
	s_cmp_lt_u32 s3, s29
	s_cbranch_scc0 .LBB10_128
.LBB10_126:                             ; =>This Inner Loop Header: Depth=1
	s_and_saveexec_b32 s4, s1
	s_cbranch_execz .LBB10_125
; %bb.127:                              ;   in Loop: Header=BB10_126 Depth=1
	s_delay_alu instid0(VALU_DEP_1)
	v_lshrrev_b32_e32 v7, s3, v5
	s_min_u32 s5, s2, 8
	s_delay_alu instid0(VALU_DEP_1) | instid1(SALU_CYCLE_1)
	v_bfe_u32 v7, v7, 0, s5
	s_delay_alu instid0(VALU_DEP_1)
	v_lshl_add_u32 v7, v7, 4, v6
	ds_add_u32 v7, v2
	s_branch .LBB10_125
.LBB10_128:
	v_xor_b32_e32 v4, -1, v4
	v_dual_mov_b32 v2, 1 :: v_dual_mov_b32 v5, v1
	s_mov_b32 s1, s24
	s_mov_b32 s2, s28
	s_delay_alu instid0(VALU_DEP_2)
	v_and_b32_e32 v4, 0xff, v4
	s_branch .LBB10_130
	.p2align	6
.LBB10_129:                             ;   in Loop: Header=BB10_130 Depth=1
	s_or_b32 exec_lo, exec_lo, s3
	v_add_nc_u32_e32 v5, 0x1000, v5
	s_add_i32 s2, s2, 8
	s_add_i32 s1, s1, -8
	s_cmp_lt_u32 s2, s29
	s_cbranch_scc0 .LBB10_132
.LBB10_130:                             ; =>This Inner Loop Header: Depth=1
	s_and_saveexec_b32 s3, s0
	s_cbranch_execz .LBB10_129
; %bb.131:                              ;   in Loop: Header=BB10_130 Depth=1
	s_delay_alu instid0(VALU_DEP_1)
	v_lshrrev_b32_e32 v6, s2, v4
	s_min_u32 s4, s1, 8
	s_delay_alu instid0(VALU_DEP_1) | instid1(SALU_CYCLE_1)
	v_bfe_u32 v6, v6, 0, s4
	s_delay_alu instid0(VALU_DEP_1)
	v_lshl_add_u32 v6, v6, 4, v5
	ds_add_u32 v6, v2
	s_branch .LBB10_129
.LBB10_132:
	v_xor_b32_e32 v2, -1, v3
	s_mov_b32 s0, s28
	s_delay_alu instid0(VALU_DEP_1)
	v_dual_mov_b32 v3, 1 :: v_dual_and_b32 v2, 0xff, v2
	s_branch .LBB10_134
	.p2align	6
.LBB10_133:                             ;   in Loop: Header=BB10_134 Depth=1
	s_or_b32 exec_lo, exec_lo, s1
	v_add_nc_u32_e32 v1, 0x1000, v1
	s_add_i32 s0, s0, 8
	s_add_i32 s24, s24, -8
	s_cmp_lt_u32 s0, s29
	s_cbranch_scc0 .LBB10_136
.LBB10_134:                             ; =>This Inner Loop Header: Depth=1
	s_and_saveexec_b32 s1, vcc_lo
	s_cbranch_execz .LBB10_133
; %bb.135:                              ;   in Loop: Header=BB10_134 Depth=1
	s_delay_alu instid0(VALU_DEP_1)
	v_lshrrev_b32_e32 v4, s0, v2
	s_min_u32 s2, s24, 8
	s_delay_alu instid0(VALU_DEP_1) | instid1(SALU_CYCLE_1)
	v_bfe_u32 v4, v4, 0, s2
	s_delay_alu instid0(VALU_DEP_1)
	v_lshl_add_u32 v4, v4, 4, v1
	ds_add_u32 v4, v3
	s_branch .LBB10_133
.LBB10_136:
	s_and_b32 vcc_lo, exec_lo, s21
	s_waitcnt lgkmcnt(0)
	s_barrier
	buffer_gl0_inv
	s_cbranch_vccz .LBB10_141
; %bb.137:
	v_cmp_gt_u32_e32 vcc_lo, 0x100, v0
	v_dual_mov_b32 v2, 0 :: v_dual_lshlrev_b32 v3, 4, v0
	v_mov_b32_e32 v1, v0
	s_mov_b32 s1, s28
	s_set_inst_prefetch_distance 0x1
	s_branch .LBB10_139
	.p2align	6
.LBB10_138:                             ;   in Loop: Header=BB10_139 Depth=1
	s_or_b32 exec_lo, exec_lo, s2
	v_add_nc_u32_e32 v1, 0x100, v1
	v_add_nc_u32_e32 v3, 0x1000, v3
	s_add_i32 s1, s1, 8
	s_delay_alu instid0(SALU_CYCLE_1)
	s_cmp_lt_u32 s1, s29
	s_cbranch_scc0 .LBB10_141
.LBB10_139:                             ; =>This Inner Loop Header: Depth=1
	s_and_saveexec_b32 s2, vcc_lo
	s_cbranch_execz .LBB10_138
; %bb.140:                              ;   in Loop: Header=BB10_139 Depth=1
	ds_load_2addr_b32 v[4:5], v3 offset1:1
	ds_load_2addr_b32 v[6:7], v3 offset0:2 offset1:3
	v_lshlrev_b64 v[8:9], 3, v[1:2]
	s_waitcnt lgkmcnt(1)
	v_add_nc_u32_e32 v10, v5, v4
	s_delay_alu instid0(VALU_DEP_2) | instskip(NEXT) | instid1(VALU_DEP_1)
	v_add_co_u32 v4, s0, s22, v8
	v_add_co_ci_u32_e64 v5, s0, s23, v9, s0
	s_waitcnt lgkmcnt(0)
	s_delay_alu instid0(VALU_DEP_3)
	v_add3_u32 v6, v10, v6, v7
	v_mov_b32_e32 v7, v2
	global_atomic_add_u64 v[4:5], v[6:7], off
	s_branch .LBB10_138
.LBB10_141:
	s_set_inst_prefetch_distance 0x2
	s_mov_b32 s0, 0
.LBB10_142:
	s_delay_alu instid0(SALU_CYCLE_1)
	s_and_b32 vcc_lo, exec_lo, s0
	s_cbranch_vccz .LBB10_202
; %bb.143:
	v_add_co_u32 v1, s0, s30, v0
	s_delay_alu instid0(VALU_DEP_1)
	v_add_co_ci_u32_e64 v2, null, s31, 0, s0
	s_clause 0x8
	global_load_u8 v13, v0, s[30:31] offset:256
	global_load_u8 v14, v0, s[30:31] offset:512
	;; [unrolled: 1-line block ×9, first 2 shown]
	v_add_co_u32 v1, vcc_lo, 0x1000, v1
	v_add_co_ci_u32_e32 v2, vcc_lo, 0, v2, vcc_lo
	s_clause 0xc
	global_load_u8 v22, v0, s[30:31] offset:2560
	global_load_u8 v23, v0, s[30:31] offset:2816
	global_load_u8 v24, v0, s[30:31] offset:3072
	global_load_u8 v9, v0, s[30:31] offset:3328
	global_load_u8 v10, v0, s[30:31] offset:3584
	global_load_u8 v11, v0, s[30:31] offset:3840
	global_load_u8 v12, v[1:2], off
	global_load_u8 v7, v[1:2], off offset:256
	global_load_u8 v8, v[1:2], off offset:512
	;; [unrolled: 1-line block ×4, first 2 shown]
	global_load_u8 v25, v0, s[30:31]
	global_load_u8 v6, v[1:2], off offset:1280
	s_cmp_eq_u32 s28, 0
	v_mov_b32_e32 v1, 0
	s_cselect_b32 s1, -1, 0
	s_cmp_eq_u32 s29, 8
	v_or_b32_e32 v26, 0xffffff00, v0
	s_cselect_b32 s2, -1, 0
	v_lshlrev_b32_e32 v3, 2, v0
	s_and_b32 s1, s1, s2
	s_mov_b32 s0, 0
	s_and_b32 vcc_lo, exec_lo, s1
	s_mov_b32 s1, -1
	s_cbranch_vccnz .LBB10_197
; %bb.144:
	v_or_b32_e32 v2, 0xffffff00, v0
	v_lshlrev_b32_e32 v27, 2, v0
.LBB10_145:                             ; =>This Inner Loop Header: Depth=1
	s_delay_alu instid0(VALU_DEP_2) | instskip(SKIP_4) | instid1(SALU_CYCLE_1)
	v_add_nc_u32_e32 v2, 0x100, v2
	ds_store_b32 v27, v1
	v_add_nc_u32_e32 v27, 0x400, v27
	v_cmp_lt_u32_e32 vcc_lo, 0x2ff, v2
	s_or_b32 s0, vcc_lo, s0
	s_and_not1_b32 exec_lo, exec_lo, s0
	s_cbranch_execnz .LBB10_145
; %bb.146:
	s_or_b32 exec_lo, exec_lo, s0
	s_cmp_gt_u32 s29, s28
	s_waitcnt vmcnt(0) lgkmcnt(0)
	s_waitcnt_vscnt null, 0x0
	s_cselect_b32 s0, -1, 0
	s_cmp_le_u32 s29, s28
	s_barrier
	buffer_gl0_inv
	s_cbranch_scc1 .LBB10_191
; %bb.147:
	v_and_b32_e32 v1, 3, v0
	v_xor_b32_e32 v2, -1, v25
	s_sub_i32 s1, s29, s28
	s_mov_b32 s3, s28
	s_mov_b32 s2, s1
	v_lshlrev_b32_e32 v1, 2, v1
	v_dual_mov_b32 v27, 1 :: v_dual_and_b32 v2, 0xff, v2
	s_delay_alu instid0(VALU_DEP_2)
	v_mov_b32_e32 v28, v1
.LBB10_148:                             ; =>This Inner Loop Header: Depth=1
	s_delay_alu instid0(VALU_DEP_2)
	v_lshrrev_b32_e32 v29, s3, v2
	s_min_u32 s4, s2, 8
	s_add_i32 s3, s3, 8
	s_add_i32 s2, s2, -8
	s_cmp_ge_u32 s3, s29
	v_bfe_u32 v29, v29, 0, s4
	s_delay_alu instid0(VALU_DEP_1)
	v_lshl_add_u32 v29, v29, 4, v28
	v_add_nc_u32_e32 v28, 0x1000, v28
	ds_add_u32 v29, v27
	s_cbranch_scc0 .LBB10_148
; %bb.149:
	v_xor_b32_e32 v27, -1, v13
	v_mov_b32_e32 v2, 1
	v_mov_b32_e32 v28, v1
	s_mov_b32 s2, s1
	s_mov_b32 s3, s28
	v_and_b32_e32 v27, 0xff, v27
.LBB10_150:                             ; =>This Inner Loop Header: Depth=1
	s_delay_alu instid0(VALU_DEP_1)
	v_lshrrev_b32_e32 v29, s3, v27
	s_min_u32 s4, s2, 8
	s_add_i32 s3, s3, 8
	s_add_i32 s2, s2, -8
	s_cmp_lt_u32 s3, s29
	v_bfe_u32 v29, v29, 0, s4
	s_delay_alu instid0(VALU_DEP_1)
	v_lshl_add_u32 v29, v29, 4, v28
	v_add_nc_u32_e32 v28, 0x1000, v28
	ds_add_u32 v29, v2
	s_cbranch_scc1 .LBB10_150
; %bb.151:
	v_xor_b32_e32 v27, -1, v14
	v_mov_b32_e32 v2, 1
	v_mov_b32_e32 v28, v1
	s_mov_b32 s2, s1
	s_mov_b32 s3, s28
	v_and_b32_e32 v27, 0xff, v27
.LBB10_152:                             ; =>This Inner Loop Header: Depth=1
	s_delay_alu instid0(VALU_DEP_1)
	v_lshrrev_b32_e32 v29, s3, v27
	s_min_u32 s4, s2, 8
	s_add_i32 s3, s3, 8
	s_add_i32 s2, s2, -8
	s_cmp_lt_u32 s3, s29
	v_bfe_u32 v29, v29, 0, s4
	s_delay_alu instid0(VALU_DEP_1)
	v_lshl_add_u32 v29, v29, 4, v28
	v_add_nc_u32_e32 v28, 0x1000, v28
	ds_add_u32 v29, v2
	s_cbranch_scc1 .LBB10_152
	;; [unrolled: 20-line block ×20, first 2 shown]
; %bb.189:
	v_xor_b32_e32 v2, -1, v6
	s_mov_b32 s2, s28
	s_delay_alu instid0(VALU_DEP_1)
	v_dual_mov_b32 v27, 1 :: v_dual_and_b32 v2, 0xff, v2
.LBB10_190:                             ; =>This Inner Loop Header: Depth=1
	s_delay_alu instid0(VALU_DEP_1)
	v_lshrrev_b32_e32 v28, s2, v2
	s_min_u32 s3, s1, 8
	s_add_i32 s2, s2, 8
	s_add_i32 s1, s1, -8
	s_cmp_lt_u32 s2, s29
	v_bfe_u32 v28, v28, 0, s3
	s_delay_alu instid0(VALU_DEP_1)
	v_lshl_add_u32 v28, v28, 4, v1
	v_add_nc_u32_e32 v1, 0x1000, v1
	ds_add_u32 v28, v27
	s_cbranch_scc1 .LBB10_190
.LBB10_191:
	s_and_b32 vcc_lo, exec_lo, s0
	s_waitcnt lgkmcnt(0)
	s_barrier
	buffer_gl0_inv
	s_cbranch_vccz .LBB10_196
; %bb.192:
	v_cmp_gt_u32_e32 vcc_lo, 0x100, v0
	v_dual_mov_b32 v2, 0 :: v_dual_lshlrev_b32 v27, 4, v0
	v_mov_b32_e32 v1, v0
	s_set_inst_prefetch_distance 0x1
	s_branch .LBB10_194
	.p2align	6
.LBB10_193:                             ;   in Loop: Header=BB10_194 Depth=1
	s_or_b32 exec_lo, exec_lo, s1
	v_add_nc_u32_e32 v1, 0x100, v1
	v_add_nc_u32_e32 v27, 0x1000, v27
	s_add_i32 s28, s28, 8
	s_delay_alu instid0(SALU_CYCLE_1)
	s_cmp_ge_u32 s28, s29
	s_cbranch_scc1 .LBB10_196
.LBB10_194:                             ; =>This Inner Loop Header: Depth=1
	s_and_saveexec_b32 s1, vcc_lo
	s_cbranch_execz .LBB10_193
; %bb.195:                              ;   in Loop: Header=BB10_194 Depth=1
	ds_load_2addr_b32 v[28:29], v27 offset1:1
	ds_load_2addr_b32 v[30:31], v27 offset0:2 offset1:3
	v_lshlrev_b64 v[32:33], 3, v[1:2]
	s_waitcnt lgkmcnt(1)
	v_add_nc_u32_e32 v34, v29, v28
	s_delay_alu instid0(VALU_DEP_2) | instskip(NEXT) | instid1(VALU_DEP_1)
	v_add_co_u32 v28, s0, s22, v32
	v_add_co_ci_u32_e64 v29, s0, s23, v33, s0
	s_waitcnt lgkmcnt(0)
	s_delay_alu instid0(VALU_DEP_3)
	v_add3_u32 v30, v34, v30, v31
	v_mov_b32_e32 v31, v2
	global_atomic_add_u64 v[28:29], v[30:31], off
	s_branch .LBB10_193
.LBB10_196:
	s_set_inst_prefetch_distance 0x2
	s_mov_b32 s1, 0
.LBB10_197:
	s_delay_alu instid0(SALU_CYCLE_1)
	s_and_b32 vcc_lo, exec_lo, s1
	s_cbranch_vccz .LBB10_202
; %bb.198:
	v_dual_mov_b32 v1, 0 :: v_dual_mov_b32 v2, v3
	s_mov_b32 s0, 0
.LBB10_199:                             ; =>This Inner Loop Header: Depth=1
	v_add_nc_u32_e32 v26, 0x100, v26
	ds_store_b32 v2, v1
	v_add_nc_u32_e32 v2, 0x400, v2
	v_cmp_lt_u32_e32 vcc_lo, 0x2ff, v26
	s_or_b32 s0, vcc_lo, s0
	s_delay_alu instid0(SALU_CYCLE_1)
	s_and_not1_b32 exec_lo, exec_lo, s0
	s_cbranch_execnz .LBB10_199
; %bb.200:
	s_or_b32 exec_lo, exec_lo, s0
	s_waitcnt vmcnt(1)
	v_xor_b32_e32 v1, -1, v25
	v_xor_b32_e32 v2, -1, v13
	v_xor_b32_e32 v13, -1, v14
	v_xor_b32_e32 v14, -1, v15
	v_xor_b32_e32 v15, -1, v16
	v_xor_b32_e32 v16, -1, v17
	v_xor_b32_e32 v17, -1, v18
	v_xor_b32_e32 v18, -1, v19
	v_xor_b32_e32 v19, -1, v20
	v_xor_b32_e32 v20, -1, v21
	v_xor_b32_e32 v21, -1, v22
	v_xor_b32_e32 v22, -1, v23
	v_xor_b32_e32 v23, -1, v24
	v_dual_mov_b32 v25, 1 :: v_dual_and_b32 v24, 3, v0
	v_and_b32_e32 v1, 0xff, v1
	v_and_b32_e32 v2, 0xff, v2
	s_waitcnt vmcnt(0) lgkmcnt(0)
	s_waitcnt_vscnt null, 0x0
	v_lshlrev_b32_e32 v24, 2, v24
	s_barrier
	buffer_gl0_inv
	v_xor_b32_e32 v9, -1, v9
	v_xor_b32_e32 v10, -1, v10
	v_lshl_or_b32 v1, v1, 4, v24
	v_lshl_or_b32 v2, v2, 4, v24
	ds_add_u32 v1, v25
	ds_add_u32 v2, v25
	v_and_b32_e32 v1, 0xff, v13
	v_and_b32_e32 v2, 0xff, v14
	;; [unrolled: 1-line block ×5, first 2 shown]
	v_lshl_or_b32 v1, v1, 4, v24
	v_lshl_or_b32 v2, v2, 4, v24
	v_lshl_or_b32 v13, v13, 4, v24
	v_lshl_or_b32 v14, v14, 4, v24
	v_lshl_or_b32 v15, v15, 4, v24
	ds_add_u32 v1, v25
	ds_add_u32 v2, v25
	;; [unrolled: 1-line block ×5, first 2 shown]
	v_and_b32_e32 v1, 0xff, v18
	v_and_b32_e32 v2, 0xff, v19
	;; [unrolled: 1-line block ×5, first 2 shown]
	v_lshl_or_b32 v1, v1, 4, v24
	v_lshl_or_b32 v2, v2, 4, v24
	;; [unrolled: 1-line block ×3, first 2 shown]
	v_xor_b32_e32 v11, -1, v11
	v_lshl_or_b32 v14, v14, 4, v24
	v_xor_b32_e32 v12, -1, v12
	v_lshl_or_b32 v15, v15, 4, v24
	ds_add_u32 v1, v25
	ds_add_u32 v2, v25
	;; [unrolled: 1-line block ×5, first 2 shown]
	v_and_b32_e32 v1, 0xff, v23
	v_and_b32_e32 v2, 0xff, v9
	;; [unrolled: 1-line block ×5, first 2 shown]
	v_xor_b32_e32 v7, -1, v7
	v_lshl_or_b32 v1, v1, 4, v24
	v_xor_b32_e32 v8, -1, v8
	v_lshl_or_b32 v2, v2, 4, v24
	;; [unrolled: 2-line block ×5, first 2 shown]
	ds_add_u32 v1, v25
	ds_add_u32 v2, v25
	;; [unrolled: 1-line block ×5, first 2 shown]
	v_and_b32_e32 v1, 0xff, v7
	v_and_b32_e32 v2, 0xff, v8
	;; [unrolled: 1-line block ×5, first 2 shown]
	v_lshl_or_b32 v1, v1, 4, v24
	v_lshl_or_b32 v2, v2, 4, v24
	;; [unrolled: 1-line block ×5, first 2 shown]
	ds_add_u32 v1, v25
	ds_add_u32 v2, v25
	;; [unrolled: 1-line block ×5, first 2 shown]
	s_waitcnt lgkmcnt(0)
	s_barrier
	buffer_gl0_inv
	s_mov_b32 s0, exec_lo
	v_cmpx_gt_u32_e32 0x100, v0
	s_cbranch_execz .LBB10_202
; %bb.201:
	v_lshlrev_b32_e32 v3, 2, v3
	ds_load_2addr_b32 v[1:2], v3 offset1:1
	ds_load_2addr_b32 v[3:4], v3 offset0:2 offset1:3
	s_waitcnt lgkmcnt(1)
	v_add_nc_u32_e32 v1, v2, v1
	v_lshlrev_b32_e32 v2, 3, v0
	s_waitcnt lgkmcnt(0)
	s_delay_alu instid0(VALU_DEP_2)
	v_add3_u32 v0, v1, v3, v4
	v_mov_b32_e32 v1, 0
	global_atomic_add_u64 v2, v[0:1], s[22:23]
.LBB10_202:
	s_nop 0
	s_sendmsg sendmsg(MSG_DEALLOC_VGPRS)
	s_endpgm
	.section	.rodata,"a",@progbits
	.p2align	6, 0x0
	.amdhsa_kernel _ZN7rocprim17ROCPRIM_304000_NS6detail26onesweep_histograms_kernelINS1_34wrapped_radix_sort_onesweep_configINS0_14default_configEhN2at4cuda3cub6detail10OpaqueTypeILi8EEEEELb1EPKhmNS0_19identity_decomposerEEEvT1_PT2_SG_SG_T3_jj
		.amdhsa_group_segment_fixed_size 4096
		.amdhsa_private_segment_fixed_size 0
		.amdhsa_kernarg_size 44
		.amdhsa_user_sgpr_count 15
		.amdhsa_user_sgpr_dispatch_ptr 0
		.amdhsa_user_sgpr_queue_ptr 0
		.amdhsa_user_sgpr_kernarg_segment_ptr 1
		.amdhsa_user_sgpr_dispatch_id 0
		.amdhsa_user_sgpr_private_segment_size 0
		.amdhsa_wavefront_size32 1
		.amdhsa_uses_dynamic_stack 0
		.amdhsa_enable_private_segment 0
		.amdhsa_system_sgpr_workgroup_id_x 1
		.amdhsa_system_sgpr_workgroup_id_y 0
		.amdhsa_system_sgpr_workgroup_id_z 0
		.amdhsa_system_sgpr_workgroup_info 0
		.amdhsa_system_vgpr_workitem_id 0
		.amdhsa_next_free_vgpr 35
		.amdhsa_next_free_sgpr 34
		.amdhsa_reserve_vcc 1
		.amdhsa_float_round_mode_32 0
		.amdhsa_float_round_mode_16_64 0
		.amdhsa_float_denorm_mode_32 3
		.amdhsa_float_denorm_mode_16_64 3
		.amdhsa_dx10_clamp 1
		.amdhsa_ieee_mode 1
		.amdhsa_fp16_overflow 0
		.amdhsa_workgroup_processor_mode 1
		.amdhsa_memory_ordered 1
		.amdhsa_forward_progress 0
		.amdhsa_shared_vgpr_count 0
		.amdhsa_exception_fp_ieee_invalid_op 0
		.amdhsa_exception_fp_denorm_src 0
		.amdhsa_exception_fp_ieee_div_zero 0
		.amdhsa_exception_fp_ieee_overflow 0
		.amdhsa_exception_fp_ieee_underflow 0
		.amdhsa_exception_fp_ieee_inexact 0
		.amdhsa_exception_int_div_zero 0
	.end_amdhsa_kernel
	.section	.text._ZN7rocprim17ROCPRIM_304000_NS6detail26onesweep_histograms_kernelINS1_34wrapped_radix_sort_onesweep_configINS0_14default_configEhN2at4cuda3cub6detail10OpaqueTypeILi8EEEEELb1EPKhmNS0_19identity_decomposerEEEvT1_PT2_SG_SG_T3_jj,"axG",@progbits,_ZN7rocprim17ROCPRIM_304000_NS6detail26onesweep_histograms_kernelINS1_34wrapped_radix_sort_onesweep_configINS0_14default_configEhN2at4cuda3cub6detail10OpaqueTypeILi8EEEEELb1EPKhmNS0_19identity_decomposerEEEvT1_PT2_SG_SG_T3_jj,comdat
.Lfunc_end10:
	.size	_ZN7rocprim17ROCPRIM_304000_NS6detail26onesweep_histograms_kernelINS1_34wrapped_radix_sort_onesweep_configINS0_14default_configEhN2at4cuda3cub6detail10OpaqueTypeILi8EEEEELb1EPKhmNS0_19identity_decomposerEEEvT1_PT2_SG_SG_T3_jj, .Lfunc_end10-_ZN7rocprim17ROCPRIM_304000_NS6detail26onesweep_histograms_kernelINS1_34wrapped_radix_sort_onesweep_configINS0_14default_configEhN2at4cuda3cub6detail10OpaqueTypeILi8EEEEELb1EPKhmNS0_19identity_decomposerEEEvT1_PT2_SG_SG_T3_jj
                                        ; -- End function
	.section	.AMDGPU.csdata,"",@progbits
; Kernel info:
; codeLenInByte = 7424
; NumSgprs: 36
; NumVgprs: 35
; ScratchSize: 0
; MemoryBound: 0
; FloatMode: 240
; IeeeMode: 1
; LDSByteSize: 4096 bytes/workgroup (compile time only)
; SGPRBlocks: 4
; VGPRBlocks: 4
; NumSGPRsForWavesPerEU: 36
; NumVGPRsForWavesPerEU: 35
; Occupancy: 16
; WaveLimiterHint : 1
; COMPUTE_PGM_RSRC2:SCRATCH_EN: 0
; COMPUTE_PGM_RSRC2:USER_SGPR: 15
; COMPUTE_PGM_RSRC2:TRAP_HANDLER: 0
; COMPUTE_PGM_RSRC2:TGID_X_EN: 1
; COMPUTE_PGM_RSRC2:TGID_Y_EN: 0
; COMPUTE_PGM_RSRC2:TGID_Z_EN: 0
; COMPUTE_PGM_RSRC2:TIDIG_COMP_CNT: 0
	.section	.text._ZN7rocprim17ROCPRIM_304000_NS6detail31onesweep_scan_histograms_kernelINS1_34wrapped_radix_sort_onesweep_configINS0_14default_configEhN2at4cuda3cub6detail10OpaqueTypeILi8EEEEEmEEvPT0_,"axG",@progbits,_ZN7rocprim17ROCPRIM_304000_NS6detail31onesweep_scan_histograms_kernelINS1_34wrapped_radix_sort_onesweep_configINS0_14default_configEhN2at4cuda3cub6detail10OpaqueTypeILi8EEEEEmEEvPT0_,comdat
	.protected	_ZN7rocprim17ROCPRIM_304000_NS6detail31onesweep_scan_histograms_kernelINS1_34wrapped_radix_sort_onesweep_configINS0_14default_configEhN2at4cuda3cub6detail10OpaqueTypeILi8EEEEEmEEvPT0_ ; -- Begin function _ZN7rocprim17ROCPRIM_304000_NS6detail31onesweep_scan_histograms_kernelINS1_34wrapped_radix_sort_onesweep_configINS0_14default_configEhN2at4cuda3cub6detail10OpaqueTypeILi8EEEEEmEEvPT0_
	.globl	_ZN7rocprim17ROCPRIM_304000_NS6detail31onesweep_scan_histograms_kernelINS1_34wrapped_radix_sort_onesweep_configINS0_14default_configEhN2at4cuda3cub6detail10OpaqueTypeILi8EEEEEmEEvPT0_
	.p2align	8
	.type	_ZN7rocprim17ROCPRIM_304000_NS6detail31onesweep_scan_histograms_kernelINS1_34wrapped_radix_sort_onesweep_configINS0_14default_configEhN2at4cuda3cub6detail10OpaqueTypeILi8EEEEEmEEvPT0_,@function
_ZN7rocprim17ROCPRIM_304000_NS6detail31onesweep_scan_histograms_kernelINS1_34wrapped_radix_sort_onesweep_configINS0_14default_configEhN2at4cuda3cub6detail10OpaqueTypeILi8EEEEEmEEvPT0_: ; @_ZN7rocprim17ROCPRIM_304000_NS6detail31onesweep_scan_histograms_kernelINS1_34wrapped_radix_sort_onesweep_configINS0_14default_configEhN2at4cuda3cub6detail10OpaqueTypeILi8EEEEEmEEvPT0_
; %bb.0:
	s_load_b64 s[0:1], s[0:1], 0x0
	s_lshl_b32 s2, s15, 8
	s_mov_b32 s3, 0
	v_cmp_gt_u32_e32 vcc_lo, 0x100, v0
	s_lshl_b64 s[2:3], s[2:3], 3
	v_lshlrev_b32_e32 v5, 3, v0
                                        ; implicit-def: $vgpr1_vgpr2
	s_waitcnt lgkmcnt(0)
	s_add_u32 s2, s0, s2
	s_addc_u32 s3, s1, s3
	s_and_saveexec_b32 s0, vcc_lo
	s_cbranch_execz .LBB11_2
; %bb.1:
	global_load_b64 v[1:2], v5, s[2:3]
.LBB11_2:
	s_or_b32 exec_lo, exec_lo, s0
	v_mbcnt_lo_u32_b32 v6, -1, 0
	s_waitcnt vmcnt(0)
	v_mov_b32_dpp v8, v1 row_shr:1 row_mask:0xf bank_mask:0xf
	v_mov_b32_dpp v7, v2 row_shr:1 row_mask:0xf bank_mask:0xf
	s_mov_b32 s1, exec_lo
	v_dual_mov_b32 v3, v1 :: v_dual_and_b32 v4, 15, v6
	s_delay_alu instid0(VALU_DEP_1)
	v_cmpx_ne_u32_e32 0, v4
; %bb.3:
	v_add_co_u32 v3, s0, v1, v8
	s_delay_alu instid0(VALU_DEP_1) | instskip(NEXT) | instid1(VALU_DEP_2)
	v_add_co_ci_u32_e64 v2, s0, 0, v2, s0
	v_add_co_u32 v1, s0, 0, v3
	s_delay_alu instid0(VALU_DEP_1)
	v_add_co_ci_u32_e64 v2, s0, v7, v2, s0
; %bb.4:
	s_or_b32 exec_lo, exec_lo, s1
	v_mov_b32_dpp v8, v3 row_shr:2 row_mask:0xf bank_mask:0xf
	s_delay_alu instid0(VALU_DEP_2)
	v_mov_b32_dpp v7, v2 row_shr:2 row_mask:0xf bank_mask:0xf
	s_mov_b32 s1, exec_lo
	v_cmpx_lt_u32_e32 1, v4
; %bb.5:
	s_delay_alu instid0(VALU_DEP_3) | instskip(NEXT) | instid1(VALU_DEP_1)
	v_add_co_u32 v3, s0, v1, v8
	v_add_co_ci_u32_e64 v2, s0, 0, v2, s0
	s_delay_alu instid0(VALU_DEP_2) | instskip(NEXT) | instid1(VALU_DEP_1)
	v_add_co_u32 v1, s0, 0, v3
	v_add_co_ci_u32_e64 v2, s0, v7, v2, s0
; %bb.6:
	s_or_b32 exec_lo, exec_lo, s1
	v_mov_b32_dpp v8, v3 row_shr:4 row_mask:0xf bank_mask:0xf
	s_delay_alu instid0(VALU_DEP_2)
	v_mov_b32_dpp v7, v2 row_shr:4 row_mask:0xf bank_mask:0xf
	s_mov_b32 s1, exec_lo
	v_cmpx_lt_u32_e32 3, v4
; %bb.7:
	s_delay_alu instid0(VALU_DEP_3) | instskip(NEXT) | instid1(VALU_DEP_1)
	v_add_co_u32 v3, s0, v1, v8
	v_add_co_ci_u32_e64 v2, s0, 0, v2, s0
	s_delay_alu instid0(VALU_DEP_2) | instskip(NEXT) | instid1(VALU_DEP_1)
	v_add_co_u32 v1, s0, 0, v3
	;; [unrolled: 14-line block ×3, first 2 shown]
	v_add_co_ci_u32_e64 v2, s0, v7, v2, s0
; %bb.10:
	s_or_b32 exec_lo, exec_lo, s1
	ds_swizzle_b32 v4, v3 offset:swizzle(BROADCAST,32,15)
	ds_swizzle_b32 v3, v2 offset:swizzle(BROADCAST,32,15)
	v_and_b32_e32 v7, 16, v6
	s_mov_b32 s1, exec_lo
	s_delay_alu instid0(VALU_DEP_1)
	v_cmpx_ne_u32_e32 0, v7
	s_cbranch_execz .LBB11_12
; %bb.11:
	s_waitcnt lgkmcnt(1)
	v_add_co_u32 v1, s0, v1, v4
	s_delay_alu instid0(VALU_DEP_1) | instskip(NEXT) | instid1(VALU_DEP_2)
	v_add_co_ci_u32_e64 v2, s0, 0, v2, s0
	v_add_co_u32 v1, s0, v1, 0
	s_waitcnt lgkmcnt(0)
	s_delay_alu instid0(VALU_DEP_2)
	v_add_co_ci_u32_e64 v2, s0, v2, v3, s0
.LBB11_12:
	s_or_b32 exec_lo, exec_lo, s1
	s_waitcnt lgkmcnt(0)
	v_or_b32_e32 v3, 31, v0
	v_lshrrev_b32_e32 v7, 5, v0
	s_mov_b32 s1, exec_lo
	s_delay_alu instid0(VALU_DEP_2)
	v_cmpx_eq_u32_e64 v3, v0
	s_cbranch_execz .LBB11_14
; %bb.13:
	s_delay_alu instid0(VALU_DEP_2)
	v_lshlrev_b32_e32 v3, 3, v7
	ds_store_b64 v3, v[1:2]
.LBB11_14:
	s_or_b32 exec_lo, exec_lo, s1
	s_delay_alu instid0(SALU_CYCLE_1)
	s_mov_b32 s1, exec_lo
	s_waitcnt lgkmcnt(0)
	s_barrier
	buffer_gl0_inv
	v_cmpx_gt_u32_e32 8, v0
	s_cbranch_execz .LBB11_22
; %bb.15:
	ds_load_b64 v[3:4], v5
	v_and_b32_e32 v8, 7, v6
	s_mov_b32 s4, exec_lo
	s_waitcnt lgkmcnt(0)
	v_mov_b32_e32 v9, v3
	v_mov_b32_dpp v11, v3 row_shr:1 row_mask:0xf bank_mask:0xf
	v_mov_b32_dpp v10, v4 row_shr:1 row_mask:0xf bank_mask:0xf
	v_cmpx_ne_u32_e32 0, v8
; %bb.16:
	s_delay_alu instid0(VALU_DEP_3) | instskip(NEXT) | instid1(VALU_DEP_1)
	v_add_co_u32 v9, s0, v3, v11
	v_add_co_ci_u32_e64 v4, s0, 0, v4, s0
	s_delay_alu instid0(VALU_DEP_2) | instskip(NEXT) | instid1(VALU_DEP_1)
	v_add_co_u32 v3, s0, 0, v9
	v_add_co_ci_u32_e64 v4, s0, v10, v4, s0
; %bb.17:
	s_or_b32 exec_lo, exec_lo, s4
	v_mov_b32_dpp v11, v9 row_shr:2 row_mask:0xf bank_mask:0xf
	s_delay_alu instid0(VALU_DEP_2)
	v_mov_b32_dpp v10, v4 row_shr:2 row_mask:0xf bank_mask:0xf
	s_mov_b32 s4, exec_lo
	v_cmpx_lt_u32_e32 1, v8
; %bb.18:
	s_delay_alu instid0(VALU_DEP_3) | instskip(NEXT) | instid1(VALU_DEP_1)
	v_add_co_u32 v9, s0, v3, v11
	v_add_co_ci_u32_e64 v4, s0, 0, v4, s0
	s_delay_alu instid0(VALU_DEP_2) | instskip(NEXT) | instid1(VALU_DEP_1)
	v_add_co_u32 v3, s0, 0, v9
	v_add_co_ci_u32_e64 v4, s0, v10, v4, s0
; %bb.19:
	s_or_b32 exec_lo, exec_lo, s4
	v_mov_b32_dpp v10, v9 row_shr:4 row_mask:0xf bank_mask:0xf
	s_delay_alu instid0(VALU_DEP_2)
	v_mov_b32_dpp v9, v4 row_shr:4 row_mask:0xf bank_mask:0xf
	s_mov_b32 s4, exec_lo
	v_cmpx_lt_u32_e32 3, v8
; %bb.20:
	s_delay_alu instid0(VALU_DEP_3) | instskip(NEXT) | instid1(VALU_DEP_1)
	v_add_co_u32 v3, s0, v3, v10
	v_add_co_ci_u32_e64 v4, s0, 0, v4, s0
	s_delay_alu instid0(VALU_DEP_2) | instskip(NEXT) | instid1(VALU_DEP_1)
	v_add_co_u32 v3, s0, v3, 0
	v_add_co_ci_u32_e64 v4, s0, v4, v9, s0
; %bb.21:
	s_or_b32 exec_lo, exec_lo, s4
	ds_store_b64 v5, v[3:4]
.LBB11_22:
	s_or_b32 exec_lo, exec_lo, s1
	v_mov_b32_e32 v3, 0
	v_mov_b32_e32 v4, 0
	s_mov_b32 s1, exec_lo
	s_waitcnt lgkmcnt(0)
	s_barrier
	buffer_gl0_inv
	v_cmpx_lt_u32_e32 31, v0
	s_cbranch_execz .LBB11_24
; %bb.23:
	v_lshl_add_u32 v0, v7, 3, -8
	ds_load_b64 v[3:4], v0
.LBB11_24:
	s_or_b32 exec_lo, exec_lo, s1
	v_add_nc_u32_e32 v0, -1, v6
	s_delay_alu instid0(VALU_DEP_1) | instskip(NEXT) | instid1(VALU_DEP_1)
	v_cmp_gt_i32_e64 s0, 0, v0
	v_cndmask_b32_e64 v0, v0, v6, s0
	s_delay_alu instid0(VALU_DEP_1) | instskip(SKIP_2) | instid1(VALU_DEP_1)
	v_lshlrev_b32_e32 v7, 2, v0
	s_waitcnt lgkmcnt(0)
	v_add_co_u32 v0, s0, v3, v1
	v_add_co_ci_u32_e64 v1, s0, v4, v2, s0
	ds_bpermute_b32 v0, v7, v0
	ds_bpermute_b32 v1, v7, v1
	s_and_saveexec_b32 s0, vcc_lo
	s_cbranch_execz .LBB11_26
; %bb.25:
	v_cmp_eq_u32_e32 vcc_lo, 0, v6
	s_waitcnt lgkmcnt(0)
	v_dual_cndmask_b32 v1, v1, v4 :: v_dual_cndmask_b32 v0, v0, v3
	global_store_b64 v5, v[0:1], s[2:3]
.LBB11_26:
	s_nop 0
	s_sendmsg sendmsg(MSG_DEALLOC_VGPRS)
	s_endpgm
	.section	.rodata,"a",@progbits
	.p2align	6, 0x0
	.amdhsa_kernel _ZN7rocprim17ROCPRIM_304000_NS6detail31onesweep_scan_histograms_kernelINS1_34wrapped_radix_sort_onesweep_configINS0_14default_configEhN2at4cuda3cub6detail10OpaqueTypeILi8EEEEEmEEvPT0_
		.amdhsa_group_segment_fixed_size 64
		.amdhsa_private_segment_fixed_size 0
		.amdhsa_kernarg_size 8
		.amdhsa_user_sgpr_count 15
		.amdhsa_user_sgpr_dispatch_ptr 0
		.amdhsa_user_sgpr_queue_ptr 0
		.amdhsa_user_sgpr_kernarg_segment_ptr 1
		.amdhsa_user_sgpr_dispatch_id 0
		.amdhsa_user_sgpr_private_segment_size 0
		.amdhsa_wavefront_size32 1
		.amdhsa_uses_dynamic_stack 0
		.amdhsa_enable_private_segment 0
		.amdhsa_system_sgpr_workgroup_id_x 1
		.amdhsa_system_sgpr_workgroup_id_y 0
		.amdhsa_system_sgpr_workgroup_id_z 0
		.amdhsa_system_sgpr_workgroup_info 0
		.amdhsa_system_vgpr_workitem_id 0
		.amdhsa_next_free_vgpr 12
		.amdhsa_next_free_sgpr 16
		.amdhsa_reserve_vcc 1
		.amdhsa_float_round_mode_32 0
		.amdhsa_float_round_mode_16_64 0
		.amdhsa_float_denorm_mode_32 3
		.amdhsa_float_denorm_mode_16_64 3
		.amdhsa_dx10_clamp 1
		.amdhsa_ieee_mode 1
		.amdhsa_fp16_overflow 0
		.amdhsa_workgroup_processor_mode 1
		.amdhsa_memory_ordered 1
		.amdhsa_forward_progress 0
		.amdhsa_shared_vgpr_count 0
		.amdhsa_exception_fp_ieee_invalid_op 0
		.amdhsa_exception_fp_denorm_src 0
		.amdhsa_exception_fp_ieee_div_zero 0
		.amdhsa_exception_fp_ieee_overflow 0
		.amdhsa_exception_fp_ieee_underflow 0
		.amdhsa_exception_fp_ieee_inexact 0
		.amdhsa_exception_int_div_zero 0
	.end_amdhsa_kernel
	.section	.text._ZN7rocprim17ROCPRIM_304000_NS6detail31onesweep_scan_histograms_kernelINS1_34wrapped_radix_sort_onesweep_configINS0_14default_configEhN2at4cuda3cub6detail10OpaqueTypeILi8EEEEEmEEvPT0_,"axG",@progbits,_ZN7rocprim17ROCPRIM_304000_NS6detail31onesweep_scan_histograms_kernelINS1_34wrapped_radix_sort_onesweep_configINS0_14default_configEhN2at4cuda3cub6detail10OpaqueTypeILi8EEEEEmEEvPT0_,comdat
.Lfunc_end11:
	.size	_ZN7rocprim17ROCPRIM_304000_NS6detail31onesweep_scan_histograms_kernelINS1_34wrapped_radix_sort_onesweep_configINS0_14default_configEhN2at4cuda3cub6detail10OpaqueTypeILi8EEEEEmEEvPT0_, .Lfunc_end11-_ZN7rocprim17ROCPRIM_304000_NS6detail31onesweep_scan_histograms_kernelINS1_34wrapped_radix_sort_onesweep_configINS0_14default_configEhN2at4cuda3cub6detail10OpaqueTypeILi8EEEEEmEEvPT0_
                                        ; -- End function
	.section	.AMDGPU.csdata,"",@progbits
; Kernel info:
; codeLenInByte = 956
; NumSgprs: 18
; NumVgprs: 12
; ScratchSize: 0
; MemoryBound: 0
; FloatMode: 240
; IeeeMode: 1
; LDSByteSize: 64 bytes/workgroup (compile time only)
; SGPRBlocks: 2
; VGPRBlocks: 1
; NumSGPRsForWavesPerEU: 18
; NumVGPRsForWavesPerEU: 12
; Occupancy: 16
; WaveLimiterHint : 0
; COMPUTE_PGM_RSRC2:SCRATCH_EN: 0
; COMPUTE_PGM_RSRC2:USER_SGPR: 15
; COMPUTE_PGM_RSRC2:TRAP_HANDLER: 0
; COMPUTE_PGM_RSRC2:TGID_X_EN: 1
; COMPUTE_PGM_RSRC2:TGID_Y_EN: 0
; COMPUTE_PGM_RSRC2:TGID_Z_EN: 0
; COMPUTE_PGM_RSRC2:TIDIG_COMP_CNT: 0
	.section	.text._ZN7rocprim17ROCPRIM_304000_NS6detail16transform_kernelINS1_24wrapped_transform_configINS0_14default_configEhEEhPKhPhNS0_8identityIhEEEEvT1_mT2_T3_,"axG",@progbits,_ZN7rocprim17ROCPRIM_304000_NS6detail16transform_kernelINS1_24wrapped_transform_configINS0_14default_configEhEEhPKhPhNS0_8identityIhEEEEvT1_mT2_T3_,comdat
	.protected	_ZN7rocprim17ROCPRIM_304000_NS6detail16transform_kernelINS1_24wrapped_transform_configINS0_14default_configEhEEhPKhPhNS0_8identityIhEEEEvT1_mT2_T3_ ; -- Begin function _ZN7rocprim17ROCPRIM_304000_NS6detail16transform_kernelINS1_24wrapped_transform_configINS0_14default_configEhEEhPKhPhNS0_8identityIhEEEEvT1_mT2_T3_
	.globl	_ZN7rocprim17ROCPRIM_304000_NS6detail16transform_kernelINS1_24wrapped_transform_configINS0_14default_configEhEEhPKhPhNS0_8identityIhEEEEvT1_mT2_T3_
	.p2align	8
	.type	_ZN7rocprim17ROCPRIM_304000_NS6detail16transform_kernelINS1_24wrapped_transform_configINS0_14default_configEhEEhPKhPhNS0_8identityIhEEEEvT1_mT2_T3_,@function
_ZN7rocprim17ROCPRIM_304000_NS6detail16transform_kernelINS1_24wrapped_transform_configINS0_14default_configEhEEhPKhPhNS0_8identityIhEEEEvT1_mT2_T3_: ; @_ZN7rocprim17ROCPRIM_304000_NS6detail16transform_kernelINS1_24wrapped_transform_configINS0_14default_configEhEEhPKhPhNS0_8identityIhEEEEvT1_mT2_T3_
; %bb.0:
	s_clause 0x2
	s_load_b32 s2, s[0:1], 0x20
	s_load_b128 s[4:7], s[0:1], 0x0
	s_load_b64 s[8:9], s[0:1], 0x10
	s_lshl_b32 s3, s15, 12
	s_waitcnt lgkmcnt(0)
	s_add_i32 s2, s2, -1
	s_add_u32 s0, s4, s3
	s_addc_u32 s1, s5, 0
	v_add_co_u32 v1, s0, s0, v0
	s_delay_alu instid0(VALU_DEP_1)
	v_add_co_ci_u32_e64 v2, null, s1, 0, s0
	s_mov_b32 s4, 0
	s_cmp_lg_u32 s15, s2
	s_mov_b32 s0, -1
	s_cbranch_scc0 .LBB12_2
; %bb.1:
	s_clause 0x3
	global_load_u8 v6, v[1:2], off
	global_load_u8 v7, v[1:2], off offset:1024
	global_load_u8 v8, v[1:2], off offset:2048
	;; [unrolled: 1-line block ×3, first 2 shown]
	s_add_u32 s0, s8, s3
	s_addc_u32 s1, s9, 0
	v_add_co_u32 v4, s0, s0, v0
	s_delay_alu instid0(VALU_DEP_1)
	v_add_co_ci_u32_e64 v5, null, s1, 0, s0
	s_mov_b32 s4, -1
	s_waitcnt vmcnt(3)
	global_store_b8 v[4:5], v6, off
	s_waitcnt vmcnt(2)
	global_store_b8 v[4:5], v7, off offset:1024
	s_waitcnt vmcnt(1)
	global_store_b8 v[4:5], v8, off offset:2048
	s_cbranch_execz .LBB12_3
	s_branch .LBB12_17
.LBB12_2:
                                        ; implicit-def: $vgpr3
	s_and_not1_b32 vcc_lo, exec_lo, s0
	s_cbranch_vccnz .LBB12_17
.LBB12_3:
	s_sub_i32 s2, s6, s3
                                        ; implicit-def: $vgpr4
	s_delay_alu instid0(SALU_CYCLE_1)
	v_cmp_gt_u32_e32 vcc_lo, s2, v0
	s_and_saveexec_b32 s0, vcc_lo
	s_cbranch_execz .LBB12_5
; %bb.4:
	global_load_u8 v4, v[1:2], off
.LBB12_5:
	s_or_b32 exec_lo, exec_lo, s0
	s_waitcnt vmcnt(0)
	v_or_b32_e32 v3, 0x400, v0
                                        ; implicit-def: $vgpr6
	s_delay_alu instid0(VALU_DEP_1) | instskip(NEXT) | instid1(VALU_DEP_1)
	v_cmp_gt_u32_e64 s0, s2, v3
	s_and_saveexec_b32 s1, s0
	s_cbranch_execz .LBB12_7
; %bb.6:
	global_load_u8 v6, v[1:2], off offset:1024
.LBB12_7:
	s_or_b32 exec_lo, exec_lo, s1
	v_or_b32_e32 v3, 0x800, v0
	s_delay_alu instid0(VALU_DEP_1) | instskip(NEXT) | instid1(VALU_DEP_1)
	v_cmp_gt_u32_e64 s1, s2, v3
                                        ; implicit-def: $vgpr3
	s_and_saveexec_b32 s5, s1
	s_cbranch_execz .LBB12_9
; %bb.8:
	global_load_u8 v3, v[1:2], off offset:2048
.LBB12_9:
	s_or_b32 exec_lo, exec_lo, s5
	v_or_b32_e32 v5, 0xc00, v0
	s_delay_alu instid0(VALU_DEP_1) | instskip(NEXT) | instid1(VALU_DEP_1)
	v_cmp_gt_u32_e64 s2, s2, v5
                                        ; implicit-def: $vgpr5
	s_and_saveexec_b32 s5, s2
	s_cbranch_execz .LBB12_11
; %bb.10:
	global_load_u8 v5, v[1:2], off offset:3072
.LBB12_11:
	s_or_b32 exec_lo, exec_lo, s5
	v_and_b32_e32 v1, 0xff, v4
	s_waitcnt vmcnt(0)
	v_lshlrev_b16 v2, 8, v6
	v_and_b32_e32 v4, 0xff, v3
	v_lshlrev_b16 v6, 8, v5
	s_add_u32 s5, s8, s3
	s_addc_u32 s6, s9, 0
	v_or_b32_e32 v1, v1, v2
	s_delay_alu instid0(VALU_DEP_2) | instskip(NEXT) | instid1(VALU_DEP_2)
	v_or_b32_e32 v2, v4, v6
	v_and_b32_e32 v1, 0xffff, v1
	s_delay_alu instid0(VALU_DEP_2) | instskip(NEXT) | instid1(VALU_DEP_1)
	v_lshlrev_b32_e32 v2, 16, v2
	v_or_b32_e32 v4, v1, v2
	v_add_co_u32 v1, s5, s5, v0
	s_delay_alu instid0(VALU_DEP_1)
	v_add_co_ci_u32_e64 v2, null, s6, 0, s5
	s_and_saveexec_b32 s5, vcc_lo
	s_cbranch_execnz .LBB12_20
; %bb.12:
	s_or_b32 exec_lo, exec_lo, s5
	s_and_saveexec_b32 s5, s0
	s_cbranch_execnz .LBB12_21
.LBB12_13:
	s_or_b32 exec_lo, exec_lo, s5
	v_perm_b32 v4, v4, v4, 0x7060104
	s_and_saveexec_b32 s0, s1
	s_cbranch_execnz .LBB12_22
.LBB12_14:
	s_or_b32 exec_lo, exec_lo, s0
                                        ; implicit-def: $vgpr3
	s_and_saveexec_b32 s0, s2
.LBB12_15:
	v_lshlrev_b32_e32 v1, 24, v5
	s_or_b32 s4, s4, exec_lo
	s_delay_alu instid0(VALU_DEP_1) | instskip(NEXT) | instid1(VALU_DEP_1)
	v_cndmask_b32_e64 v1, v4, v1, s2
	v_lshrrev_b32_e32 v3, 24, v1
.LBB12_16:
	s_or_b32 exec_lo, exec_lo, s0
.LBB12_17:
	s_and_saveexec_b32 s0, s4
	s_cbranch_execnz .LBB12_19
; %bb.18:
	s_nop 0
	s_sendmsg sendmsg(MSG_DEALLOC_VGPRS)
	s_endpgm
.LBB12_19:
	s_add_u32 s0, s8, s3
	s_addc_u32 s1, s9, 0
	v_add_co_u32 v0, s0, s0, v0
	s_delay_alu instid0(VALU_DEP_1)
	v_add_co_ci_u32_e64 v1, null, s1, 0, s0
	s_waitcnt vmcnt(0)
	global_store_b8 v[0:1], v3, off offset:3072
	s_nop 0
	s_sendmsg sendmsg(MSG_DEALLOC_VGPRS)
	s_endpgm
.LBB12_20:
	global_store_b8 v[1:2], v4, off
	s_or_b32 exec_lo, exec_lo, s5
	s_and_saveexec_b32 s5, s0
	s_cbranch_execz .LBB12_13
.LBB12_21:
	v_lshrrev_b32_e32 v6, 8, v4
	global_store_b8 v[1:2], v6, off offset:1024
	s_or_b32 exec_lo, exec_lo, s5
	v_perm_b32 v4, v4, v4, 0x7060104
	s_and_saveexec_b32 s0, s1
	s_cbranch_execz .LBB12_14
.LBB12_22:
	v_lshlrev_b32_e32 v3, 16, v3
	s_delay_alu instid0(VALU_DEP_1)
	v_cndmask_b32_e64 v3, v4, v3, s1
	global_store_d16_hi_b8 v[1:2], v3, off offset:2048
	s_or_b32 exec_lo, exec_lo, s0
                                        ; implicit-def: $vgpr3
	s_and_saveexec_b32 s0, s2
	s_cbranch_execnz .LBB12_15
	s_branch .LBB12_16
	.section	.rodata,"a",@progbits
	.p2align	6, 0x0
	.amdhsa_kernel _ZN7rocprim17ROCPRIM_304000_NS6detail16transform_kernelINS1_24wrapped_transform_configINS0_14default_configEhEEhPKhPhNS0_8identityIhEEEEvT1_mT2_T3_
		.amdhsa_group_segment_fixed_size 0
		.amdhsa_private_segment_fixed_size 0
		.amdhsa_kernarg_size 288
		.amdhsa_user_sgpr_count 15
		.amdhsa_user_sgpr_dispatch_ptr 0
		.amdhsa_user_sgpr_queue_ptr 0
		.amdhsa_user_sgpr_kernarg_segment_ptr 1
		.amdhsa_user_sgpr_dispatch_id 0
		.amdhsa_user_sgpr_private_segment_size 0
		.amdhsa_wavefront_size32 1
		.amdhsa_uses_dynamic_stack 0
		.amdhsa_enable_private_segment 0
		.amdhsa_system_sgpr_workgroup_id_x 1
		.amdhsa_system_sgpr_workgroup_id_y 0
		.amdhsa_system_sgpr_workgroup_id_z 0
		.amdhsa_system_sgpr_workgroup_info 0
		.amdhsa_system_vgpr_workitem_id 0
		.amdhsa_next_free_vgpr 9
		.amdhsa_next_free_sgpr 16
		.amdhsa_reserve_vcc 1
		.amdhsa_float_round_mode_32 0
		.amdhsa_float_round_mode_16_64 0
		.amdhsa_float_denorm_mode_32 3
		.amdhsa_float_denorm_mode_16_64 3
		.amdhsa_dx10_clamp 1
		.amdhsa_ieee_mode 1
		.amdhsa_fp16_overflow 0
		.amdhsa_workgroup_processor_mode 1
		.amdhsa_memory_ordered 1
		.amdhsa_forward_progress 0
		.amdhsa_shared_vgpr_count 0
		.amdhsa_exception_fp_ieee_invalid_op 0
		.amdhsa_exception_fp_denorm_src 0
		.amdhsa_exception_fp_ieee_div_zero 0
		.amdhsa_exception_fp_ieee_overflow 0
		.amdhsa_exception_fp_ieee_underflow 0
		.amdhsa_exception_fp_ieee_inexact 0
		.amdhsa_exception_int_div_zero 0
	.end_amdhsa_kernel
	.section	.text._ZN7rocprim17ROCPRIM_304000_NS6detail16transform_kernelINS1_24wrapped_transform_configINS0_14default_configEhEEhPKhPhNS0_8identityIhEEEEvT1_mT2_T3_,"axG",@progbits,_ZN7rocprim17ROCPRIM_304000_NS6detail16transform_kernelINS1_24wrapped_transform_configINS0_14default_configEhEEhPKhPhNS0_8identityIhEEEEvT1_mT2_T3_,comdat
.Lfunc_end12:
	.size	_ZN7rocprim17ROCPRIM_304000_NS6detail16transform_kernelINS1_24wrapped_transform_configINS0_14default_configEhEEhPKhPhNS0_8identityIhEEEEvT1_mT2_T3_, .Lfunc_end12-_ZN7rocprim17ROCPRIM_304000_NS6detail16transform_kernelINS1_24wrapped_transform_configINS0_14default_configEhEEhPKhPhNS0_8identityIhEEEEvT1_mT2_T3_
                                        ; -- End function
	.section	.AMDGPU.csdata,"",@progbits
; Kernel info:
; codeLenInByte = 704
; NumSgprs: 18
; NumVgprs: 9
; ScratchSize: 0
; MemoryBound: 0
; FloatMode: 240
; IeeeMode: 1
; LDSByteSize: 0 bytes/workgroup (compile time only)
; SGPRBlocks: 2
; VGPRBlocks: 1
; NumSGPRsForWavesPerEU: 18
; NumVGPRsForWavesPerEU: 9
; Occupancy: 16
; WaveLimiterHint : 1
; COMPUTE_PGM_RSRC2:SCRATCH_EN: 0
; COMPUTE_PGM_RSRC2:USER_SGPR: 15
; COMPUTE_PGM_RSRC2:TRAP_HANDLER: 0
; COMPUTE_PGM_RSRC2:TGID_X_EN: 1
; COMPUTE_PGM_RSRC2:TGID_Y_EN: 0
; COMPUTE_PGM_RSRC2:TGID_Z_EN: 0
; COMPUTE_PGM_RSRC2:TIDIG_COMP_CNT: 0
	.section	.text._ZN7rocprim17ROCPRIM_304000_NS6detail16transform_kernelINS1_24wrapped_transform_configINS0_14default_configEN2at4cuda3cub6detail10OpaqueTypeILi8EEEEESA_PKSA_PSA_NS0_8identityISA_EEEEvT1_mT2_T3_,"axG",@progbits,_ZN7rocprim17ROCPRIM_304000_NS6detail16transform_kernelINS1_24wrapped_transform_configINS0_14default_configEN2at4cuda3cub6detail10OpaqueTypeILi8EEEEESA_PKSA_PSA_NS0_8identityISA_EEEEvT1_mT2_T3_,comdat
	.protected	_ZN7rocprim17ROCPRIM_304000_NS6detail16transform_kernelINS1_24wrapped_transform_configINS0_14default_configEN2at4cuda3cub6detail10OpaqueTypeILi8EEEEESA_PKSA_PSA_NS0_8identityISA_EEEEvT1_mT2_T3_ ; -- Begin function _ZN7rocprim17ROCPRIM_304000_NS6detail16transform_kernelINS1_24wrapped_transform_configINS0_14default_configEN2at4cuda3cub6detail10OpaqueTypeILi8EEEEESA_PKSA_PSA_NS0_8identityISA_EEEEvT1_mT2_T3_
	.globl	_ZN7rocprim17ROCPRIM_304000_NS6detail16transform_kernelINS1_24wrapped_transform_configINS0_14default_configEN2at4cuda3cub6detail10OpaqueTypeILi8EEEEESA_PKSA_PSA_NS0_8identityISA_EEEEvT1_mT2_T3_
	.p2align	8
	.type	_ZN7rocprim17ROCPRIM_304000_NS6detail16transform_kernelINS1_24wrapped_transform_configINS0_14default_configEN2at4cuda3cub6detail10OpaqueTypeILi8EEEEESA_PKSA_PSA_NS0_8identityISA_EEEEvT1_mT2_T3_,@function
_ZN7rocprim17ROCPRIM_304000_NS6detail16transform_kernelINS1_24wrapped_transform_configINS0_14default_configEN2at4cuda3cub6detail10OpaqueTypeILi8EEEEESA_PKSA_PSA_NS0_8identityISA_EEEEvT1_mT2_T3_: ; @_ZN7rocprim17ROCPRIM_304000_NS6detail16transform_kernelINS1_24wrapped_transform_configINS0_14default_configEN2at4cuda3cub6detail10OpaqueTypeILi8EEEEESA_PKSA_PSA_NS0_8identityISA_EEEEvT1_mT2_T3_
; %bb.0:
	s_clause 0x2
	s_load_b32 s3, s[0:1], 0x20
	s_load_b128 s[4:7], s[0:1], 0x0
	s_load_b64 s[0:1], s[0:1], 0x10
	v_lshlrev_b32_e32 v2, 3, v0
	s_lshl_b32 s2, s15, 9
	s_waitcnt lgkmcnt(0)
	s_add_i32 s7, s3, -1
	s_mov_b32 s3, 0
	s_cmp_lg_u32 s15, s7
	s_mov_b32 s7, -1
	s_cbranch_scc0 .LBB13_2
; %bb.1:
	s_lshl_b64 s[8:9], s[2:3], 3
	s_mov_b32 s7, s3
	s_add_u32 s10, s4, s8
	s_addc_u32 s11, s5, s9
	s_add_u32 s8, s0, s8
	global_load_b64 v[3:4], v2, s[10:11]
	s_addc_u32 s9, s1, s9
	s_waitcnt vmcnt(0)
	global_store_b64 v2, v[3:4], s[8:9]
.LBB13_2:
	s_and_not1_b32 vcc_lo, exec_lo, s7
	s_cbranch_vccnz .LBB13_7
; %bb.3:
	s_sub_i32 s6, s6, s2
	s_delay_alu instid0(SALU_CYCLE_1)
	v_cmp_gt_u32_e32 vcc_lo, s6, v0
                                        ; implicit-def: $vgpr0_vgpr1
	s_and_saveexec_b32 s6, vcc_lo
	s_cbranch_execz .LBB13_5
; %bb.4:
	s_lshl_b64 s[8:9], s[2:3], 3
	s_delay_alu instid0(SALU_CYCLE_1)
	s_add_u32 s4, s4, s8
	s_addc_u32 s5, s5, s9
	global_load_b64 v[0:1], v2, s[4:5]
.LBB13_5:
	s_or_b32 exec_lo, exec_lo, s6
	s_and_saveexec_b32 s4, vcc_lo
	s_cbranch_execz .LBB13_7
; %bb.6:
	s_lshl_b64 s[2:3], s[2:3], 3
	s_delay_alu instid0(SALU_CYCLE_1)
	s_add_u32 s0, s0, s2
	s_addc_u32 s1, s1, s3
	s_waitcnt vmcnt(0)
	global_store_b64 v2, v[0:1], s[0:1]
.LBB13_7:
	s_nop 0
	s_sendmsg sendmsg(MSG_DEALLOC_VGPRS)
	s_endpgm
	.section	.rodata,"a",@progbits
	.p2align	6, 0x0
	.amdhsa_kernel _ZN7rocprim17ROCPRIM_304000_NS6detail16transform_kernelINS1_24wrapped_transform_configINS0_14default_configEN2at4cuda3cub6detail10OpaqueTypeILi8EEEEESA_PKSA_PSA_NS0_8identityISA_EEEEvT1_mT2_T3_
		.amdhsa_group_segment_fixed_size 0
		.amdhsa_private_segment_fixed_size 0
		.amdhsa_kernarg_size 288
		.amdhsa_user_sgpr_count 15
		.amdhsa_user_sgpr_dispatch_ptr 0
		.amdhsa_user_sgpr_queue_ptr 0
		.amdhsa_user_sgpr_kernarg_segment_ptr 1
		.amdhsa_user_sgpr_dispatch_id 0
		.amdhsa_user_sgpr_private_segment_size 0
		.amdhsa_wavefront_size32 1
		.amdhsa_uses_dynamic_stack 0
		.amdhsa_enable_private_segment 0
		.amdhsa_system_sgpr_workgroup_id_x 1
		.amdhsa_system_sgpr_workgroup_id_y 0
		.amdhsa_system_sgpr_workgroup_id_z 0
		.amdhsa_system_sgpr_workgroup_info 0
		.amdhsa_system_vgpr_workitem_id 0
		.amdhsa_next_free_vgpr 5
		.amdhsa_next_free_sgpr 16
		.amdhsa_reserve_vcc 1
		.amdhsa_float_round_mode_32 0
		.amdhsa_float_round_mode_16_64 0
		.amdhsa_float_denorm_mode_32 3
		.amdhsa_float_denorm_mode_16_64 3
		.amdhsa_dx10_clamp 1
		.amdhsa_ieee_mode 1
		.amdhsa_fp16_overflow 0
		.amdhsa_workgroup_processor_mode 1
		.amdhsa_memory_ordered 1
		.amdhsa_forward_progress 0
		.amdhsa_shared_vgpr_count 0
		.amdhsa_exception_fp_ieee_invalid_op 0
		.amdhsa_exception_fp_denorm_src 0
		.amdhsa_exception_fp_ieee_div_zero 0
		.amdhsa_exception_fp_ieee_overflow 0
		.amdhsa_exception_fp_ieee_underflow 0
		.amdhsa_exception_fp_ieee_inexact 0
		.amdhsa_exception_int_div_zero 0
	.end_amdhsa_kernel
	.section	.text._ZN7rocprim17ROCPRIM_304000_NS6detail16transform_kernelINS1_24wrapped_transform_configINS0_14default_configEN2at4cuda3cub6detail10OpaqueTypeILi8EEEEESA_PKSA_PSA_NS0_8identityISA_EEEEvT1_mT2_T3_,"axG",@progbits,_ZN7rocprim17ROCPRIM_304000_NS6detail16transform_kernelINS1_24wrapped_transform_configINS0_14default_configEN2at4cuda3cub6detail10OpaqueTypeILi8EEEEESA_PKSA_PSA_NS0_8identityISA_EEEEvT1_mT2_T3_,comdat
.Lfunc_end13:
	.size	_ZN7rocprim17ROCPRIM_304000_NS6detail16transform_kernelINS1_24wrapped_transform_configINS0_14default_configEN2at4cuda3cub6detail10OpaqueTypeILi8EEEEESA_PKSA_PSA_NS0_8identityISA_EEEEvT1_mT2_T3_, .Lfunc_end13-_ZN7rocprim17ROCPRIM_304000_NS6detail16transform_kernelINS1_24wrapped_transform_configINS0_14default_configEN2at4cuda3cub6detail10OpaqueTypeILi8EEEEESA_PKSA_PSA_NS0_8identityISA_EEEEvT1_mT2_T3_
                                        ; -- End function
	.section	.AMDGPU.csdata,"",@progbits
; Kernel info:
; codeLenInByte = 208
; NumSgprs: 18
; NumVgprs: 5
; ScratchSize: 0
; MemoryBound: 0
; FloatMode: 240
; IeeeMode: 1
; LDSByteSize: 0 bytes/workgroup (compile time only)
; SGPRBlocks: 2
; VGPRBlocks: 0
; NumSGPRsForWavesPerEU: 18
; NumVGPRsForWavesPerEU: 5
; Occupancy: 16
; WaveLimiterHint : 0
; COMPUTE_PGM_RSRC2:SCRATCH_EN: 0
; COMPUTE_PGM_RSRC2:USER_SGPR: 15
; COMPUTE_PGM_RSRC2:TRAP_HANDLER: 0
; COMPUTE_PGM_RSRC2:TGID_X_EN: 1
; COMPUTE_PGM_RSRC2:TGID_Y_EN: 0
; COMPUTE_PGM_RSRC2:TGID_Z_EN: 0
; COMPUTE_PGM_RSRC2:TIDIG_COMP_CNT: 0
	.section	.text._ZN7rocprim17ROCPRIM_304000_NS6detail25onesweep_iteration_kernelINS1_34wrapped_radix_sort_onesweep_configINS0_14default_configEhN2at4cuda3cub6detail10OpaqueTypeILi8EEEEELb1EPKhPhPKSA_PSA_mNS0_19identity_decomposerEEEvT1_T2_T3_T4_jPT5_SO_PNS1_23onesweep_lookback_stateET6_jjj,"axG",@progbits,_ZN7rocprim17ROCPRIM_304000_NS6detail25onesweep_iteration_kernelINS1_34wrapped_radix_sort_onesweep_configINS0_14default_configEhN2at4cuda3cub6detail10OpaqueTypeILi8EEEEELb1EPKhPhPKSA_PSA_mNS0_19identity_decomposerEEEvT1_T2_T3_T4_jPT5_SO_PNS1_23onesweep_lookback_stateET6_jjj,comdat
	.protected	_ZN7rocprim17ROCPRIM_304000_NS6detail25onesweep_iteration_kernelINS1_34wrapped_radix_sort_onesweep_configINS0_14default_configEhN2at4cuda3cub6detail10OpaqueTypeILi8EEEEELb1EPKhPhPKSA_PSA_mNS0_19identity_decomposerEEEvT1_T2_T3_T4_jPT5_SO_PNS1_23onesweep_lookback_stateET6_jjj ; -- Begin function _ZN7rocprim17ROCPRIM_304000_NS6detail25onesweep_iteration_kernelINS1_34wrapped_radix_sort_onesweep_configINS0_14default_configEhN2at4cuda3cub6detail10OpaqueTypeILi8EEEEELb1EPKhPhPKSA_PSA_mNS0_19identity_decomposerEEEvT1_T2_T3_T4_jPT5_SO_PNS1_23onesweep_lookback_stateET6_jjj
	.globl	_ZN7rocprim17ROCPRIM_304000_NS6detail25onesweep_iteration_kernelINS1_34wrapped_radix_sort_onesweep_configINS0_14default_configEhN2at4cuda3cub6detail10OpaqueTypeILi8EEEEELb1EPKhPhPKSA_PSA_mNS0_19identity_decomposerEEEvT1_T2_T3_T4_jPT5_SO_PNS1_23onesweep_lookback_stateET6_jjj
	.p2align	8
	.type	_ZN7rocprim17ROCPRIM_304000_NS6detail25onesweep_iteration_kernelINS1_34wrapped_radix_sort_onesweep_configINS0_14default_configEhN2at4cuda3cub6detail10OpaqueTypeILi8EEEEELb1EPKhPhPKSA_PSA_mNS0_19identity_decomposerEEEvT1_T2_T3_T4_jPT5_SO_PNS1_23onesweep_lookback_stateET6_jjj,@function
_ZN7rocprim17ROCPRIM_304000_NS6detail25onesweep_iteration_kernelINS1_34wrapped_radix_sort_onesweep_configINS0_14default_configEhN2at4cuda3cub6detail10OpaqueTypeILi8EEEEELb1EPKhPhPKSA_PSA_mNS0_19identity_decomposerEEEvT1_T2_T3_T4_jPT5_SO_PNS1_23onesweep_lookback_stateET6_jjj: ; @_ZN7rocprim17ROCPRIM_304000_NS6detail25onesweep_iteration_kernelINS1_34wrapped_radix_sort_onesweep_configINS0_14default_configEhN2at4cuda3cub6detail10OpaqueTypeILi8EEEEELb1EPKhPhPKSA_PSA_mNS0_19identity_decomposerEEEvT1_T2_T3_T4_jPT5_SO_PNS1_23onesweep_lookback_stateET6_jjj
; %bb.0:
	s_clause 0x3
	s_load_b128 s[60:63], s[0:1], 0x44
	s_load_b256 s[48:55], s[0:1], 0x0
	s_load_b128 s[56:59], s[0:1], 0x28
	s_load_b64 s[66:67], s[0:1], 0x38
	v_and_b32_e32 v1, 0x3ff, v0
	v_mbcnt_lo_u32_b32 v51, -1, 0
	s_waitcnt lgkmcnt(0)
	s_mov_b32 s63, s15
	s_mul_i32 s64, s15, 0x1600
	s_cmp_ge_u32 s15, s62
	s_cbranch_scc0 .LBB14_218
; %bb.1:
	s_load_b32 s2, s[0:1], 0x20
	v_dual_mov_b32 v12, 0 :: v_dual_and_b32 v11, 0xe0, v1
	s_mul_i32 s47, s62, 0xffffea00
	v_mov_b32_e32 v13, 0
	s_mov_b32 s65, 0
	s_delay_alu instid0(VALU_DEP_2) | instskip(NEXT) | instid1(VALU_DEP_1)
	v_mul_u32_u24_e32 v10, 22, v11
	v_or_b32_e32 v14, v51, v10
	s_waitcnt lgkmcnt(0)
	s_add_i32 s47, s47, s2
	s_add_u32 s2, s48, s64
	s_addc_u32 s3, s49, 0
	v_add_co_u32 v2, s2, s2, v51
	s_delay_alu instid0(VALU_DEP_1) | instskip(SKIP_1) | instid1(VALU_DEP_3)
	v_add_co_ci_u32_e64 v3, null, s3, 0, s2
	v_cmp_gt_u32_e32 vcc_lo, s47, v14
	v_add_co_u32 v2, s2, v2, v10
	s_delay_alu instid0(VALU_DEP_1)
	v_add_co_ci_u32_e64 v3, s2, 0, v3, s2
	s_and_saveexec_b32 s2, vcc_lo
	s_cbranch_execz .LBB14_3
; %bb.2:
	global_load_u8 v12, v[2:3], off
.LBB14_3:
	s_or_b32 exec_lo, exec_lo, s2
	v_add_nc_u32_e32 v4, 32, v14
	s_delay_alu instid0(VALU_DEP_1) | instskip(NEXT) | instid1(VALU_DEP_1)
	v_cmp_gt_u32_e64 s2, s47, v4
	s_and_saveexec_b32 s3, s2
	s_cbranch_execz .LBB14_5
; %bb.4:
	global_load_u8 v13, v[2:3], off offset:32
.LBB14_5:
	s_or_b32 exec_lo, exec_lo, s3
	v_dual_mov_b32 v21, 0 :: v_dual_add_nc_u32 v4, 64, v14
	v_mov_b32_e32 v17, 0
	s_delay_alu instid0(VALU_DEP_2) | instskip(NEXT) | instid1(VALU_DEP_1)
	v_cmp_gt_u32_e64 s3, s47, v4
	s_and_saveexec_b32 s4, s3
	s_cbranch_execz .LBB14_7
; %bb.6:
	global_load_u8 v17, v[2:3], off offset:64
.LBB14_7:
	s_or_b32 exec_lo, exec_lo, s4
	v_add_nc_u32_e32 v4, 0x60, v14
	s_delay_alu instid0(VALU_DEP_1) | instskip(NEXT) | instid1(VALU_DEP_1)
	v_cmp_gt_u32_e64 s4, s47, v4
	s_and_saveexec_b32 s5, s4
	s_cbranch_execz .LBB14_9
; %bb.8:
	global_load_u8 v21, v[2:3], off offset:96
.LBB14_9:
	s_or_b32 exec_lo, exec_lo, s5
	v_dual_mov_b32 v29, 0 :: v_dual_add_nc_u32 v4, 0x80, v14
	v_mov_b32_e32 v25, 0
	s_delay_alu instid0(VALU_DEP_2) | instskip(NEXT) | instid1(VALU_DEP_1)
	v_cmp_gt_u32_e64 s5, s47, v4
	s_and_saveexec_b32 s6, s5
	s_cbranch_execz .LBB14_11
; %bb.10:
	global_load_u8 v25, v[2:3], off offset:128
.LBB14_11:
	;; [unrolled: 19-line block ×5, first 2 shown]
	s_or_b32 exec_lo, exec_lo, s12
	v_add_nc_u32_e32 v4, 0x160, v14
	s_delay_alu instid0(VALU_DEP_1) | instskip(NEXT) | instid1(VALU_DEP_1)
	v_cmp_gt_u32_e64 s12, s47, v4
	s_and_saveexec_b32 s13, s12
	s_cbranch_execz .LBB14_25
; %bb.24:
	global_load_u8 v58, v[2:3], off offset:352
.LBB14_25:
	s_or_b32 exec_lo, exec_lo, s13
	v_add_nc_u32_e32 v4, 0x180, v14
	v_mov_b32_e32 v50, 0
	v_mov_b32_e32 v56, 0
	s_delay_alu instid0(VALU_DEP_3) | instskip(NEXT) | instid1(VALU_DEP_1)
	v_cmp_gt_u32_e64 s13, s47, v4
	s_and_saveexec_b32 s14, s13
	s_cbranch_execz .LBB14_27
; %bb.26:
	global_load_u8 v56, v[2:3], off offset:384
.LBB14_27:
	s_or_b32 exec_lo, exec_lo, s14
	v_add_nc_u32_e32 v4, 0x1a0, v14
	s_delay_alu instid0(VALU_DEP_1) | instskip(NEXT) | instid1(VALU_DEP_1)
	v_cmp_gt_u32_e64 s14, s47, v4
	s_and_saveexec_b32 s16, s14
	s_cbranch_execz .LBB14_29
; %bb.28:
	global_load_u8 v50, v[2:3], off offset:416
.LBB14_29:
	s_or_b32 exec_lo, exec_lo, s16
	v_dual_mov_b32 v41, 0 :: v_dual_add_nc_u32 v4, 0x1c0, v14
	v_mov_b32_e32 v46, 0
	s_delay_alu instid0(VALU_DEP_2) | instskip(NEXT) | instid1(VALU_DEP_1)
	v_cmp_gt_u32_e64 s16, s47, v4
	s_and_saveexec_b32 s17, s16
	s_cbranch_execz .LBB14_31
; %bb.30:
	global_load_u8 v46, v[2:3], off offset:448
.LBB14_31:
	s_or_b32 exec_lo, exec_lo, s17
	v_add_nc_u32_e32 v4, 0x1e0, v14
	s_delay_alu instid0(VALU_DEP_1) | instskip(NEXT) | instid1(VALU_DEP_1)
	v_cmp_gt_u32_e64 s18, s47, v4
	s_and_saveexec_b32 s17, s18
	s_cbranch_execz .LBB14_33
; %bb.32:
	global_load_u8 v41, v[2:3], off offset:480
.LBB14_33:
	s_or_b32 exec_lo, exec_lo, s17
	v_dual_mov_b32 v9, 0 :: v_dual_add_nc_u32 v4, 0x200, v14
	v_mov_b32_e32 v8, 0
	s_delay_alu instid0(VALU_DEP_2) | instskip(NEXT) | instid1(VALU_DEP_1)
	;; [unrolled: 19-line block ×3, first 2 shown]
	v_cmp_gt_u32_e64 s22, s47, v4
	s_and_saveexec_b32 s17, s22
	s_cbranch_execz .LBB14_39
; %bb.38:
	global_load_u8 v7, v[2:3], off offset:576
.LBB14_39:
	s_or_b32 exec_lo, exec_lo, s17
	v_add_nc_u32_e32 v4, 0x260, v14
	s_delay_alu instid0(VALU_DEP_1) | instskip(NEXT) | instid1(VALU_DEP_1)
	v_cmp_gt_u32_e64 s19, s47, v4
	s_and_saveexec_b32 s17, s19
	s_cbranch_execz .LBB14_41
; %bb.40:
	global_load_u8 v6, v[2:3], off offset:608
.LBB14_41:
	s_or_b32 exec_lo, exec_lo, s17
	v_dual_mov_b32 v4, 0 :: v_dual_add_nc_u32 v5, 0x280, v14
	s_delay_alu instid0(VALU_DEP_1) | instskip(SKIP_1) | instid1(VALU_DEP_2)
	v_cmp_gt_u32_e64 s20, s47, v5
	v_mov_b32_e32 v5, 0
	s_and_saveexec_b32 s17, s20
	s_cbranch_execz .LBB14_43
; %bb.42:
	global_load_u8 v5, v[2:3], off offset:640
.LBB14_43:
	s_or_b32 exec_lo, exec_lo, s17
	v_add_nc_u32_e32 v14, 0x2a0, v14
	s_delay_alu instid0(VALU_DEP_1) | instskip(NEXT) | instid1(VALU_DEP_1)
	v_cmp_gt_u32_e64 s17, s47, v14
	s_and_saveexec_b32 s24, s17
	s_cbranch_execz .LBB14_45
; %bb.44:
	global_load_u8 v4, v[2:3], off offset:672
.LBB14_45:
	s_or_b32 exec_lo, exec_lo, s24
	s_clause 0x1
	s_load_b32 s24, s[0:1], 0x5c
	s_load_b32 s62, s[0:1], 0x50
	s_add_u32 s25, s0, 0x50
	s_addc_u32 s26, s1, 0
	v_mov_b32_e32 v16, 0
	s_waitcnt vmcnt(0)
	v_xor_b32_e32 v12, -1, v12
	s_delay_alu instid0(VALU_DEP_1) | instskip(NEXT) | instid1(VALU_DEP_1)
	v_and_b32_e32 v2, 0xff, v12
	v_lshrrev_b32_e32 v2, s60, v2
	s_waitcnt lgkmcnt(0)
	s_lshr_b32 s27, s24, 16
	s_cmp_lt_u32 s15, s62
	s_cselect_b32 s24, 12, 18
	s_delay_alu instid0(SALU_CYCLE_1) | instskip(SKIP_3) | instid1(SALU_CYCLE_1)
	s_add_u32 s24, s25, s24
	s_addc_u32 s25, s26, 0
	global_load_u16 v14, v16, s[24:25]
	s_lshl_b32 s24, -1, s61
	s_not_b32 s68, s24
	s_delay_alu instid0(SALU_CYCLE_1) | instskip(SKIP_1) | instid1(VALU_DEP_2)
	v_and_b32_e32 v18, s68, v2
	v_bfe_u32 v2, v0, 10, 10
	v_and_b32_e32 v3, 1, v18
	v_lshlrev_b32_e32 v15, 30, v18
	v_lshlrev_b32_e32 v19, 29, v18
	;; [unrolled: 1-line block ×4, first 2 shown]
	v_add_co_u32 v3, s24, v3, -1
	s_delay_alu instid0(VALU_DEP_1)
	v_cndmask_b32_e64 v22, 0, 1, s24
	v_not_b32_e32 v27, v15
	v_cmp_gt_i32_e64 s25, 0, v15
	v_not_b32_e32 v15, v19
	v_lshlrev_b32_e32 v24, 26, v18
	v_cmp_ne_u32_e64 s24, 0, v22
	v_ashrrev_i32_e32 v27, 31, v27
	v_lshlrev_b32_e32 v26, 25, v18
	v_ashrrev_i32_e32 v15, 31, v15
	v_lshlrev_b32_e32 v22, 24, v18
	v_xor_b32_e32 v3, s24, v3
	v_cmp_gt_i32_e64 s24, 0, v19
	v_not_b32_e32 v19, v20
	v_xor_b32_e32 v27, s25, v27
	v_cmp_gt_i32_e64 s25, 0, v20
	v_and_b32_e32 v3, exec_lo, v3
	v_not_b32_e32 v20, v23
	v_ashrrev_i32_e32 v19, 31, v19
	v_xor_b32_e32 v15, s24, v15
	v_cmp_gt_i32_e64 s24, 0, v23
	v_and_b32_e32 v3, v3, v27
	v_not_b32_e32 v23, v24
	v_ashrrev_i32_e32 v20, 31, v20
	v_xor_b32_e32 v19, s25, v19
	v_cmp_gt_i32_e64 s25, 0, v24
	v_and_b32_e32 v3, v3, v15
	;; [unrolled: 5-line block ×4, first 2 shown]
	v_bfe_u32 v20, v0, 20, 10
	v_ashrrev_i32_e32 v19, 31, v19
	v_xor_b32_e32 v15, s24, v15
	v_mul_u32_u24_e32 v22, 9, v1
	v_and_b32_e32 v3, v3, v23
	v_mad_u32_u24 v20, v20, s27, v2
	v_xor_b32_e32 v19, s25, v19
	s_delay_alu instid0(VALU_DEP_3)
	v_and_b32_e32 v23, v3, v15
	v_lshlrev_b32_e32 v15, 2, v22
	ds_store_2addr_b32 v15, v16, v16 offset0:8 offset1:9
	ds_store_2addr_b32 v15, v16, v16 offset0:10 offset1:11
	;; [unrolled: 1-line block ×4, first 2 shown]
	ds_store_b32 v15, v16 offset:64
	v_mul_u32_u24_e32 v16, 9, v18
	s_waitcnt vmcnt(0) lgkmcnt(0)
	s_barrier
	buffer_gl0_inv
	; wave barrier
	v_mad_u64_u32 v[2:3], null, v20, v14, v[1:2]
	v_and_b32_e32 v3, v23, v19
	s_delay_alu instid0(VALU_DEP_1) | instskip(NEXT) | instid1(VALU_DEP_3)
	v_mbcnt_lo_u32_b32 v14, v3, 0
	v_lshrrev_b32_e32 v2, 5, v2
	v_cmp_ne_u32_e64 s25, 0, v3
	s_delay_alu instid0(VALU_DEP_3) | instskip(NEXT) | instid1(VALU_DEP_3)
	v_cmp_eq_u32_e64 s24, 0, v14
	v_add_lshl_u32 v16, v2, v16, 2
	s_delay_alu instid0(VALU_DEP_2) | instskip(NEXT) | instid1(SALU_CYCLE_1)
	s_and_b32 s25, s25, s24
	s_and_saveexec_b32 s24, s25
	s_cbranch_execz .LBB14_47
; %bb.46:
	v_bcnt_u32_b32 v3, v3, 0
	ds_store_b32 v16, v3 offset:32
.LBB14_47:
	s_or_b32 exec_lo, exec_lo, s24
	v_xor_b32_e32 v13, -1, v13
	; wave barrier
	s_delay_alu instid0(VALU_DEP_1) | instskip(NEXT) | instid1(VALU_DEP_1)
	v_and_b32_e32 v3, 0xff, v13
	v_lshrrev_b32_e32 v3, s60, v3
	s_delay_alu instid0(VALU_DEP_1) | instskip(NEXT) | instid1(VALU_DEP_1)
	v_and_b32_e32 v3, s68, v3
	v_and_b32_e32 v18, 1, v3
	v_lshlrev_b32_e32 v19, 30, v3
	v_lshlrev_b32_e32 v20, 29, v3
	v_lshlrev_b32_e32 v22, 28, v3
	v_lshlrev_b32_e32 v24, 27, v3
	v_add_co_u32 v18, s24, v18, -1
	s_delay_alu instid0(VALU_DEP_1)
	v_cndmask_b32_e64 v23, 0, 1, s24
	v_not_b32_e32 v28, v19
	v_cmp_gt_i32_e64 s25, 0, v19
	v_not_b32_e32 v19, v20
	v_lshlrev_b32_e32 v26, 26, v3
	v_cmp_ne_u32_e64 s24, 0, v23
	v_ashrrev_i32_e32 v28, 31, v28
	v_lshlrev_b32_e32 v27, 25, v3
	v_ashrrev_i32_e32 v19, 31, v19
	v_lshlrev_b32_e32 v23, 24, v3
	v_xor_b32_e32 v18, s24, v18
	v_cmp_gt_i32_e64 s24, 0, v20
	v_not_b32_e32 v20, v22
	v_xor_b32_e32 v28, s25, v28
	v_cmp_gt_i32_e64 s25, 0, v22
	v_and_b32_e32 v18, exec_lo, v18
	v_not_b32_e32 v22, v24
	v_ashrrev_i32_e32 v20, 31, v20
	v_xor_b32_e32 v19, s24, v19
	v_cmp_gt_i32_e64 s24, 0, v24
	v_and_b32_e32 v18, v18, v28
	v_not_b32_e32 v24, v26
	v_ashrrev_i32_e32 v22, 31, v22
	v_xor_b32_e32 v20, s25, v20
	v_cmp_gt_i32_e64 s25, 0, v26
	v_and_b32_e32 v18, v18, v19
	;; [unrolled: 5-line block ×3, first 2 shown]
	v_not_b32_e32 v20, v23
	v_ashrrev_i32_e32 v19, 31, v19
	v_xor_b32_e32 v24, s25, v24
	v_mul_u32_u24_e32 v3, 9, v3
	v_and_b32_e32 v18, v18, v22
	v_cmp_gt_i32_e64 s25, 0, v23
	v_ashrrev_i32_e32 v22, 31, v20
	v_xor_b32_e32 v19, s24, v19
	v_add_lshl_u32 v20, v2, v3, 2
	v_and_b32_e32 v18, v18, v24
	s_delay_alu instid0(VALU_DEP_4) | instskip(NEXT) | instid1(VALU_DEP_2)
	v_xor_b32_e32 v3, s25, v22
	v_and_b32_e32 v19, v18, v19
	ds_load_b32 v18, v20 offset:32
	; wave barrier
	v_and_b32_e32 v3, v19, v3
	s_delay_alu instid0(VALU_DEP_1) | instskip(SKIP_1) | instid1(VALU_DEP_2)
	v_mbcnt_lo_u32_b32 v19, v3, 0
	v_cmp_ne_u32_e64 s25, 0, v3
	v_cmp_eq_u32_e64 s24, 0, v19
	s_delay_alu instid0(VALU_DEP_1) | instskip(NEXT) | instid1(SALU_CYCLE_1)
	s_and_b32 s25, s25, s24
	s_and_saveexec_b32 s24, s25
	s_cbranch_execz .LBB14_49
; %bb.48:
	s_waitcnt lgkmcnt(0)
	v_bcnt_u32_b32 v3, v3, v18
	ds_store_b32 v20, v3 offset:32
.LBB14_49:
	s_or_b32 exec_lo, exec_lo, s24
	v_xor_b32_e32 v17, -1, v17
	; wave barrier
	s_delay_alu instid0(VALU_DEP_1) | instskip(NEXT) | instid1(VALU_DEP_1)
	v_and_b32_e32 v3, 0xff, v17
	v_lshrrev_b32_e32 v3, s60, v3
	s_delay_alu instid0(VALU_DEP_1) | instskip(NEXT) | instid1(VALU_DEP_1)
	v_and_b32_e32 v3, s68, v3
	v_and_b32_e32 v22, 1, v3
	v_lshlrev_b32_e32 v23, 30, v3
	v_lshlrev_b32_e32 v24, 29, v3
	;; [unrolled: 1-line block ×4, first 2 shown]
	v_add_co_u32 v22, s24, v22, -1
	s_delay_alu instid0(VALU_DEP_1)
	v_cndmask_b32_e64 v27, 0, 1, s24
	v_not_b32_e32 v32, v23
	v_cmp_gt_i32_e64 s25, 0, v23
	v_not_b32_e32 v23, v24
	v_lshlrev_b32_e32 v30, 26, v3
	v_cmp_ne_u32_e64 s24, 0, v27
	v_ashrrev_i32_e32 v32, 31, v32
	v_lshlrev_b32_e32 v31, 25, v3
	v_ashrrev_i32_e32 v23, 31, v23
	v_lshlrev_b32_e32 v27, 24, v3
	v_xor_b32_e32 v22, s24, v22
	v_cmp_gt_i32_e64 s24, 0, v24
	v_not_b32_e32 v24, v26
	v_xor_b32_e32 v32, s25, v32
	v_cmp_gt_i32_e64 s25, 0, v26
	v_and_b32_e32 v22, exec_lo, v22
	v_not_b32_e32 v26, v28
	v_ashrrev_i32_e32 v24, 31, v24
	v_xor_b32_e32 v23, s24, v23
	v_cmp_gt_i32_e64 s24, 0, v28
	v_and_b32_e32 v22, v22, v32
	v_not_b32_e32 v28, v30
	v_ashrrev_i32_e32 v26, 31, v26
	v_xor_b32_e32 v24, s25, v24
	v_cmp_gt_i32_e64 s25, 0, v30
	v_and_b32_e32 v22, v22, v23
	;; [unrolled: 5-line block ×3, first 2 shown]
	v_not_b32_e32 v24, v27
	v_ashrrev_i32_e32 v23, 31, v23
	v_xor_b32_e32 v28, s25, v28
	v_mul_u32_u24_e32 v3, 9, v3
	v_and_b32_e32 v22, v22, v26
	v_cmp_gt_i32_e64 s25, 0, v27
	v_ashrrev_i32_e32 v26, 31, v24
	v_xor_b32_e32 v23, s24, v23
	v_add_lshl_u32 v24, v2, v3, 2
	v_and_b32_e32 v22, v22, v28
	s_delay_alu instid0(VALU_DEP_4) | instskip(NEXT) | instid1(VALU_DEP_2)
	v_xor_b32_e32 v3, s25, v26
	v_and_b32_e32 v23, v22, v23
	ds_load_b32 v22, v24 offset:32
	; wave barrier
	v_and_b32_e32 v3, v23, v3
	s_delay_alu instid0(VALU_DEP_1) | instskip(SKIP_1) | instid1(VALU_DEP_2)
	v_mbcnt_lo_u32_b32 v23, v3, 0
	v_cmp_ne_u32_e64 s25, 0, v3
	v_cmp_eq_u32_e64 s24, 0, v23
	s_delay_alu instid0(VALU_DEP_1) | instskip(NEXT) | instid1(SALU_CYCLE_1)
	s_and_b32 s25, s25, s24
	s_and_saveexec_b32 s24, s25
	s_cbranch_execz .LBB14_51
; %bb.50:
	s_waitcnt lgkmcnt(0)
	v_bcnt_u32_b32 v3, v3, v22
	ds_store_b32 v24, v3 offset:32
.LBB14_51:
	s_or_b32 exec_lo, exec_lo, s24
	v_xor_b32_e32 v21, -1, v21
	; wave barrier
	s_delay_alu instid0(VALU_DEP_1) | instskip(NEXT) | instid1(VALU_DEP_1)
	v_and_b32_e32 v3, 0xff, v21
	v_lshrrev_b32_e32 v3, s60, v3
	s_delay_alu instid0(VALU_DEP_1) | instskip(NEXT) | instid1(VALU_DEP_1)
	v_and_b32_e32 v3, s68, v3
	v_and_b32_e32 v26, 1, v3
	v_lshlrev_b32_e32 v27, 30, v3
	v_lshlrev_b32_e32 v28, 29, v3
	;; [unrolled: 1-line block ×4, first 2 shown]
	v_add_co_u32 v26, s24, v26, -1
	s_delay_alu instid0(VALU_DEP_1)
	v_cndmask_b32_e64 v31, 0, 1, s24
	v_not_b32_e32 v36, v27
	v_cmp_gt_i32_e64 s25, 0, v27
	v_not_b32_e32 v27, v28
	v_lshlrev_b32_e32 v34, 26, v3
	v_cmp_ne_u32_e64 s24, 0, v31
	v_ashrrev_i32_e32 v36, 31, v36
	v_lshlrev_b32_e32 v35, 25, v3
	v_ashrrev_i32_e32 v27, 31, v27
	v_lshlrev_b32_e32 v31, 24, v3
	v_xor_b32_e32 v26, s24, v26
	v_cmp_gt_i32_e64 s24, 0, v28
	v_not_b32_e32 v28, v30
	v_xor_b32_e32 v36, s25, v36
	v_cmp_gt_i32_e64 s25, 0, v30
	v_and_b32_e32 v26, exec_lo, v26
	v_not_b32_e32 v30, v32
	v_ashrrev_i32_e32 v28, 31, v28
	v_xor_b32_e32 v27, s24, v27
	v_cmp_gt_i32_e64 s24, 0, v32
	v_and_b32_e32 v26, v26, v36
	v_not_b32_e32 v32, v34
	v_ashrrev_i32_e32 v30, 31, v30
	v_xor_b32_e32 v28, s25, v28
	v_cmp_gt_i32_e64 s25, 0, v34
	v_and_b32_e32 v26, v26, v27
	;; [unrolled: 5-line block ×3, first 2 shown]
	v_not_b32_e32 v28, v31
	v_ashrrev_i32_e32 v27, 31, v27
	v_xor_b32_e32 v32, s25, v32
	v_mul_u32_u24_e32 v3, 9, v3
	v_and_b32_e32 v26, v26, v30
	v_cmp_gt_i32_e64 s25, 0, v31
	v_ashrrev_i32_e32 v30, 31, v28
	v_xor_b32_e32 v27, s24, v27
	v_add_lshl_u32 v28, v2, v3, 2
	v_and_b32_e32 v26, v26, v32
	s_delay_alu instid0(VALU_DEP_4) | instskip(NEXT) | instid1(VALU_DEP_2)
	v_xor_b32_e32 v3, s25, v30
	v_and_b32_e32 v27, v26, v27
	ds_load_b32 v26, v28 offset:32
	; wave barrier
	v_and_b32_e32 v3, v27, v3
	s_delay_alu instid0(VALU_DEP_1) | instskip(SKIP_1) | instid1(VALU_DEP_2)
	v_mbcnt_lo_u32_b32 v27, v3, 0
	v_cmp_ne_u32_e64 s25, 0, v3
	v_cmp_eq_u32_e64 s24, 0, v27
	s_delay_alu instid0(VALU_DEP_1) | instskip(NEXT) | instid1(SALU_CYCLE_1)
	s_and_b32 s25, s25, s24
	s_and_saveexec_b32 s24, s25
	s_cbranch_execz .LBB14_53
; %bb.52:
	s_waitcnt lgkmcnt(0)
	v_bcnt_u32_b32 v3, v3, v26
	ds_store_b32 v28, v3 offset:32
.LBB14_53:
	s_or_b32 exec_lo, exec_lo, s24
	v_xor_b32_e32 v25, -1, v25
	; wave barrier
	s_delay_alu instid0(VALU_DEP_1) | instskip(NEXT) | instid1(VALU_DEP_1)
	v_and_b32_e32 v3, 0xff, v25
	v_lshrrev_b32_e32 v3, s60, v3
	s_delay_alu instid0(VALU_DEP_1) | instskip(NEXT) | instid1(VALU_DEP_1)
	v_and_b32_e32 v3, s68, v3
	v_and_b32_e32 v30, 1, v3
	v_lshlrev_b32_e32 v31, 30, v3
	v_lshlrev_b32_e32 v32, 29, v3
	;; [unrolled: 1-line block ×4, first 2 shown]
	v_add_co_u32 v30, s24, v30, -1
	s_delay_alu instid0(VALU_DEP_1)
	v_cndmask_b32_e64 v35, 0, 1, s24
	v_not_b32_e32 v40, v31
	v_cmp_gt_i32_e64 s25, 0, v31
	v_not_b32_e32 v31, v32
	v_lshlrev_b32_e32 v38, 26, v3
	v_cmp_ne_u32_e64 s24, 0, v35
	v_ashrrev_i32_e32 v40, 31, v40
	v_lshlrev_b32_e32 v39, 25, v3
	v_ashrrev_i32_e32 v31, 31, v31
	v_lshlrev_b32_e32 v35, 24, v3
	v_xor_b32_e32 v30, s24, v30
	v_cmp_gt_i32_e64 s24, 0, v32
	v_not_b32_e32 v32, v34
	v_xor_b32_e32 v40, s25, v40
	v_cmp_gt_i32_e64 s25, 0, v34
	v_and_b32_e32 v30, exec_lo, v30
	v_not_b32_e32 v34, v36
	v_ashrrev_i32_e32 v32, 31, v32
	v_xor_b32_e32 v31, s24, v31
	v_cmp_gt_i32_e64 s24, 0, v36
	v_and_b32_e32 v30, v30, v40
	v_not_b32_e32 v36, v38
	v_ashrrev_i32_e32 v34, 31, v34
	v_xor_b32_e32 v32, s25, v32
	v_cmp_gt_i32_e64 s25, 0, v38
	v_and_b32_e32 v30, v30, v31
	;; [unrolled: 5-line block ×3, first 2 shown]
	v_not_b32_e32 v32, v35
	v_ashrrev_i32_e32 v31, 31, v31
	v_xor_b32_e32 v36, s25, v36
	v_mul_u32_u24_e32 v3, 9, v3
	v_and_b32_e32 v30, v30, v34
	v_cmp_gt_i32_e64 s25, 0, v35
	v_ashrrev_i32_e32 v34, 31, v32
	v_xor_b32_e32 v31, s24, v31
	v_add_lshl_u32 v32, v2, v3, 2
	v_and_b32_e32 v30, v30, v36
	s_delay_alu instid0(VALU_DEP_4) | instskip(NEXT) | instid1(VALU_DEP_2)
	v_xor_b32_e32 v3, s25, v34
	v_and_b32_e32 v31, v30, v31
	ds_load_b32 v30, v32 offset:32
	; wave barrier
	v_and_b32_e32 v3, v31, v3
	s_delay_alu instid0(VALU_DEP_1) | instskip(SKIP_1) | instid1(VALU_DEP_2)
	v_mbcnt_lo_u32_b32 v31, v3, 0
	v_cmp_ne_u32_e64 s25, 0, v3
	v_cmp_eq_u32_e64 s24, 0, v31
	s_delay_alu instid0(VALU_DEP_1) | instskip(NEXT) | instid1(SALU_CYCLE_1)
	s_and_b32 s25, s25, s24
	s_and_saveexec_b32 s24, s25
	s_cbranch_execz .LBB14_55
; %bb.54:
	s_waitcnt lgkmcnt(0)
	v_bcnt_u32_b32 v3, v3, v30
	ds_store_b32 v32, v3 offset:32
.LBB14_55:
	s_or_b32 exec_lo, exec_lo, s24
	v_xor_b32_e32 v29, -1, v29
	; wave barrier
	s_delay_alu instid0(VALU_DEP_1) | instskip(NEXT) | instid1(VALU_DEP_1)
	v_and_b32_e32 v3, 0xff, v29
	v_lshrrev_b32_e32 v3, s60, v3
	s_delay_alu instid0(VALU_DEP_1) | instskip(NEXT) | instid1(VALU_DEP_1)
	v_and_b32_e32 v3, s68, v3
	v_and_b32_e32 v34, 1, v3
	v_lshlrev_b32_e32 v35, 30, v3
	v_lshlrev_b32_e32 v36, 29, v3
	;; [unrolled: 1-line block ×4, first 2 shown]
	v_add_co_u32 v34, s24, v34, -1
	s_delay_alu instid0(VALU_DEP_1)
	v_cndmask_b32_e64 v39, 0, 1, s24
	v_not_b32_e32 v45, v35
	v_cmp_gt_i32_e64 s25, 0, v35
	v_not_b32_e32 v35, v36
	v_lshlrev_b32_e32 v43, 26, v3
	v_cmp_ne_u32_e64 s24, 0, v39
	v_ashrrev_i32_e32 v45, 31, v45
	v_lshlrev_b32_e32 v44, 25, v3
	v_ashrrev_i32_e32 v35, 31, v35
	v_lshlrev_b32_e32 v39, 24, v3
	v_xor_b32_e32 v34, s24, v34
	v_cmp_gt_i32_e64 s24, 0, v36
	v_not_b32_e32 v36, v38
	v_xor_b32_e32 v45, s25, v45
	v_cmp_gt_i32_e64 s25, 0, v38
	v_and_b32_e32 v34, exec_lo, v34
	v_not_b32_e32 v38, v40
	v_ashrrev_i32_e32 v36, 31, v36
	v_xor_b32_e32 v35, s24, v35
	v_cmp_gt_i32_e64 s24, 0, v40
	v_and_b32_e32 v34, v34, v45
	v_not_b32_e32 v40, v43
	v_ashrrev_i32_e32 v38, 31, v38
	v_xor_b32_e32 v36, s25, v36
	v_cmp_gt_i32_e64 s25, 0, v43
	v_and_b32_e32 v34, v34, v35
	;; [unrolled: 5-line block ×3, first 2 shown]
	v_not_b32_e32 v36, v39
	v_ashrrev_i32_e32 v35, 31, v35
	v_xor_b32_e32 v40, s25, v40
	v_mul_u32_u24_e32 v3, 9, v3
	v_and_b32_e32 v34, v34, v38
	v_cmp_gt_i32_e64 s25, 0, v39
	v_ashrrev_i32_e32 v38, 31, v36
	v_xor_b32_e32 v35, s24, v35
	v_add_lshl_u32 v36, v2, v3, 2
	v_and_b32_e32 v34, v34, v40
	s_delay_alu instid0(VALU_DEP_4) | instskip(NEXT) | instid1(VALU_DEP_2)
	v_xor_b32_e32 v3, s25, v38
	v_and_b32_e32 v35, v34, v35
	ds_load_b32 v34, v36 offset:32
	; wave barrier
	v_and_b32_e32 v3, v35, v3
	s_delay_alu instid0(VALU_DEP_1) | instskip(SKIP_1) | instid1(VALU_DEP_2)
	v_mbcnt_lo_u32_b32 v35, v3, 0
	v_cmp_ne_u32_e64 s25, 0, v3
	v_cmp_eq_u32_e64 s24, 0, v35
	s_delay_alu instid0(VALU_DEP_1) | instskip(NEXT) | instid1(SALU_CYCLE_1)
	s_and_b32 s25, s25, s24
	s_and_saveexec_b32 s24, s25
	s_cbranch_execz .LBB14_57
; %bb.56:
	s_waitcnt lgkmcnt(0)
	v_bcnt_u32_b32 v3, v3, v34
	ds_store_b32 v36, v3 offset:32
.LBB14_57:
	s_or_b32 exec_lo, exec_lo, s24
	v_xor_b32_e32 v33, -1, v33
	; wave barrier
	s_delay_alu instid0(VALU_DEP_1) | instskip(NEXT) | instid1(VALU_DEP_1)
	v_and_b32_e32 v3, 0xff, v33
	v_lshrrev_b32_e32 v3, s60, v3
	s_delay_alu instid0(VALU_DEP_1) | instskip(NEXT) | instid1(VALU_DEP_1)
	v_and_b32_e32 v3, s68, v3
	v_and_b32_e32 v38, 1, v3
	v_lshlrev_b32_e32 v39, 30, v3
	v_lshlrev_b32_e32 v40, 29, v3
	;; [unrolled: 1-line block ×4, first 2 shown]
	v_add_co_u32 v38, s24, v38, -1
	s_delay_alu instid0(VALU_DEP_1)
	v_cndmask_b32_e64 v44, 0, 1, s24
	v_not_b32_e32 v52, v39
	v_cmp_gt_i32_e64 s25, 0, v39
	v_not_b32_e32 v39, v40
	v_lshlrev_b32_e32 v48, 26, v3
	v_cmp_ne_u32_e64 s24, 0, v44
	v_ashrrev_i32_e32 v52, 31, v52
	v_lshlrev_b32_e32 v49, 25, v3
	v_ashrrev_i32_e32 v39, 31, v39
	v_lshlrev_b32_e32 v44, 24, v3
	v_xor_b32_e32 v38, s24, v38
	v_cmp_gt_i32_e64 s24, 0, v40
	v_not_b32_e32 v40, v43
	v_xor_b32_e32 v52, s25, v52
	v_cmp_gt_i32_e64 s25, 0, v43
	v_and_b32_e32 v38, exec_lo, v38
	v_not_b32_e32 v43, v45
	v_ashrrev_i32_e32 v40, 31, v40
	v_xor_b32_e32 v39, s24, v39
	v_cmp_gt_i32_e64 s24, 0, v45
	v_and_b32_e32 v38, v38, v52
	v_not_b32_e32 v45, v48
	v_ashrrev_i32_e32 v43, 31, v43
	v_xor_b32_e32 v40, s25, v40
	v_cmp_gt_i32_e64 s25, 0, v48
	v_and_b32_e32 v38, v38, v39
	v_not_b32_e32 v39, v49
	v_ashrrev_i32_e32 v45, 31, v45
	v_xor_b32_e32 v43, s24, v43
	v_cmp_gt_i32_e64 s24, 0, v49
	v_and_b32_e32 v38, v38, v40
	v_not_b32_e32 v40, v44
	v_ashrrev_i32_e32 v39, 31, v39
	v_xor_b32_e32 v45, s25, v45
	v_mul_u32_u24_e32 v3, 9, v3
	v_and_b32_e32 v38, v38, v43
	v_cmp_gt_i32_e64 s25, 0, v44
	v_ashrrev_i32_e32 v43, 31, v40
	v_xor_b32_e32 v39, s24, v39
	v_add_lshl_u32 v40, v2, v3, 2
	v_and_b32_e32 v38, v38, v45
	s_delay_alu instid0(VALU_DEP_4) | instskip(NEXT) | instid1(VALU_DEP_2)
	v_xor_b32_e32 v3, s25, v43
	v_and_b32_e32 v39, v38, v39
	ds_load_b32 v38, v40 offset:32
	; wave barrier
	v_and_b32_e32 v3, v39, v3
	s_delay_alu instid0(VALU_DEP_1) | instskip(SKIP_1) | instid1(VALU_DEP_2)
	v_mbcnt_lo_u32_b32 v39, v3, 0
	v_cmp_ne_u32_e64 s25, 0, v3
	v_cmp_eq_u32_e64 s24, 0, v39
	s_delay_alu instid0(VALU_DEP_1) | instskip(NEXT) | instid1(SALU_CYCLE_1)
	s_and_b32 s25, s25, s24
	s_and_saveexec_b32 s24, s25
	s_cbranch_execz .LBB14_59
; %bb.58:
	s_waitcnt lgkmcnt(0)
	v_bcnt_u32_b32 v3, v3, v38
	ds_store_b32 v40, v3 offset:32
.LBB14_59:
	s_or_b32 exec_lo, exec_lo, s24
	v_xor_b32_e32 v37, -1, v37
	; wave barrier
	s_delay_alu instid0(VALU_DEP_1) | instskip(NEXT) | instid1(VALU_DEP_1)
	v_and_b32_e32 v3, 0xff, v37
	v_lshrrev_b32_e32 v3, s60, v3
	s_delay_alu instid0(VALU_DEP_1) | instskip(NEXT) | instid1(VALU_DEP_1)
	v_and_b32_e32 v3, s68, v3
	v_and_b32_e32 v43, 1, v3
	v_lshlrev_b32_e32 v44, 30, v3
	v_lshlrev_b32_e32 v45, 29, v3
	;; [unrolled: 1-line block ×4, first 2 shown]
	v_add_co_u32 v43, s24, v43, -1
	s_delay_alu instid0(VALU_DEP_1)
	v_cndmask_b32_e64 v49, 0, 1, s24
	v_not_b32_e32 v57, v44
	v_cmp_gt_i32_e64 s25, 0, v44
	v_not_b32_e32 v44, v45
	v_lshlrev_b32_e32 v54, 26, v3
	v_cmp_ne_u32_e64 s24, 0, v49
	v_ashrrev_i32_e32 v57, 31, v57
	v_lshlrev_b32_e32 v55, 25, v3
	v_ashrrev_i32_e32 v44, 31, v44
	v_lshlrev_b32_e32 v49, 24, v3
	v_xor_b32_e32 v43, s24, v43
	v_cmp_gt_i32_e64 s24, 0, v45
	v_not_b32_e32 v45, v48
	v_xor_b32_e32 v57, s25, v57
	v_cmp_gt_i32_e64 s25, 0, v48
	v_and_b32_e32 v43, exec_lo, v43
	v_not_b32_e32 v48, v52
	v_ashrrev_i32_e32 v45, 31, v45
	v_xor_b32_e32 v44, s24, v44
	v_cmp_gt_i32_e64 s24, 0, v52
	v_and_b32_e32 v43, v43, v57
	v_not_b32_e32 v52, v54
	v_ashrrev_i32_e32 v48, 31, v48
	v_xor_b32_e32 v45, s25, v45
	v_cmp_gt_i32_e64 s25, 0, v54
	v_and_b32_e32 v43, v43, v44
	;; [unrolled: 5-line block ×3, first 2 shown]
	v_not_b32_e32 v45, v49
	v_ashrrev_i32_e32 v44, 31, v44
	v_xor_b32_e32 v52, s25, v52
	v_mul_u32_u24_e32 v3, 9, v3
	v_and_b32_e32 v43, v43, v48
	v_cmp_gt_i32_e64 s25, 0, v49
	v_ashrrev_i32_e32 v48, 31, v45
	v_xor_b32_e32 v44, s24, v44
	v_add_lshl_u32 v45, v2, v3, 2
	v_and_b32_e32 v43, v43, v52
	s_delay_alu instid0(VALU_DEP_4) | instskip(NEXT) | instid1(VALU_DEP_2)
	v_xor_b32_e32 v3, s25, v48
	v_and_b32_e32 v44, v43, v44
	ds_load_b32 v43, v45 offset:32
	; wave barrier
	v_and_b32_e32 v3, v44, v3
	s_delay_alu instid0(VALU_DEP_1) | instskip(SKIP_1) | instid1(VALU_DEP_2)
	v_mbcnt_lo_u32_b32 v44, v3, 0
	v_cmp_ne_u32_e64 s25, 0, v3
	v_cmp_eq_u32_e64 s24, 0, v44
	s_delay_alu instid0(VALU_DEP_1) | instskip(NEXT) | instid1(SALU_CYCLE_1)
	s_and_b32 s25, s25, s24
	s_and_saveexec_b32 s24, s25
	s_cbranch_execz .LBB14_61
; %bb.60:
	s_waitcnt lgkmcnt(0)
	v_bcnt_u32_b32 v3, v3, v43
	ds_store_b32 v45, v3 offset:32
.LBB14_61:
	s_or_b32 exec_lo, exec_lo, s24
	v_xor_b32_e32 v42, -1, v42
	; wave barrier
	s_delay_alu instid0(VALU_DEP_1) | instskip(NEXT) | instid1(VALU_DEP_1)
	v_and_b32_e32 v3, 0xff, v42
	v_lshrrev_b32_e32 v3, s60, v3
	s_delay_alu instid0(VALU_DEP_1) | instskip(NEXT) | instid1(VALU_DEP_1)
	v_and_b32_e32 v3, s68, v3
	v_and_b32_e32 v48, 1, v3
	v_lshlrev_b32_e32 v49, 30, v3
	v_lshlrev_b32_e32 v52, 29, v3
	v_lshlrev_b32_e32 v54, 28, v3
	v_lshlrev_b32_e32 v57, 27, v3
	v_add_co_u32 v48, s24, v48, -1
	s_delay_alu instid0(VALU_DEP_1)
	v_cndmask_b32_e64 v55, 0, 1, s24
	v_not_b32_e32 v61, v49
	v_cmp_gt_i32_e64 s25, 0, v49
	v_not_b32_e32 v49, v52
	v_lshlrev_b32_e32 v59, 26, v3
	v_cmp_ne_u32_e64 s24, 0, v55
	v_ashrrev_i32_e32 v61, 31, v61
	v_lshlrev_b32_e32 v60, 25, v3
	v_ashrrev_i32_e32 v49, 31, v49
	v_lshlrev_b32_e32 v55, 24, v3
	v_xor_b32_e32 v48, s24, v48
	v_cmp_gt_i32_e64 s24, 0, v52
	v_not_b32_e32 v52, v54
	v_xor_b32_e32 v61, s25, v61
	v_cmp_gt_i32_e64 s25, 0, v54
	v_and_b32_e32 v48, exec_lo, v48
	v_not_b32_e32 v54, v57
	v_ashrrev_i32_e32 v52, 31, v52
	v_xor_b32_e32 v49, s24, v49
	v_cmp_gt_i32_e64 s24, 0, v57
	v_and_b32_e32 v48, v48, v61
	v_not_b32_e32 v57, v59
	v_ashrrev_i32_e32 v54, 31, v54
	v_xor_b32_e32 v52, s25, v52
	v_cmp_gt_i32_e64 s25, 0, v59
	v_and_b32_e32 v48, v48, v49
	v_not_b32_e32 v49, v60
	v_ashrrev_i32_e32 v57, 31, v57
	v_xor_b32_e32 v54, s24, v54
	v_cmp_gt_i32_e64 s24, 0, v60
	v_and_b32_e32 v48, v48, v52
	v_not_b32_e32 v52, v55
	v_ashrrev_i32_e32 v49, 31, v49
	v_xor_b32_e32 v57, s25, v57
	v_mul_u32_u24_e32 v3, 9, v3
	v_and_b32_e32 v48, v48, v54
	v_cmp_gt_i32_e64 s25, 0, v55
	v_ashrrev_i32_e32 v54, 31, v52
	v_xor_b32_e32 v49, s24, v49
	v_add_lshl_u32 v52, v2, v3, 2
	v_and_b32_e32 v48, v48, v57
	s_delay_alu instid0(VALU_DEP_4) | instskip(NEXT) | instid1(VALU_DEP_2)
	v_xor_b32_e32 v3, s25, v54
	v_and_b32_e32 v49, v48, v49
	ds_load_b32 v48, v52 offset:32
	; wave barrier
	v_and_b32_e32 v3, v49, v3
	s_delay_alu instid0(VALU_DEP_1) | instskip(SKIP_1) | instid1(VALU_DEP_2)
	v_mbcnt_lo_u32_b32 v49, v3, 0
	v_cmp_ne_u32_e64 s25, 0, v3
	v_cmp_eq_u32_e64 s24, 0, v49
	s_delay_alu instid0(VALU_DEP_1) | instskip(NEXT) | instid1(SALU_CYCLE_1)
	s_and_b32 s25, s25, s24
	s_and_saveexec_b32 s24, s25
	s_cbranch_execz .LBB14_63
; %bb.62:
	s_waitcnt lgkmcnt(0)
	v_bcnt_u32_b32 v3, v3, v48
	ds_store_b32 v52, v3 offset:32
.LBB14_63:
	s_or_b32 exec_lo, exec_lo, s24
	v_xor_b32_e32 v47, -1, v47
	; wave barrier
	s_delay_alu instid0(VALU_DEP_1) | instskip(NEXT) | instid1(VALU_DEP_1)
	v_and_b32_e32 v3, 0xff, v47
	v_lshrrev_b32_e32 v3, s60, v3
	s_delay_alu instid0(VALU_DEP_1) | instskip(NEXT) | instid1(VALU_DEP_1)
	v_and_b32_e32 v3, s68, v3
	v_and_b32_e32 v54, 1, v3
	v_lshlrev_b32_e32 v55, 30, v3
	v_lshlrev_b32_e32 v57, 29, v3
	;; [unrolled: 1-line block ×4, first 2 shown]
	v_add_co_u32 v54, s24, v54, -1
	s_delay_alu instid0(VALU_DEP_1)
	v_cndmask_b32_e64 v60, 0, 1, s24
	v_not_b32_e32 v64, v55
	v_cmp_gt_i32_e64 s25, 0, v55
	v_not_b32_e32 v55, v57
	v_lshlrev_b32_e32 v62, 26, v3
	v_cmp_ne_u32_e64 s24, 0, v60
	v_ashrrev_i32_e32 v64, 31, v64
	v_lshlrev_b32_e32 v63, 25, v3
	v_ashrrev_i32_e32 v55, 31, v55
	v_lshlrev_b32_e32 v60, 24, v3
	v_xor_b32_e32 v54, s24, v54
	v_cmp_gt_i32_e64 s24, 0, v57
	v_not_b32_e32 v57, v59
	v_xor_b32_e32 v64, s25, v64
	v_cmp_gt_i32_e64 s25, 0, v59
	v_and_b32_e32 v54, exec_lo, v54
	v_not_b32_e32 v59, v61
	v_ashrrev_i32_e32 v57, 31, v57
	v_xor_b32_e32 v55, s24, v55
	v_cmp_gt_i32_e64 s24, 0, v61
	v_and_b32_e32 v54, v54, v64
	v_not_b32_e32 v61, v62
	v_ashrrev_i32_e32 v59, 31, v59
	v_xor_b32_e32 v57, s25, v57
	v_cmp_gt_i32_e64 s25, 0, v62
	v_and_b32_e32 v54, v54, v55
	;; [unrolled: 5-line block ×3, first 2 shown]
	v_not_b32_e32 v57, v60
	v_ashrrev_i32_e32 v55, 31, v55
	v_xor_b32_e32 v61, s25, v61
	v_mul_u32_u24_e32 v3, 9, v3
	v_and_b32_e32 v54, v54, v59
	v_cmp_gt_i32_e64 s25, 0, v60
	v_ashrrev_i32_e32 v59, 31, v57
	v_xor_b32_e32 v55, s24, v55
	v_add_lshl_u32 v57, v2, v3, 2
	v_and_b32_e32 v54, v54, v61
	s_delay_alu instid0(VALU_DEP_4) | instskip(NEXT) | instid1(VALU_DEP_2)
	v_xor_b32_e32 v3, s25, v59
	v_and_b32_e32 v55, v54, v55
	ds_load_b32 v54, v57 offset:32
	; wave barrier
	v_and_b32_e32 v3, v55, v3
	s_delay_alu instid0(VALU_DEP_1) | instskip(SKIP_1) | instid1(VALU_DEP_2)
	v_mbcnt_lo_u32_b32 v55, v3, 0
	v_cmp_ne_u32_e64 s25, 0, v3
	v_cmp_eq_u32_e64 s24, 0, v55
	s_delay_alu instid0(VALU_DEP_1) | instskip(NEXT) | instid1(SALU_CYCLE_1)
	s_and_b32 s25, s25, s24
	s_and_saveexec_b32 s24, s25
	s_cbranch_execz .LBB14_65
; %bb.64:
	s_waitcnt lgkmcnt(0)
	v_bcnt_u32_b32 v3, v3, v54
	ds_store_b32 v57, v3 offset:32
.LBB14_65:
	s_or_b32 exec_lo, exec_lo, s24
	v_xor_b32_e32 v53, -1, v53
	; wave barrier
	s_delay_alu instid0(VALU_DEP_1) | instskip(NEXT) | instid1(VALU_DEP_1)
	v_and_b32_e32 v3, 0xff, v53
	v_lshrrev_b32_e32 v3, s60, v3
	s_delay_alu instid0(VALU_DEP_1) | instskip(NEXT) | instid1(VALU_DEP_1)
	v_and_b32_e32 v3, s68, v3
	v_and_b32_e32 v59, 1, v3
	v_lshlrev_b32_e32 v60, 30, v3
	v_lshlrev_b32_e32 v61, 29, v3
	;; [unrolled: 1-line block ×4, first 2 shown]
	v_add_co_u32 v59, s24, v59, -1
	s_delay_alu instid0(VALU_DEP_1)
	v_cndmask_b32_e64 v63, 0, 1, s24
	v_not_b32_e32 v67, v60
	v_cmp_gt_i32_e64 s25, 0, v60
	v_not_b32_e32 v60, v61
	v_lshlrev_b32_e32 v65, 26, v3
	v_cmp_ne_u32_e64 s24, 0, v63
	v_ashrrev_i32_e32 v67, 31, v67
	v_lshlrev_b32_e32 v66, 25, v3
	v_ashrrev_i32_e32 v60, 31, v60
	v_lshlrev_b32_e32 v63, 24, v3
	v_xor_b32_e32 v59, s24, v59
	v_cmp_gt_i32_e64 s24, 0, v61
	v_not_b32_e32 v61, v62
	v_xor_b32_e32 v67, s25, v67
	v_cmp_gt_i32_e64 s25, 0, v62
	v_and_b32_e32 v59, exec_lo, v59
	v_not_b32_e32 v62, v64
	v_ashrrev_i32_e32 v61, 31, v61
	v_xor_b32_e32 v60, s24, v60
	v_cmp_gt_i32_e64 s24, 0, v64
	v_and_b32_e32 v59, v59, v67
	v_not_b32_e32 v64, v65
	v_ashrrev_i32_e32 v62, 31, v62
	v_xor_b32_e32 v61, s25, v61
	v_cmp_gt_i32_e64 s25, 0, v65
	v_and_b32_e32 v59, v59, v60
	;; [unrolled: 5-line block ×3, first 2 shown]
	v_not_b32_e32 v61, v63
	v_ashrrev_i32_e32 v60, 31, v60
	v_xor_b32_e32 v64, s25, v64
	v_mul_u32_u24_e32 v3, 9, v3
	v_and_b32_e32 v59, v59, v62
	v_cmp_gt_i32_e64 s25, 0, v63
	v_ashrrev_i32_e32 v62, 31, v61
	v_xor_b32_e32 v60, s24, v60
	v_add_lshl_u32 v61, v2, v3, 2
	v_and_b32_e32 v59, v59, v64
	s_delay_alu instid0(VALU_DEP_4) | instskip(NEXT) | instid1(VALU_DEP_2)
	v_xor_b32_e32 v3, s25, v62
	v_and_b32_e32 v60, v59, v60
	ds_load_b32 v59, v61 offset:32
	; wave barrier
	v_and_b32_e32 v3, v60, v3
	s_delay_alu instid0(VALU_DEP_1) | instskip(SKIP_1) | instid1(VALU_DEP_2)
	v_mbcnt_lo_u32_b32 v60, v3, 0
	v_cmp_ne_u32_e64 s25, 0, v3
	v_cmp_eq_u32_e64 s24, 0, v60
	s_delay_alu instid0(VALU_DEP_1) | instskip(NEXT) | instid1(SALU_CYCLE_1)
	s_and_b32 s25, s25, s24
	s_and_saveexec_b32 s24, s25
	s_cbranch_execz .LBB14_67
; %bb.66:
	s_waitcnt lgkmcnt(0)
	v_bcnt_u32_b32 v3, v3, v59
	ds_store_b32 v61, v3 offset:32
.LBB14_67:
	s_or_b32 exec_lo, exec_lo, s24
	v_xor_b32_e32 v58, -1, v58
	; wave barrier
	s_delay_alu instid0(VALU_DEP_1) | instskip(NEXT) | instid1(VALU_DEP_1)
	v_and_b32_e32 v3, 0xff, v58
	v_lshrrev_b32_e32 v3, s60, v3
	s_delay_alu instid0(VALU_DEP_1) | instskip(NEXT) | instid1(VALU_DEP_1)
	v_and_b32_e32 v3, s68, v3
	v_and_b32_e32 v62, 1, v3
	v_lshlrev_b32_e32 v63, 30, v3
	v_lshlrev_b32_e32 v64, 29, v3
	;; [unrolled: 1-line block ×4, first 2 shown]
	v_add_co_u32 v62, s24, v62, -1
	s_delay_alu instid0(VALU_DEP_1)
	v_cndmask_b32_e64 v66, 0, 1, s24
	v_not_b32_e32 v70, v63
	v_cmp_gt_i32_e64 s25, 0, v63
	v_not_b32_e32 v63, v64
	v_lshlrev_b32_e32 v68, 26, v3
	v_cmp_ne_u32_e64 s24, 0, v66
	v_ashrrev_i32_e32 v70, 31, v70
	v_lshlrev_b32_e32 v69, 25, v3
	v_ashrrev_i32_e32 v63, 31, v63
	v_lshlrev_b32_e32 v66, 24, v3
	v_xor_b32_e32 v62, s24, v62
	v_cmp_gt_i32_e64 s24, 0, v64
	v_not_b32_e32 v64, v65
	v_xor_b32_e32 v70, s25, v70
	v_cmp_gt_i32_e64 s25, 0, v65
	v_and_b32_e32 v62, exec_lo, v62
	v_not_b32_e32 v65, v67
	v_ashrrev_i32_e32 v64, 31, v64
	v_xor_b32_e32 v63, s24, v63
	v_cmp_gt_i32_e64 s24, 0, v67
	v_and_b32_e32 v62, v62, v70
	v_not_b32_e32 v67, v68
	v_ashrrev_i32_e32 v65, 31, v65
	v_xor_b32_e32 v64, s25, v64
	v_cmp_gt_i32_e64 s25, 0, v68
	v_and_b32_e32 v62, v62, v63
	;; [unrolled: 5-line block ×3, first 2 shown]
	v_not_b32_e32 v64, v66
	v_ashrrev_i32_e32 v63, 31, v63
	v_xor_b32_e32 v67, s25, v67
	v_mul_u32_u24_e32 v3, 9, v3
	v_and_b32_e32 v62, v62, v65
	v_cmp_gt_i32_e64 s25, 0, v66
	v_ashrrev_i32_e32 v65, 31, v64
	v_xor_b32_e32 v63, s24, v63
	v_add_lshl_u32 v64, v2, v3, 2
	v_and_b32_e32 v62, v62, v67
	s_delay_alu instid0(VALU_DEP_4) | instskip(NEXT) | instid1(VALU_DEP_2)
	v_xor_b32_e32 v3, s25, v65
	v_and_b32_e32 v63, v62, v63
	ds_load_b32 v62, v64 offset:32
	; wave barrier
	v_and_b32_e32 v3, v63, v3
	s_delay_alu instid0(VALU_DEP_1) | instskip(SKIP_1) | instid1(VALU_DEP_2)
	v_mbcnt_lo_u32_b32 v63, v3, 0
	v_cmp_ne_u32_e64 s25, 0, v3
	v_cmp_eq_u32_e64 s24, 0, v63
	s_delay_alu instid0(VALU_DEP_1) | instskip(NEXT) | instid1(SALU_CYCLE_1)
	s_and_b32 s25, s25, s24
	s_and_saveexec_b32 s24, s25
	s_cbranch_execz .LBB14_69
; %bb.68:
	s_waitcnt lgkmcnt(0)
	v_bcnt_u32_b32 v3, v3, v62
	ds_store_b32 v64, v3 offset:32
.LBB14_69:
	s_or_b32 exec_lo, exec_lo, s24
	v_xor_b32_e32 v56, -1, v56
	; wave barrier
	s_delay_alu instid0(VALU_DEP_1) | instskip(NEXT) | instid1(VALU_DEP_1)
	v_and_b32_e32 v3, 0xff, v56
	v_lshrrev_b32_e32 v3, s60, v3
	s_delay_alu instid0(VALU_DEP_1) | instskip(NEXT) | instid1(VALU_DEP_1)
	v_and_b32_e32 v3, s68, v3
	v_and_b32_e32 v65, 1, v3
	v_lshlrev_b32_e32 v66, 30, v3
	v_lshlrev_b32_e32 v67, 29, v3
	;; [unrolled: 1-line block ×4, first 2 shown]
	v_add_co_u32 v65, s24, v65, -1
	s_delay_alu instid0(VALU_DEP_1)
	v_cndmask_b32_e64 v69, 0, 1, s24
	v_not_b32_e32 v73, v66
	v_cmp_gt_i32_e64 s25, 0, v66
	v_not_b32_e32 v66, v67
	v_lshlrev_b32_e32 v71, 26, v3
	v_cmp_ne_u32_e64 s24, 0, v69
	v_ashrrev_i32_e32 v73, 31, v73
	v_lshlrev_b32_e32 v72, 25, v3
	v_ashrrev_i32_e32 v66, 31, v66
	v_lshlrev_b32_e32 v69, 24, v3
	v_xor_b32_e32 v65, s24, v65
	v_cmp_gt_i32_e64 s24, 0, v67
	v_not_b32_e32 v67, v68
	v_xor_b32_e32 v73, s25, v73
	v_cmp_gt_i32_e64 s25, 0, v68
	v_and_b32_e32 v65, exec_lo, v65
	v_not_b32_e32 v68, v70
	v_ashrrev_i32_e32 v67, 31, v67
	v_xor_b32_e32 v66, s24, v66
	v_cmp_gt_i32_e64 s24, 0, v70
	v_and_b32_e32 v65, v65, v73
	v_not_b32_e32 v70, v71
	v_ashrrev_i32_e32 v68, 31, v68
	v_xor_b32_e32 v67, s25, v67
	v_cmp_gt_i32_e64 s25, 0, v71
	v_and_b32_e32 v65, v65, v66
	;; [unrolled: 5-line block ×3, first 2 shown]
	v_not_b32_e32 v67, v69
	v_ashrrev_i32_e32 v66, 31, v66
	v_xor_b32_e32 v70, s25, v70
	v_mul_u32_u24_e32 v3, 9, v3
	v_and_b32_e32 v65, v65, v68
	v_cmp_gt_i32_e64 s25, 0, v69
	v_ashrrev_i32_e32 v67, 31, v67
	v_xor_b32_e32 v68, s24, v66
	v_add_lshl_u32 v66, v2, v3, 2
	v_and_b32_e32 v65, v65, v70
	s_delay_alu instid0(VALU_DEP_4) | instskip(NEXT) | instid1(VALU_DEP_2)
	v_xor_b32_e32 v3, s25, v67
	v_and_b32_e32 v67, v65, v68
	ds_load_b32 v65, v66 offset:32
	; wave barrier
	v_and_b32_e32 v3, v67, v3
	s_delay_alu instid0(VALU_DEP_1) | instskip(SKIP_1) | instid1(VALU_DEP_2)
	v_mbcnt_lo_u32_b32 v78, v3, 0
	v_cmp_ne_u32_e64 s25, 0, v3
	v_cmp_eq_u32_e64 s24, 0, v78
	s_delay_alu instid0(VALU_DEP_1) | instskip(NEXT) | instid1(SALU_CYCLE_1)
	s_and_b32 s25, s25, s24
	s_and_saveexec_b32 s24, s25
	s_cbranch_execz .LBB14_71
; %bb.70:
	s_waitcnt lgkmcnt(0)
	v_bcnt_u32_b32 v3, v3, v65
	ds_store_b32 v66, v3 offset:32
.LBB14_71:
	s_or_b32 exec_lo, exec_lo, s24
	v_xor_b32_e32 v50, -1, v50
	; wave barrier
	s_delay_alu instid0(VALU_DEP_1) | instskip(NEXT) | instid1(VALU_DEP_1)
	v_and_b32_e32 v3, 0xff, v50
	v_lshrrev_b32_e32 v3, s60, v3
	s_delay_alu instid0(VALU_DEP_1) | instskip(NEXT) | instid1(VALU_DEP_1)
	v_and_b32_e32 v3, s68, v3
	v_and_b32_e32 v67, 1, v3
	v_lshlrev_b32_e32 v68, 30, v3
	v_lshlrev_b32_e32 v69, 29, v3
	;; [unrolled: 1-line block ×4, first 2 shown]
	v_add_co_u32 v67, s24, v67, -1
	s_delay_alu instid0(VALU_DEP_1)
	v_cndmask_b32_e64 v71, 0, 1, s24
	v_not_b32_e32 v75, v68
	v_cmp_gt_i32_e64 s25, 0, v68
	v_not_b32_e32 v68, v69
	v_lshlrev_b32_e32 v73, 26, v3
	v_cmp_ne_u32_e64 s24, 0, v71
	v_ashrrev_i32_e32 v75, 31, v75
	v_lshlrev_b32_e32 v74, 25, v3
	v_ashrrev_i32_e32 v68, 31, v68
	v_lshlrev_b32_e32 v71, 24, v3
	v_xor_b32_e32 v67, s24, v67
	v_cmp_gt_i32_e64 s24, 0, v69
	v_not_b32_e32 v69, v70
	v_xor_b32_e32 v75, s25, v75
	v_cmp_gt_i32_e64 s25, 0, v70
	v_and_b32_e32 v67, exec_lo, v67
	v_not_b32_e32 v70, v72
	v_ashrrev_i32_e32 v69, 31, v69
	v_xor_b32_e32 v68, s24, v68
	v_cmp_gt_i32_e64 s24, 0, v72
	v_and_b32_e32 v67, v67, v75
	v_not_b32_e32 v72, v73
	v_ashrrev_i32_e32 v70, 31, v70
	v_xor_b32_e32 v69, s25, v69
	v_cmp_gt_i32_e64 s25, 0, v73
	v_and_b32_e32 v67, v67, v68
	v_not_b32_e32 v68, v74
	v_ashrrev_i32_e32 v72, 31, v72
	v_xor_b32_e32 v70, s24, v70
	v_cmp_gt_i32_e64 s24, 0, v74
	v_and_b32_e32 v67, v67, v69
	v_not_b32_e32 v69, v71
	v_ashrrev_i32_e32 v68, 31, v68
	v_xor_b32_e32 v72, s25, v72
	v_mul_u32_u24_e32 v3, 9, v3
	v_and_b32_e32 v67, v67, v70
	v_cmp_gt_i32_e64 s25, 0, v71
	v_ashrrev_i32_e32 v69, 31, v69
	v_xor_b32_e32 v68, s24, v68
	s_delay_alu instid0(VALU_DEP_4) | instskip(SKIP_1) | instid1(VALU_DEP_4)
	v_and_b32_e32 v70, v67, v72
	v_add_lshl_u32 v67, v2, v3, 2
	v_xor_b32_e32 v3, s25, v69
	s_delay_alu instid0(VALU_DEP_3) | instskip(SKIP_2) | instid1(VALU_DEP_1)
	v_and_b32_e32 v68, v70, v68
	ds_load_b32 v79, v67 offset:32
	; wave barrier
	v_and_b32_e32 v3, v68, v3
	v_mbcnt_lo_u32_b32 v80, v3, 0
	v_cmp_ne_u32_e64 s25, 0, v3
	s_delay_alu instid0(VALU_DEP_2) | instskip(NEXT) | instid1(VALU_DEP_1)
	v_cmp_eq_u32_e64 s24, 0, v80
	s_and_b32 s25, s25, s24
	s_delay_alu instid0(SALU_CYCLE_1)
	s_and_saveexec_b32 s24, s25
	s_cbranch_execz .LBB14_73
; %bb.72:
	s_waitcnt lgkmcnt(0)
	v_bcnt_u32_b32 v3, v3, v79
	ds_store_b32 v67, v3 offset:32
.LBB14_73:
	s_or_b32 exec_lo, exec_lo, s24
	v_xor_b32_e32 v46, -1, v46
	; wave barrier
	s_delay_alu instid0(VALU_DEP_1) | instskip(NEXT) | instid1(VALU_DEP_1)
	v_and_b32_e32 v3, 0xff, v46
	v_lshrrev_b32_e32 v3, s60, v3
	s_delay_alu instid0(VALU_DEP_1) | instskip(NEXT) | instid1(VALU_DEP_1)
	v_and_b32_e32 v3, s68, v3
	v_and_b32_e32 v68, 1, v3
	v_lshlrev_b32_e32 v69, 30, v3
	v_lshlrev_b32_e32 v70, 29, v3
	;; [unrolled: 1-line block ×4, first 2 shown]
	v_add_co_u32 v68, s24, v68, -1
	s_delay_alu instid0(VALU_DEP_1)
	v_cndmask_b32_e64 v72, 0, 1, s24
	v_not_b32_e32 v76, v69
	v_cmp_gt_i32_e64 s25, 0, v69
	v_not_b32_e32 v69, v70
	v_lshlrev_b32_e32 v74, 26, v3
	v_cmp_ne_u32_e64 s24, 0, v72
	v_ashrrev_i32_e32 v76, 31, v76
	v_lshlrev_b32_e32 v75, 25, v3
	v_ashrrev_i32_e32 v69, 31, v69
	v_lshlrev_b32_e32 v72, 24, v3
	v_xor_b32_e32 v68, s24, v68
	v_cmp_gt_i32_e64 s24, 0, v70
	v_not_b32_e32 v70, v71
	v_xor_b32_e32 v76, s25, v76
	v_cmp_gt_i32_e64 s25, 0, v71
	v_and_b32_e32 v68, exec_lo, v68
	v_not_b32_e32 v71, v73
	v_ashrrev_i32_e32 v70, 31, v70
	v_xor_b32_e32 v69, s24, v69
	v_cmp_gt_i32_e64 s24, 0, v73
	v_and_b32_e32 v68, v68, v76
	v_not_b32_e32 v73, v74
	v_ashrrev_i32_e32 v71, 31, v71
	v_xor_b32_e32 v70, s25, v70
	v_cmp_gt_i32_e64 s25, 0, v74
	v_and_b32_e32 v68, v68, v69
	;; [unrolled: 5-line block ×3, first 2 shown]
	v_not_b32_e32 v70, v72
	v_ashrrev_i32_e32 v69, 31, v69
	v_xor_b32_e32 v73, s25, v73
	v_mul_u32_u24_e32 v3, 9, v3
	v_and_b32_e32 v68, v68, v71
	v_cmp_gt_i32_e64 s25, 0, v72
	v_ashrrev_i32_e32 v70, 31, v70
	v_xor_b32_e32 v69, s24, v69
	s_delay_alu instid0(VALU_DEP_4) | instskip(SKIP_1) | instid1(VALU_DEP_4)
	v_and_b32_e32 v71, v68, v73
	v_add_lshl_u32 v68, v2, v3, 2
	v_xor_b32_e32 v3, s25, v70
	s_delay_alu instid0(VALU_DEP_3) | instskip(SKIP_2) | instid1(VALU_DEP_1)
	v_and_b32_e32 v69, v71, v69
	ds_load_b32 v81, v68 offset:32
	; wave barrier
	v_and_b32_e32 v3, v69, v3
	v_mbcnt_lo_u32_b32 v82, v3, 0
	v_cmp_ne_u32_e64 s25, 0, v3
	s_delay_alu instid0(VALU_DEP_2) | instskip(NEXT) | instid1(VALU_DEP_1)
	v_cmp_eq_u32_e64 s24, 0, v82
	s_and_b32 s25, s25, s24
	s_delay_alu instid0(SALU_CYCLE_1)
	s_and_saveexec_b32 s24, s25
	s_cbranch_execz .LBB14_75
; %bb.74:
	s_waitcnt lgkmcnt(0)
	v_bcnt_u32_b32 v3, v3, v81
	ds_store_b32 v68, v3 offset:32
.LBB14_75:
	s_or_b32 exec_lo, exec_lo, s24
	v_xor_b32_e32 v41, -1, v41
	; wave barrier
	s_delay_alu instid0(VALU_DEP_1) | instskip(NEXT) | instid1(VALU_DEP_1)
	v_and_b32_e32 v3, 0xff, v41
	v_lshrrev_b32_e32 v3, s60, v3
	s_delay_alu instid0(VALU_DEP_1) | instskip(NEXT) | instid1(VALU_DEP_1)
	v_and_b32_e32 v3, s68, v3
	v_and_b32_e32 v69, 1, v3
	v_lshlrev_b32_e32 v70, 30, v3
	v_lshlrev_b32_e32 v71, 29, v3
	;; [unrolled: 1-line block ×4, first 2 shown]
	v_add_co_u32 v69, s24, v69, -1
	s_delay_alu instid0(VALU_DEP_1)
	v_cndmask_b32_e64 v73, 0, 1, s24
	v_not_b32_e32 v77, v70
	v_cmp_gt_i32_e64 s25, 0, v70
	v_not_b32_e32 v70, v71
	v_lshlrev_b32_e32 v75, 26, v3
	v_cmp_ne_u32_e64 s24, 0, v73
	v_ashrrev_i32_e32 v77, 31, v77
	v_lshlrev_b32_e32 v76, 25, v3
	v_ashrrev_i32_e32 v70, 31, v70
	v_lshlrev_b32_e32 v73, 24, v3
	v_xor_b32_e32 v69, s24, v69
	v_cmp_gt_i32_e64 s24, 0, v71
	v_not_b32_e32 v71, v72
	v_xor_b32_e32 v77, s25, v77
	v_cmp_gt_i32_e64 s25, 0, v72
	v_and_b32_e32 v69, exec_lo, v69
	v_not_b32_e32 v72, v74
	v_ashrrev_i32_e32 v71, 31, v71
	v_xor_b32_e32 v70, s24, v70
	v_cmp_gt_i32_e64 s24, 0, v74
	v_and_b32_e32 v69, v69, v77
	v_not_b32_e32 v74, v75
	v_ashrrev_i32_e32 v72, 31, v72
	v_xor_b32_e32 v71, s25, v71
	v_cmp_gt_i32_e64 s25, 0, v75
	v_and_b32_e32 v69, v69, v70
	v_not_b32_e32 v70, v76
	v_ashrrev_i32_e32 v74, 31, v74
	v_xor_b32_e32 v72, s24, v72
	v_cmp_gt_i32_e64 s24, 0, v76
	v_and_b32_e32 v69, v69, v71
	v_not_b32_e32 v71, v73
	v_ashrrev_i32_e32 v70, 31, v70
	v_xor_b32_e32 v74, s25, v74
	v_mul_u32_u24_e32 v3, 9, v3
	v_and_b32_e32 v69, v69, v72
	v_cmp_gt_i32_e64 s25, 0, v73
	v_ashrrev_i32_e32 v71, 31, v71
	v_xor_b32_e32 v70, s24, v70
	s_delay_alu instid0(VALU_DEP_4) | instskip(SKIP_1) | instid1(VALU_DEP_4)
	v_and_b32_e32 v72, v69, v74
	v_add_lshl_u32 v69, v2, v3, 2
	v_xor_b32_e32 v3, s25, v71
	s_delay_alu instid0(VALU_DEP_3) | instskip(SKIP_2) | instid1(VALU_DEP_1)
	v_and_b32_e32 v70, v72, v70
	ds_load_b32 v84, v69 offset:32
	; wave barrier
	v_and_b32_e32 v3, v70, v3
	v_mbcnt_lo_u32_b32 v85, v3, 0
	v_cmp_ne_u32_e64 s25, 0, v3
	s_delay_alu instid0(VALU_DEP_2) | instskip(NEXT) | instid1(VALU_DEP_1)
	v_cmp_eq_u32_e64 s24, 0, v85
	s_and_b32 s25, s25, s24
	s_delay_alu instid0(SALU_CYCLE_1)
	s_and_saveexec_b32 s24, s25
	s_cbranch_execz .LBB14_77
; %bb.76:
	s_waitcnt lgkmcnt(0)
	v_bcnt_u32_b32 v3, v3, v84
	ds_store_b32 v69, v3 offset:32
.LBB14_77:
	s_or_b32 exec_lo, exec_lo, s24
	v_xor_b32_e32 v83, -1, v9
	; wave barrier
	s_delay_alu instid0(VALU_DEP_1) | instskip(NEXT) | instid1(VALU_DEP_1)
	v_and_b32_e32 v3, 0xff, v83
	v_lshrrev_b32_e32 v3, s60, v3
	s_delay_alu instid0(VALU_DEP_1) | instskip(NEXT) | instid1(VALU_DEP_1)
	v_and_b32_e32 v3, s68, v3
	v_and_b32_e32 v9, 1, v3
	v_lshlrev_b32_e32 v70, 30, v3
	v_lshlrev_b32_e32 v71, 29, v3
	;; [unrolled: 1-line block ×4, first 2 shown]
	v_add_co_u32 v9, s24, v9, -1
	s_delay_alu instid0(VALU_DEP_1)
	v_cndmask_b32_e64 v73, 0, 1, s24
	v_not_b32_e32 v77, v70
	v_cmp_gt_i32_e64 s25, 0, v70
	v_not_b32_e32 v70, v71
	v_lshlrev_b32_e32 v75, 26, v3
	v_cmp_ne_u32_e64 s24, 0, v73
	v_ashrrev_i32_e32 v77, 31, v77
	v_lshlrev_b32_e32 v76, 25, v3
	v_ashrrev_i32_e32 v70, 31, v70
	v_lshlrev_b32_e32 v73, 24, v3
	v_xor_b32_e32 v9, s24, v9
	v_cmp_gt_i32_e64 s24, 0, v71
	v_not_b32_e32 v71, v72
	v_xor_b32_e32 v77, s25, v77
	v_cmp_gt_i32_e64 s25, 0, v72
	v_and_b32_e32 v9, exec_lo, v9
	v_not_b32_e32 v72, v74
	v_ashrrev_i32_e32 v71, 31, v71
	v_xor_b32_e32 v70, s24, v70
	v_cmp_gt_i32_e64 s24, 0, v74
	v_and_b32_e32 v9, v9, v77
	v_not_b32_e32 v74, v75
	v_ashrrev_i32_e32 v72, 31, v72
	v_xor_b32_e32 v71, s25, v71
	v_cmp_gt_i32_e64 s25, 0, v75
	v_and_b32_e32 v9, v9, v70
	;; [unrolled: 5-line block ×3, first 2 shown]
	v_not_b32_e32 v71, v73
	v_ashrrev_i32_e32 v70, 31, v70
	v_xor_b32_e32 v74, s25, v74
	v_mul_u32_u24_e32 v3, 9, v3
	v_and_b32_e32 v9, v9, v72
	v_cmp_gt_i32_e64 s25, 0, v73
	v_ashrrev_i32_e32 v71, 31, v71
	v_xor_b32_e32 v72, s24, v70
	v_add_lshl_u32 v70, v2, v3, 2
	v_and_b32_e32 v9, v9, v74
	s_delay_alu instid0(VALU_DEP_4) | instskip(SKIP_2) | instid1(VALU_DEP_1)
	v_xor_b32_e32 v3, s25, v71
	ds_load_b32 v87, v70 offset:32
	v_and_b32_e32 v9, v9, v72
	; wave barrier
	v_and_b32_e32 v3, v9, v3
	s_delay_alu instid0(VALU_DEP_1) | instskip(SKIP_1) | instid1(VALU_DEP_2)
	v_mbcnt_lo_u32_b32 v88, v3, 0
	v_cmp_ne_u32_e64 s25, 0, v3
	v_cmp_eq_u32_e64 s24, 0, v88
	s_delay_alu instid0(VALU_DEP_1) | instskip(NEXT) | instid1(SALU_CYCLE_1)
	s_and_b32 s25, s25, s24
	s_and_saveexec_b32 s24, s25
	s_cbranch_execz .LBB14_79
; %bb.78:
	s_waitcnt lgkmcnt(0)
	v_bcnt_u32_b32 v3, v3, v87
	ds_store_b32 v70, v3 offset:32
.LBB14_79:
	s_or_b32 exec_lo, exec_lo, s24
	v_xor_b32_e32 v86, -1, v8
	; wave barrier
	s_delay_alu instid0(VALU_DEP_1) | instskip(NEXT) | instid1(VALU_DEP_1)
	v_and_b32_e32 v3, 0xff, v86
	v_lshrrev_b32_e32 v3, s60, v3
	s_delay_alu instid0(VALU_DEP_1) | instskip(NEXT) | instid1(VALU_DEP_1)
	v_and_b32_e32 v3, s68, v3
	v_and_b32_e32 v8, 1, v3
	v_lshlrev_b32_e32 v9, 30, v3
	v_lshlrev_b32_e32 v71, 29, v3
	;; [unrolled: 1-line block ×4, first 2 shown]
	v_add_co_u32 v8, s24, v8, -1
	s_delay_alu instid0(VALU_DEP_1)
	v_cndmask_b32_e64 v73, 0, 1, s24
	v_not_b32_e32 v77, v9
	v_cmp_gt_i32_e64 s25, 0, v9
	v_not_b32_e32 v9, v71
	v_lshlrev_b32_e32 v75, 26, v3
	v_cmp_ne_u32_e64 s24, 0, v73
	v_ashrrev_i32_e32 v77, 31, v77
	v_lshlrev_b32_e32 v76, 25, v3
	v_ashrrev_i32_e32 v9, 31, v9
	v_lshlrev_b32_e32 v73, 24, v3
	v_xor_b32_e32 v8, s24, v8
	v_cmp_gt_i32_e64 s24, 0, v71
	v_not_b32_e32 v71, v72
	v_xor_b32_e32 v77, s25, v77
	v_cmp_gt_i32_e64 s25, 0, v72
	v_and_b32_e32 v8, exec_lo, v8
	v_not_b32_e32 v72, v74
	v_ashrrev_i32_e32 v71, 31, v71
	v_xor_b32_e32 v9, s24, v9
	v_cmp_gt_i32_e64 s24, 0, v74
	v_and_b32_e32 v8, v8, v77
	v_not_b32_e32 v74, v75
	v_ashrrev_i32_e32 v72, 31, v72
	v_xor_b32_e32 v71, s25, v71
	v_cmp_gt_i32_e64 s25, 0, v75
	v_and_b32_e32 v8, v8, v9
	;; [unrolled: 5-line block ×3, first 2 shown]
	v_not_b32_e32 v71, v73
	v_ashrrev_i32_e32 v9, 31, v9
	v_xor_b32_e32 v74, s25, v74
	v_mul_u32_u24_e32 v3, 9, v3
	v_and_b32_e32 v8, v8, v72
	v_cmp_gt_i32_e64 s25, 0, v73
	v_ashrrev_i32_e32 v72, 31, v71
	v_xor_b32_e32 v9, s24, v9
	v_add_lshl_u32 v71, v2, v3, 2
	v_and_b32_e32 v8, v8, v74
	s_delay_alu instid0(VALU_DEP_4) | instskip(SKIP_2) | instid1(VALU_DEP_1)
	v_xor_b32_e32 v3, s25, v72
	ds_load_b32 v90, v71 offset:32
	v_and_b32_e32 v8, v8, v9
	; wave barrier
	v_and_b32_e32 v3, v8, v3
	s_delay_alu instid0(VALU_DEP_1) | instskip(SKIP_1) | instid1(VALU_DEP_2)
	v_mbcnt_lo_u32_b32 v91, v3, 0
	v_cmp_ne_u32_e64 s25, 0, v3
	v_cmp_eq_u32_e64 s24, 0, v91
	s_delay_alu instid0(VALU_DEP_1) | instskip(NEXT) | instid1(SALU_CYCLE_1)
	s_and_b32 s25, s25, s24
	s_and_saveexec_b32 s24, s25
	s_cbranch_execz .LBB14_81
; %bb.80:
	s_waitcnt lgkmcnt(0)
	v_bcnt_u32_b32 v3, v3, v90
	ds_store_b32 v71, v3 offset:32
.LBB14_81:
	s_or_b32 exec_lo, exec_lo, s24
	v_xor_b32_e32 v89, -1, v7
	; wave barrier
	s_delay_alu instid0(VALU_DEP_1) | instskip(NEXT) | instid1(VALU_DEP_1)
	v_and_b32_e32 v3, 0xff, v89
	v_lshrrev_b32_e32 v3, s60, v3
	s_delay_alu instid0(VALU_DEP_1) | instskip(NEXT) | instid1(VALU_DEP_1)
	v_and_b32_e32 v3, s68, v3
	v_and_b32_e32 v7, 1, v3
	v_lshlrev_b32_e32 v8, 30, v3
	v_lshlrev_b32_e32 v9, 29, v3
	;; [unrolled: 1-line block ×4, first 2 shown]
	v_add_co_u32 v7, s24, v7, -1
	s_delay_alu instid0(VALU_DEP_1)
	v_cndmask_b32_e64 v73, 0, 1, s24
	v_not_b32_e32 v77, v8
	v_cmp_gt_i32_e64 s25, 0, v8
	v_not_b32_e32 v8, v9
	v_lshlrev_b32_e32 v75, 26, v3
	v_cmp_ne_u32_e64 s24, 0, v73
	v_ashrrev_i32_e32 v77, 31, v77
	v_lshlrev_b32_e32 v76, 25, v3
	v_ashrrev_i32_e32 v8, 31, v8
	v_lshlrev_b32_e32 v73, 24, v3
	v_xor_b32_e32 v7, s24, v7
	v_cmp_gt_i32_e64 s24, 0, v9
	v_not_b32_e32 v9, v72
	v_xor_b32_e32 v77, s25, v77
	v_cmp_gt_i32_e64 s25, 0, v72
	v_and_b32_e32 v7, exec_lo, v7
	v_not_b32_e32 v72, v74
	v_ashrrev_i32_e32 v9, 31, v9
	v_xor_b32_e32 v8, s24, v8
	v_cmp_gt_i32_e64 s24, 0, v74
	v_and_b32_e32 v7, v7, v77
	v_not_b32_e32 v74, v75
	v_ashrrev_i32_e32 v72, 31, v72
	v_xor_b32_e32 v9, s25, v9
	v_cmp_gt_i32_e64 s25, 0, v75
	v_and_b32_e32 v7, v7, v8
	v_not_b32_e32 v8, v76
	v_ashrrev_i32_e32 v74, 31, v74
	v_xor_b32_e32 v72, s24, v72
	v_cmp_gt_i32_e64 s24, 0, v76
	v_and_b32_e32 v7, v7, v9
	v_not_b32_e32 v9, v73
	v_ashrrev_i32_e32 v8, 31, v8
	v_xor_b32_e32 v74, s25, v74
	v_mul_u32_u24_e32 v3, 9, v3
	v_and_b32_e32 v7, v7, v72
	v_cmp_gt_i32_e64 s25, 0, v73
	v_ashrrev_i32_e32 v9, 31, v9
	v_xor_b32_e32 v8, s24, v8
	v_add_lshl_u32 v72, v2, v3, 2
	v_and_b32_e32 v7, v7, v74
	s_delay_alu instid0(VALU_DEP_4) | instskip(SKIP_2) | instid1(VALU_DEP_1)
	v_xor_b32_e32 v3, s25, v9
	ds_load_b32 v93, v72 offset:32
	v_and_b32_e32 v7, v7, v8
	; wave barrier
	v_and_b32_e32 v3, v7, v3
	s_delay_alu instid0(VALU_DEP_1) | instskip(SKIP_1) | instid1(VALU_DEP_2)
	v_mbcnt_lo_u32_b32 v94, v3, 0
	v_cmp_ne_u32_e64 s25, 0, v3
	v_cmp_eq_u32_e64 s24, 0, v94
	s_delay_alu instid0(VALU_DEP_1) | instskip(NEXT) | instid1(SALU_CYCLE_1)
	s_and_b32 s25, s25, s24
	s_and_saveexec_b32 s24, s25
	s_cbranch_execz .LBB14_83
; %bb.82:
	s_waitcnt lgkmcnt(0)
	v_bcnt_u32_b32 v3, v3, v93
	ds_store_b32 v72, v3 offset:32
.LBB14_83:
	s_or_b32 exec_lo, exec_lo, s24
	v_xor_b32_e32 v92, -1, v6
	; wave barrier
	s_delay_alu instid0(VALU_DEP_1) | instskip(NEXT) | instid1(VALU_DEP_1)
	v_and_b32_e32 v3, 0xff, v92
	v_lshrrev_b32_e32 v3, s60, v3
	s_delay_alu instid0(VALU_DEP_1) | instskip(NEXT) | instid1(VALU_DEP_1)
	v_and_b32_e32 v3, s68, v3
	v_and_b32_e32 v6, 1, v3
	v_lshlrev_b32_e32 v7, 30, v3
	v_lshlrev_b32_e32 v8, 29, v3
	;; [unrolled: 1-line block ×4, first 2 shown]
	v_add_co_u32 v6, s24, v6, -1
	s_delay_alu instid0(VALU_DEP_1)
	v_cndmask_b32_e64 v73, 0, 1, s24
	v_not_b32_e32 v77, v7
	v_cmp_gt_i32_e64 s25, 0, v7
	v_not_b32_e32 v7, v8
	v_lshlrev_b32_e32 v75, 26, v3
	v_cmp_ne_u32_e64 s24, 0, v73
	v_ashrrev_i32_e32 v77, 31, v77
	v_lshlrev_b32_e32 v76, 25, v3
	v_ashrrev_i32_e32 v7, 31, v7
	v_lshlrev_b32_e32 v73, 24, v3
	v_xor_b32_e32 v6, s24, v6
	v_cmp_gt_i32_e64 s24, 0, v8
	v_not_b32_e32 v8, v9
	v_xor_b32_e32 v77, s25, v77
	v_cmp_gt_i32_e64 s25, 0, v9
	v_and_b32_e32 v6, exec_lo, v6
	v_not_b32_e32 v9, v74
	v_ashrrev_i32_e32 v8, 31, v8
	v_xor_b32_e32 v7, s24, v7
	v_cmp_gt_i32_e64 s24, 0, v74
	v_and_b32_e32 v6, v6, v77
	v_not_b32_e32 v74, v75
	v_ashrrev_i32_e32 v9, 31, v9
	v_xor_b32_e32 v8, s25, v8
	v_cmp_gt_i32_e64 s25, 0, v75
	v_and_b32_e32 v6, v6, v7
	;; [unrolled: 5-line block ×3, first 2 shown]
	v_not_b32_e32 v8, v73
	v_ashrrev_i32_e32 v7, 31, v7
	v_xor_b32_e32 v74, s25, v74
	v_mul_u32_u24_e32 v3, 9, v3
	v_and_b32_e32 v6, v6, v9
	v_cmp_gt_i32_e64 s25, 0, v73
	v_ashrrev_i32_e32 v8, 31, v8
	v_xor_b32_e32 v7, s24, v7
	v_add_lshl_u32 v73, v2, v3, 2
	v_and_b32_e32 v6, v6, v74
	s_delay_alu instid0(VALU_DEP_4) | instskip(SKIP_2) | instid1(VALU_DEP_1)
	v_xor_b32_e32 v3, s25, v8
	ds_load_b32 v96, v73 offset:32
	v_and_b32_e32 v6, v6, v7
	; wave barrier
	v_and_b32_e32 v3, v6, v3
	s_delay_alu instid0(VALU_DEP_1) | instskip(SKIP_1) | instid1(VALU_DEP_2)
	v_mbcnt_lo_u32_b32 v97, v3, 0
	v_cmp_ne_u32_e64 s25, 0, v3
	v_cmp_eq_u32_e64 s24, 0, v97
	s_delay_alu instid0(VALU_DEP_1) | instskip(NEXT) | instid1(SALU_CYCLE_1)
	s_and_b32 s25, s25, s24
	s_and_saveexec_b32 s24, s25
	s_cbranch_execz .LBB14_85
; %bb.84:
	s_waitcnt lgkmcnt(0)
	v_bcnt_u32_b32 v3, v3, v96
	ds_store_b32 v73, v3 offset:32
.LBB14_85:
	s_or_b32 exec_lo, exec_lo, s24
	v_xor_b32_e32 v95, -1, v5
	; wave barrier
	s_delay_alu instid0(VALU_DEP_1) | instskip(NEXT) | instid1(VALU_DEP_1)
	v_and_b32_e32 v3, 0xff, v95
	v_lshrrev_b32_e32 v3, s60, v3
	s_delay_alu instid0(VALU_DEP_1) | instskip(NEXT) | instid1(VALU_DEP_1)
	v_and_b32_e32 v3, s68, v3
	v_and_b32_e32 v5, 1, v3
	v_lshlrev_b32_e32 v6, 30, v3
	v_lshlrev_b32_e32 v7, 29, v3
	;; [unrolled: 1-line block ×4, first 2 shown]
	v_add_co_u32 v5, s24, v5, -1
	s_delay_alu instid0(VALU_DEP_1)
	v_cndmask_b32_e64 v9, 0, 1, s24
	v_not_b32_e32 v77, v6
	v_cmp_gt_i32_e64 s25, 0, v6
	v_not_b32_e32 v6, v7
	v_lshlrev_b32_e32 v75, 26, v3
	v_cmp_ne_u32_e64 s24, 0, v9
	v_ashrrev_i32_e32 v77, 31, v77
	v_lshlrev_b32_e32 v76, 25, v3
	v_ashrrev_i32_e32 v6, 31, v6
	v_lshlrev_b32_e32 v9, 24, v3
	v_xor_b32_e32 v5, s24, v5
	v_cmp_gt_i32_e64 s24, 0, v7
	v_not_b32_e32 v7, v8
	v_xor_b32_e32 v77, s25, v77
	v_cmp_gt_i32_e64 s25, 0, v8
	v_and_b32_e32 v5, exec_lo, v5
	v_not_b32_e32 v8, v74
	v_ashrrev_i32_e32 v7, 31, v7
	v_xor_b32_e32 v6, s24, v6
	v_cmp_gt_i32_e64 s24, 0, v74
	v_and_b32_e32 v5, v5, v77
	v_not_b32_e32 v74, v75
	v_ashrrev_i32_e32 v8, 31, v8
	v_xor_b32_e32 v7, s25, v7
	v_cmp_gt_i32_e64 s25, 0, v75
	v_and_b32_e32 v5, v5, v6
	;; [unrolled: 5-line block ×3, first 2 shown]
	v_not_b32_e32 v7, v9
	v_ashrrev_i32_e32 v6, 31, v6
	v_xor_b32_e32 v74, s25, v74
	v_mul_u32_u24_e32 v3, 9, v3
	v_and_b32_e32 v5, v5, v8
	v_cmp_gt_i32_e64 s25, 0, v9
	v_ashrrev_i32_e32 v7, 31, v7
	v_xor_b32_e32 v6, s24, v6
	s_delay_alu instid0(VALU_DEP_4) | instskip(SKIP_1) | instid1(VALU_DEP_4)
	v_and_b32_e32 v5, v5, v74
	v_add_lshl_u32 v74, v2, v3, 2
	v_xor_b32_e32 v3, s25, v7
	s_delay_alu instid0(VALU_DEP_3) | instskip(SKIP_2) | instid1(VALU_DEP_1)
	v_and_b32_e32 v5, v5, v6
	ds_load_b32 v99, v74 offset:32
	; wave barrier
	v_and_b32_e32 v3, v5, v3
	v_mbcnt_lo_u32_b32 v100, v3, 0
	v_cmp_ne_u32_e64 s25, 0, v3
	s_delay_alu instid0(VALU_DEP_2) | instskip(NEXT) | instid1(VALU_DEP_1)
	v_cmp_eq_u32_e64 s24, 0, v100
	s_and_b32 s25, s25, s24
	s_delay_alu instid0(SALU_CYCLE_1)
	s_and_saveexec_b32 s24, s25
	s_cbranch_execz .LBB14_87
; %bb.86:
	s_waitcnt lgkmcnt(0)
	v_bcnt_u32_b32 v3, v3, v99
	ds_store_b32 v74, v3 offset:32
.LBB14_87:
	s_or_b32 exec_lo, exec_lo, s24
	v_xor_b32_e32 v98, -1, v4
	; wave barrier
	s_delay_alu instid0(VALU_DEP_1) | instskip(NEXT) | instid1(VALU_DEP_1)
	v_and_b32_e32 v3, 0xff, v98
	v_lshrrev_b32_e32 v3, s60, v3
	s_delay_alu instid0(VALU_DEP_1) | instskip(NEXT) | instid1(VALU_DEP_1)
	v_and_b32_e32 v3, s68, v3
	v_and_b32_e32 v4, 1, v3
	v_lshlrev_b32_e32 v5, 30, v3
	v_lshlrev_b32_e32 v6, 29, v3
	;; [unrolled: 1-line block ×4, first 2 shown]
	v_add_co_u32 v4, s24, v4, -1
	s_delay_alu instid0(VALU_DEP_1)
	v_cndmask_b32_e64 v8, 0, 1, s24
	v_not_b32_e32 v77, v5
	v_cmp_gt_i32_e64 s25, 0, v5
	v_not_b32_e32 v5, v6
	v_lshlrev_b32_e32 v75, 26, v3
	v_cmp_ne_u32_e64 s24, 0, v8
	v_ashrrev_i32_e32 v77, 31, v77
	v_lshlrev_b32_e32 v76, 25, v3
	v_ashrrev_i32_e32 v5, 31, v5
	v_lshlrev_b32_e32 v8, 24, v3
	v_xor_b32_e32 v4, s24, v4
	v_cmp_gt_i32_e64 s24, 0, v6
	v_not_b32_e32 v6, v7
	v_xor_b32_e32 v77, s25, v77
	v_cmp_gt_i32_e64 s25, 0, v7
	v_and_b32_e32 v4, exec_lo, v4
	v_not_b32_e32 v7, v9
	v_ashrrev_i32_e32 v6, 31, v6
	v_xor_b32_e32 v5, s24, v5
	v_cmp_gt_i32_e64 s24, 0, v9
	v_and_b32_e32 v4, v4, v77
	v_not_b32_e32 v9, v75
	v_ashrrev_i32_e32 v7, 31, v7
	v_xor_b32_e32 v6, s25, v6
	v_cmp_gt_i32_e64 s25, 0, v75
	v_and_b32_e32 v4, v4, v5
	v_not_b32_e32 v5, v76
	v_ashrrev_i32_e32 v9, 31, v9
	v_xor_b32_e32 v7, s24, v7
	v_cmp_gt_i32_e64 s24, 0, v76
	v_and_b32_e32 v4, v4, v6
	v_not_b32_e32 v6, v8
	v_ashrrev_i32_e32 v5, 31, v5
	v_xor_b32_e32 v9, s25, v9
	v_mul_u32_u24_e32 v3, 9, v3
	v_and_b32_e32 v4, v4, v7
	v_cmp_gt_i32_e64 s25, 0, v8
	v_ashrrev_i32_e32 v6, 31, v6
	v_xor_b32_e32 v5, s24, v5
	v_add_lshl_u32 v75, v2, v3, 2
	v_and_b32_e32 v4, v4, v9
	v_add_nc_u32_e32 v76, 32, v15
	v_xor_b32_e32 v2, s25, v6
	ds_load_b32 v101, v75 offset:32
	v_and_b32_e32 v3, v4, v5
	; wave barrier
	s_delay_alu instid0(VALU_DEP_1) | instskip(NEXT) | instid1(VALU_DEP_1)
	v_and_b32_e32 v2, v3, v2
	v_mbcnt_lo_u32_b32 v102, v2, 0
	v_cmp_ne_u32_e64 s25, 0, v2
	s_delay_alu instid0(VALU_DEP_2) | instskip(NEXT) | instid1(VALU_DEP_1)
	v_cmp_eq_u32_e64 s24, 0, v102
	s_and_b32 s25, s25, s24
	s_delay_alu instid0(SALU_CYCLE_1)
	s_and_saveexec_b32 s24, s25
	s_cbranch_execz .LBB14_89
; %bb.88:
	s_waitcnt lgkmcnt(0)
	v_bcnt_u32_b32 v2, v2, v101
	ds_store_b32 v75, v2 offset:32
.LBB14_89:
	s_or_b32 exec_lo, exec_lo, s24
	; wave barrier
	s_waitcnt lgkmcnt(0)
	s_barrier
	buffer_gl0_inv
	ds_load_2addr_b32 v[8:9], v15 offset0:8 offset1:9
	ds_load_2addr_b32 v[6:7], v76 offset0:2 offset1:3
	;; [unrolled: 1-line block ×4, first 2 shown]
	ds_load_b32 v77, v76 offset:32
	v_min_u32_e32 v11, 0xe0, v11
	s_mov_b32 s25, exec_lo
	s_delay_alu instid0(VALU_DEP_1) | instskip(SKIP_3) | instid1(VALU_DEP_1)
	v_or_b32_e32 v105, 31, v11
	s_waitcnt lgkmcnt(3)
	v_add3_u32 v103, v9, v8, v6
	s_waitcnt lgkmcnt(2)
	v_add3_u32 v103, v103, v7, v4
	s_waitcnt lgkmcnt(1)
	s_delay_alu instid0(VALU_DEP_1) | instskip(SKIP_1) | instid1(VALU_DEP_1)
	v_add3_u32 v103, v103, v5, v2
	s_waitcnt lgkmcnt(0)
	v_add3_u32 v77, v103, v3, v77
	v_and_b32_e32 v103, 15, v51
	s_delay_alu instid0(VALU_DEP_2) | instskip(NEXT) | instid1(VALU_DEP_2)
	v_mov_b32_dpp v104, v77 row_shr:1 row_mask:0xf bank_mask:0xf
	v_cmp_ne_u32_e64 s24, 0, v103
	s_delay_alu instid0(VALU_DEP_1) | instskip(SKIP_1) | instid1(VALU_DEP_2)
	v_cndmask_b32_e64 v104, 0, v104, s24
	v_cmp_lt_u32_e64 s24, 1, v103
	v_add_nc_u32_e32 v77, v104, v77
	s_delay_alu instid0(VALU_DEP_1) | instskip(NEXT) | instid1(VALU_DEP_1)
	v_mov_b32_dpp v104, v77 row_shr:2 row_mask:0xf bank_mask:0xf
	v_cndmask_b32_e64 v104, 0, v104, s24
	v_cmp_lt_u32_e64 s24, 3, v103
	s_delay_alu instid0(VALU_DEP_2) | instskip(NEXT) | instid1(VALU_DEP_1)
	v_add_nc_u32_e32 v77, v77, v104
	v_mov_b32_dpp v104, v77 row_shr:4 row_mask:0xf bank_mask:0xf
	s_delay_alu instid0(VALU_DEP_1) | instskip(SKIP_1) | instid1(VALU_DEP_2)
	v_cndmask_b32_e64 v104, 0, v104, s24
	v_cmp_lt_u32_e64 s24, 7, v103
	v_add_nc_u32_e32 v77, v77, v104
	s_delay_alu instid0(VALU_DEP_1) | instskip(NEXT) | instid1(VALU_DEP_1)
	v_mov_b32_dpp v104, v77 row_shr:8 row_mask:0xf bank_mask:0xf
	v_cndmask_b32_e64 v103, 0, v104, s24
	v_bfe_i32 v104, v51, 4, 1
	s_delay_alu instid0(VALU_DEP_2) | instskip(SKIP_4) | instid1(VALU_DEP_2)
	v_add_nc_u32_e32 v103, v77, v103
	ds_swizzle_b32 v77, v103 offset:swizzle(BROADCAST,32,15)
	s_waitcnt lgkmcnt(0)
	v_and_b32_e32 v104, v104, v77
	v_lshrrev_b32_e32 v77, 5, v1
	v_add_nc_u32_e32 v11, v103, v104
	v_cmpx_eq_u32_e64 v105, v1
	s_cbranch_execz .LBB14_91
; %bb.90:
	s_delay_alu instid0(VALU_DEP_3)
	v_lshlrev_b32_e32 v103, 2, v77
	ds_store_b32 v103, v11
.LBB14_91:
	s_or_b32 exec_lo, exec_lo, s25
	s_delay_alu instid0(SALU_CYCLE_1)
	s_mov_b32 s25, exec_lo
	s_waitcnt lgkmcnt(0)
	s_barrier
	buffer_gl0_inv
	v_cmpx_gt_u32_e32 8, v1
	s_cbranch_execz .LBB14_93
; %bb.92:
	v_lshlrev_b32_e32 v103, 2, v1
	v_and_b32_e32 v105, 7, v51
	ds_load_b32 v104, v103
	v_cmp_ne_u32_e64 s24, 0, v105
	s_waitcnt lgkmcnt(0)
	v_mov_b32_dpp v106, v104 row_shr:1 row_mask:0xf bank_mask:0xf
	s_delay_alu instid0(VALU_DEP_1) | instskip(SKIP_1) | instid1(VALU_DEP_2)
	v_cndmask_b32_e64 v106, 0, v106, s24
	v_cmp_lt_u32_e64 s24, 1, v105
	v_add_nc_u32_e32 v104, v106, v104
	s_delay_alu instid0(VALU_DEP_1) | instskip(NEXT) | instid1(VALU_DEP_1)
	v_mov_b32_dpp v106, v104 row_shr:2 row_mask:0xf bank_mask:0xf
	v_cndmask_b32_e64 v106, 0, v106, s24
	v_cmp_lt_u32_e64 s24, 3, v105
	s_delay_alu instid0(VALU_DEP_2) | instskip(NEXT) | instid1(VALU_DEP_1)
	v_add_nc_u32_e32 v104, v104, v106
	v_mov_b32_dpp v106, v104 row_shr:4 row_mask:0xf bank_mask:0xf
	s_delay_alu instid0(VALU_DEP_1) | instskip(NEXT) | instid1(VALU_DEP_1)
	v_cndmask_b32_e64 v105, 0, v106, s24
	v_add_nc_u32_e32 v104, v104, v105
	ds_store_b32 v103, v104
.LBB14_93:
	s_or_b32 exec_lo, exec_lo, s25
	v_mov_b32_e32 v103, 0
	s_mov_b32 s25, exec_lo
	s_waitcnt lgkmcnt(0)
	s_barrier
	buffer_gl0_inv
	v_cmpx_lt_u32_e32 31, v1
	s_cbranch_execz .LBB14_95
; %bb.94:
	v_lshl_add_u32 v77, v77, 2, -4
	ds_load_b32 v103, v77
.LBB14_95:
	s_or_b32 exec_lo, exec_lo, s25
	v_add_nc_u32_e32 v77, -1, v51
	s_waitcnt lgkmcnt(0)
	v_add_nc_u32_e32 v11, v103, v11
	s_mov_b32 s25, 0
	s_mov_b32 s26, exec_lo
	v_cmp_gt_i32_e64 s24, 0, v77
	s_delay_alu instid0(VALU_DEP_1) | instskip(SKIP_1) | instid1(VALU_DEP_2)
	v_cndmask_b32_e64 v77, v77, v51, s24
	v_cmp_eq_u32_e64 s24, 0, v51
	v_lshlrev_b32_e32 v77, 2, v77
	ds_bpermute_b32 v11, v77, v11
	s_waitcnt lgkmcnt(0)
	v_cndmask_b32_e64 v11, v11, v103, s24
	v_cmp_ne_u32_e64 s24, 0, v1
	s_delay_alu instid0(VALU_DEP_1) | instskip(NEXT) | instid1(VALU_DEP_1)
	v_cndmask_b32_e64 v11, 0, v11, s24
	v_add_nc_u32_e32 v8, v11, v8
	s_delay_alu instid0(VALU_DEP_1) | instskip(NEXT) | instid1(VALU_DEP_1)
	v_add_nc_u32_e32 v9, v8, v9
	v_add_nc_u32_e32 v6, v9, v6
	s_delay_alu instid0(VALU_DEP_1) | instskip(NEXT) | instid1(VALU_DEP_1)
	v_add_nc_u32_e32 v7, v6, v7
	;; [unrolled: 3-line block ×3, first 2 shown]
	v_add_nc_u32_e32 v2, v5, v2
	s_delay_alu instid0(VALU_DEP_1)
	v_add_nc_u32_e32 v3, v2, v3
	ds_store_2addr_b32 v15, v11, v8 offset0:8 offset1:9
	ds_store_2addr_b32 v76, v9, v6 offset0:2 offset1:3
	;; [unrolled: 1-line block ×4, first 2 shown]
	ds_store_b32 v76, v3 offset:32
	v_mov_b32_e32 v2, 0x1600
	s_waitcnt lgkmcnt(0)
	s_barrier
	buffer_gl0_inv
	ds_load_b32 v4, v20 offset:32
	ds_load_b32 v5, v24 offset:32
	;; [unrolled: 1-line block ×23, first 2 shown]
	v_add_nc_u32_e32 v15, 1, v1
	s_delay_alu instid0(VALU_DEP_1)
	v_cmpx_ne_u32_e32 0x100, v15
	s_cbranch_execz .LBB14_97
; %bb.96:
	v_mul_u32_u24_e32 v2, 9, v15
	s_delay_alu instid0(VALU_DEP_1)
	v_lshlrev_b32_e32 v2, 2, v2
	ds_load_b32 v2, v2 offset:32
.LBB14_97:
	s_or_b32 exec_lo, exec_lo, s26
	s_waitcnt lgkmcnt(22)
	v_add3_u32 v76, v19, v18, v4
	s_waitcnt lgkmcnt(21)
	v_add3_u32 v75, v23, v22, v5
	v_lshl_add_u32 v4, s15, 8, v1
	v_mov_b32_e32 v5, 0
	s_waitcnt lgkmcnt(20)
	v_add3_u32 v74, v27, v26, v6
	s_waitcnt lgkmcnt(19)
	v_add3_u32 v73, v31, v30, v7
	;; [unrolled: 2-line block ×4, first 2 shown]
	v_lshlrev_b64 v[6:7], 2, v[4:5]
	s_waitcnt lgkmcnt(0)
	v_sub_nc_u32_e32 v52, v2, v3
	v_dual_mov_b32 v2, 0 :: v_dual_add_nc_u32 v77, v16, v14
	v_add3_u32 v72, v35, v34, v8
	v_add3_u32 v71, v39, v38, v9
	v_add_co_u32 v6, s24, s66, v6
	v_add3_u32 v70, v44, v43, v11
	v_add3_u32 v69, v49, v48, v20
	;; [unrolled: 1-line block ×13, first 2 shown]
	v_add_co_ci_u32_e64 v7, s24, s67, v7, s24
	v_or_b32_e32 v4, 2.0, v52
	s_mov_b32 s26, s63
	s_barrier
	buffer_gl0_inv
	ds_store_b8 v77, v12 offset:2048
	ds_store_b8 v76, v13 offset:2048
	;; [unrolled: 1-line block ×22, first 2 shown]
	s_waitcnt lgkmcnt(0)
	s_barrier
	buffer_gl0_inv
	global_store_b32 v[6:7], v4, off
                                        ; implicit-def: $sgpr24
	s_branch .LBB14_99
	.p2align	6
.LBB14_98:                              ;   in Loop: Header=BB14_99 Depth=1
	s_or_b32 exec_lo, exec_lo, s27
	v_and_b32_e32 v8, 0x3fffffff, v11
	v_cmp_eq_u32_e64 s24, 0x80000000, v4
	s_delay_alu instid0(VALU_DEP_2) | instskip(NEXT) | instid1(VALU_DEP_2)
	v_add_nc_u32_e32 v2, v8, v2
	s_and_b32 s27, exec_lo, s24
	s_delay_alu instid0(SALU_CYCLE_1) | instskip(NEXT) | instid1(SALU_CYCLE_1)
	s_or_b32 s25, s27, s25
	s_and_not1_b32 exec_lo, exec_lo, s25
	s_cbranch_execz .LBB14_105
.LBB14_99:                              ; =>This Loop Header: Depth=1
                                        ;     Child Loop BB14_102 Depth 2
	s_or_b32 s24, s24, exec_lo
	s_cmp_eq_u32 s26, 0
	s_cbranch_scc1 .LBB14_104
; %bb.100:                              ;   in Loop: Header=BB14_99 Depth=1
	s_add_i32 s26, s26, -1
	s_mov_b32 s27, exec_lo
	v_lshl_add_u32 v4, s26, 8, v1
	s_delay_alu instid0(VALU_DEP_1) | instskip(NEXT) | instid1(VALU_DEP_1)
	v_lshlrev_b64 v[8:9], 2, v[4:5]
	v_add_co_u32 v8, s24, s66, v8
	s_delay_alu instid0(VALU_DEP_1) | instskip(SKIP_3) | instid1(VALU_DEP_1)
	v_add_co_ci_u32_e64 v9, s24, s67, v9, s24
	global_load_b32 v11, v[8:9], off glc
	s_waitcnt vmcnt(0)
	v_and_b32_e32 v4, -2.0, v11
	v_cmpx_eq_u32_e32 0, v4
	s_cbranch_execz .LBB14_98
; %bb.101:                              ;   in Loop: Header=BB14_99 Depth=1
	s_mov_b32 s28, 0
.LBB14_102:                             ;   Parent Loop BB14_99 Depth=1
                                        ; =>  This Inner Loop Header: Depth=2
	global_load_b32 v11, v[8:9], off glc
	s_waitcnt vmcnt(0)
	v_and_b32_e32 v4, -2.0, v11
	s_delay_alu instid0(VALU_DEP_1) | instskip(NEXT) | instid1(VALU_DEP_1)
	v_cmp_ne_u32_e64 s24, 0, v4
	s_or_b32 s28, s24, s28
	s_delay_alu instid0(SALU_CYCLE_1)
	s_and_not1_b32 exec_lo, exec_lo, s28
	s_cbranch_execnz .LBB14_102
; %bb.103:                              ;   in Loop: Header=BB14_99 Depth=1
	s_or_b32 exec_lo, exec_lo, s28
	s_branch .LBB14_98
.LBB14_104:                             ;   in Loop: Header=BB14_99 Depth=1
                                        ; implicit-def: $sgpr26
	s_and_b32 s27, exec_lo, s24
	s_delay_alu instid0(SALU_CYCLE_1) | instskip(NEXT) | instid1(SALU_CYCLE_1)
	s_or_b32 s25, s27, s25
	s_and_not1_b32 exec_lo, exec_lo, s25
	s_cbranch_execnz .LBB14_99
.LBB14_105:
	s_or_b32 exec_lo, exec_lo, s25
	v_add_nc_u32_e32 v4, v2, v52
	v_lshlrev_b32_e32 v53, 3, v1
	s_delay_alu instid0(VALU_DEP_2)
	v_or_b32_e32 v4, 0x80000000, v4
	global_store_b32 v[6:7], v4, off
	v_sub_co_u32 v6, s24, v2, v3
	v_mov_b32_e32 v2, 0
	global_load_b64 v[4:5], v53, s[56:57]
	v_sub_co_ci_u32_e64 v7, null, 0, 0, s24
	s_waitcnt vmcnt(0)
	v_add_co_u32 v6, s24, v6, v4
	s_delay_alu instid0(VALU_DEP_1)
	v_add_co_ci_u32_e64 v7, s24, v7, v5, s24
	v_cmp_gt_u32_e64 s24, s47, v1
	v_mov_b32_e32 v4, v2
	ds_store_b64 v53, v[6:7]
	s_waitcnt lgkmcnt(0)
	s_waitcnt_vscnt null, 0x0
	s_barrier
	buffer_gl0_inv
	s_and_saveexec_b32 s26, s24
	s_cbranch_execz .LBB14_107
; %bb.106:
	ds_load_u8 v7, v1 offset:2048
	s_waitcnt lgkmcnt(0)
	v_and_b32_e32 v5, 0xff, v7
	v_xor_b32_e32 v7, -1, v7
	s_delay_alu instid0(VALU_DEP_2) | instskip(NEXT) | instid1(VALU_DEP_1)
	v_lshrrev_b32_e32 v5, s60, v5
	v_and_b32_e32 v5, s68, v5
	s_delay_alu instid0(VALU_DEP_1) | instskip(SKIP_3) | instid1(VALU_DEP_1)
	v_lshlrev_b32_e32 v5, 3, v5
	ds_load_b64 v[5:6], v5
	s_waitcnt lgkmcnt(0)
	v_add_co_u32 v5, s25, s50, v5
	v_add_co_ci_u32_e64 v6, s25, s51, v6, s25
	s_delay_alu instid0(VALU_DEP_2) | instskip(NEXT) | instid1(VALU_DEP_1)
	v_add_co_u32 v5, s25, v5, v1
	v_add_co_ci_u32_e64 v6, s25, 0, v6, s25
	global_store_b8 v[5:6], v7, off
.LBB14_107:
	s_or_b32 exec_lo, exec_lo, s26
	v_add_nc_u32_e32 v5, 0x100, v1
	s_delay_alu instid0(VALU_DEP_1) | instskip(NEXT) | instid1(VALU_DEP_1)
	v_cmp_gt_u32_e64 s25, s47, v5
	s_and_saveexec_b32 s27, s25
	s_cbranch_execz .LBB14_109
; %bb.108:
	ds_load_u8 v7, v1 offset:2304
	s_waitcnt lgkmcnt(0)
	v_and_b32_e32 v5, 0xff, v7
	v_xor_b32_e32 v7, -1, v7
	s_delay_alu instid0(VALU_DEP_2) | instskip(NEXT) | instid1(VALU_DEP_1)
	v_lshrrev_b32_e32 v5, s60, v5
	v_and_b32_e32 v5, s68, v5
	s_delay_alu instid0(VALU_DEP_1) | instskip(SKIP_3) | instid1(VALU_DEP_1)
	v_lshlrev_b32_e32 v5, 3, v5
	ds_load_b64 v[5:6], v5
	s_waitcnt lgkmcnt(0)
	v_add_co_u32 v5, s26, s50, v5
	v_add_co_ci_u32_e64 v6, s26, s51, v6, s26
	s_delay_alu instid0(VALU_DEP_2) | instskip(NEXT) | instid1(VALU_DEP_1)
	v_add_co_u32 v5, s26, v5, v1
	v_add_co_ci_u32_e64 v6, s26, 0, v6, s26
	global_store_b8 v[5:6], v7, off offset:256
.LBB14_109:
	s_or_b32 exec_lo, exec_lo, s27
	v_add_nc_u32_e32 v56, 0x200, v1
	s_delay_alu instid0(VALU_DEP_1) | instskip(NEXT) | instid1(VALU_DEP_1)
	v_cmp_gt_u32_e64 s26, s47, v56
	s_and_saveexec_b32 s28, s26
	s_cbranch_execz .LBB14_111
; %bb.110:
	ds_load_u8 v7, v1 offset:2560
	s_waitcnt lgkmcnt(0)
	v_and_b32_e32 v5, 0xff, v7
	v_xor_b32_e32 v7, -1, v7
	s_delay_alu instid0(VALU_DEP_2) | instskip(NEXT) | instid1(VALU_DEP_1)
	v_lshrrev_b32_e32 v5, s60, v5
	v_and_b32_e32 v5, s68, v5
	s_delay_alu instid0(VALU_DEP_1) | instskip(SKIP_3) | instid1(VALU_DEP_1)
	v_lshlrev_b32_e32 v5, 3, v5
	ds_load_b64 v[5:6], v5
	s_waitcnt lgkmcnt(0)
	v_add_co_u32 v5, s27, s50, v5
	v_add_co_ci_u32_e64 v6, s27, s51, v6, s27
	s_delay_alu instid0(VALU_DEP_2) | instskip(NEXT) | instid1(VALU_DEP_1)
	v_add_co_u32 v5, s27, v5, v1
	v_add_co_ci_u32_e64 v6, s27, 0, v6, s27
	global_store_b8 v[5:6], v7, off offset:512
.LBB14_111:
	;; [unrolled: 25-line block ×3, first 2 shown]
	s_or_b32 exec_lo, exec_lo, s29
	v_or_b32_e32 v78, 0x400, v1
	s_delay_alu instid0(VALU_DEP_1) | instskip(NEXT) | instid1(VALU_DEP_1)
	v_cmp_gt_u32_e64 s28, s47, v78
	s_and_saveexec_b32 s30, s28
	s_cbranch_execz .LBB14_115
; %bb.114:
	ds_load_u8 v7, v1 offset:3072
	s_waitcnt lgkmcnt(0)
	v_and_b32_e32 v5, 0xff, v7
	v_xor_b32_e32 v7, -1, v7
	s_delay_alu instid0(VALU_DEP_2) | instskip(NEXT) | instid1(VALU_DEP_1)
	v_lshrrev_b32_e32 v5, s60, v5
	v_and_b32_e32 v5, s68, v5
	s_delay_alu instid0(VALU_DEP_1) | instskip(SKIP_3) | instid1(VALU_DEP_1)
	v_lshlrev_b32_e32 v5, 3, v5
	ds_load_b64 v[5:6], v5
	s_waitcnt lgkmcnt(0)
	v_add_co_u32 v5, s29, s50, v5
	v_add_co_ci_u32_e64 v6, s29, s51, v6, s29
	s_delay_alu instid0(VALU_DEP_2) | instskip(NEXT) | instid1(VALU_DEP_1)
	v_add_co_u32 v5, s29, v5, v1
	v_add_co_ci_u32_e64 v6, s29, 0, v6, s29
	global_store_b8 v[5:6], v7, off offset:1024
.LBB14_115:
	s_or_b32 exec_lo, exec_lo, s30
	v_add_nc_u32_e32 v79, 0x500, v1
	s_delay_alu instid0(VALU_DEP_1) | instskip(NEXT) | instid1(VALU_DEP_1)
	v_cmp_gt_u32_e64 s29, s47, v79
	s_and_saveexec_b32 s31, s29
	s_cbranch_execz .LBB14_117
; %bb.116:
	ds_load_u8 v7, v1 offset:3328
	s_waitcnt lgkmcnt(0)
	v_and_b32_e32 v5, 0xff, v7
	v_xor_b32_e32 v7, -1, v7
	s_delay_alu instid0(VALU_DEP_2) | instskip(NEXT) | instid1(VALU_DEP_1)
	v_lshrrev_b32_e32 v5, s60, v5
	v_and_b32_e32 v5, s68, v5
	s_delay_alu instid0(VALU_DEP_1) | instskip(SKIP_3) | instid1(VALU_DEP_1)
	v_lshlrev_b32_e32 v5, 3, v5
	ds_load_b64 v[5:6], v5
	s_waitcnt lgkmcnt(0)
	v_add_co_u32 v5, s30, s50, v5
	v_add_co_ci_u32_e64 v6, s30, s51, v6, s30
	s_delay_alu instid0(VALU_DEP_2) | instskip(NEXT) | instid1(VALU_DEP_1)
	v_add_co_u32 v5, s30, v5, v1
	v_add_co_ci_u32_e64 v6, s30, 0, v6, s30
	global_store_b8 v[5:6], v7, off offset:1280
.LBB14_117:
	s_or_b32 exec_lo, exec_lo, s31
	v_add_nc_u32_e32 v80, 0x600, v1
	;; [unrolled: 25-line block ×3, first 2 shown]
	s_delay_alu instid0(VALU_DEP_1) | instskip(NEXT) | instid1(VALU_DEP_1)
	v_cmp_gt_u32_e64 s31, s47, v81
	s_and_saveexec_b32 s34, s31
	s_cbranch_execz .LBB14_121
; %bb.120:
	ds_load_u8 v7, v1 offset:3840
	s_waitcnt lgkmcnt(0)
	v_and_b32_e32 v5, 0xff, v7
	v_xor_b32_e32 v7, -1, v7
	s_delay_alu instid0(VALU_DEP_2) | instskip(NEXT) | instid1(VALU_DEP_1)
	v_lshrrev_b32_e32 v5, s60, v5
	v_and_b32_e32 v5, s68, v5
	s_delay_alu instid0(VALU_DEP_1) | instskip(SKIP_3) | instid1(VALU_DEP_1)
	v_lshlrev_b32_e32 v5, 3, v5
	ds_load_b64 v[5:6], v5
	s_waitcnt lgkmcnt(0)
	v_add_co_u32 v5, s33, s50, v5
	v_add_co_ci_u32_e64 v6, s33, s51, v6, s33
	s_delay_alu instid0(VALU_DEP_2) | instskip(NEXT) | instid1(VALU_DEP_1)
	v_add_co_u32 v5, s33, v5, v1
	v_add_co_ci_u32_e64 v6, s33, 0, v6, s33
	global_store_b8 v[5:6], v7, off offset:1792
.LBB14_121:
	s_or_b32 exec_lo, exec_lo, s34
	v_or_b32_e32 v82, 0x800, v1
	s_delay_alu instid0(VALU_DEP_1) | instskip(NEXT) | instid1(VALU_DEP_1)
	v_cmp_gt_u32_e64 s33, s47, v82
	s_and_saveexec_b32 s35, s33
	s_cbranch_execz .LBB14_123
; %bb.122:
	ds_load_u8 v7, v1 offset:4096
	s_waitcnt lgkmcnt(0)
	v_and_b32_e32 v5, 0xff, v7
	v_xor_b32_e32 v7, -1, v7
	s_delay_alu instid0(VALU_DEP_2) | instskip(NEXT) | instid1(VALU_DEP_1)
	v_lshrrev_b32_e32 v5, s60, v5
	v_and_b32_e32 v5, s68, v5
	s_delay_alu instid0(VALU_DEP_1) | instskip(SKIP_3) | instid1(VALU_DEP_1)
	v_lshlrev_b32_e32 v5, 3, v5
	ds_load_b64 v[5:6], v5
	s_waitcnt lgkmcnt(0)
	v_add_co_u32 v5, s34, s50, v5
	v_add_co_ci_u32_e64 v6, s34, s51, v6, s34
	s_delay_alu instid0(VALU_DEP_2) | instskip(NEXT) | instid1(VALU_DEP_1)
	v_add_co_u32 v5, s34, v5, v1
	v_add_co_ci_u32_e64 v6, s34, 0, v6, s34
	global_store_b8 v[5:6], v7, off offset:2048
.LBB14_123:
	s_or_b32 exec_lo, exec_lo, s35
	v_add_nc_u32_e32 v83, 0x900, v1
	s_delay_alu instid0(VALU_DEP_1) | instskip(NEXT) | instid1(VALU_DEP_1)
	v_cmp_gt_u32_e64 s34, s47, v83
	s_and_saveexec_b32 s36, s34
	s_cbranch_execz .LBB14_125
; %bb.124:
	ds_load_u8 v7, v1 offset:4352
	s_waitcnt lgkmcnt(0)
	v_and_b32_e32 v5, 0xff, v7
	v_xor_b32_e32 v7, -1, v7
	s_delay_alu instid0(VALU_DEP_2) | instskip(NEXT) | instid1(VALU_DEP_1)
	v_lshrrev_b32_e32 v5, s60, v5
	v_and_b32_e32 v5, s68, v5
	s_delay_alu instid0(VALU_DEP_1) | instskip(SKIP_3) | instid1(VALU_DEP_1)
	v_lshlrev_b32_e32 v5, 3, v5
	ds_load_b64 v[5:6], v5
	s_waitcnt lgkmcnt(0)
	v_add_co_u32 v5, s35, s50, v5
	v_add_co_ci_u32_e64 v6, s35, s51, v6, s35
	s_delay_alu instid0(VALU_DEP_2) | instskip(NEXT) | instid1(VALU_DEP_1)
	v_add_co_u32 v5, s35, v5, v1
	v_add_co_ci_u32_e64 v6, s35, 0, v6, s35
	global_store_b8 v[5:6], v7, off offset:2304
.LBB14_125:
	s_or_b32 exec_lo, exec_lo, s36
	v_add_nc_u32_e32 v84, 0xa00, v1
	;; [unrolled: 25-line block ×3, first 2 shown]
	s_delay_alu instid0(VALU_DEP_1) | instskip(NEXT) | instid1(VALU_DEP_1)
	v_cmp_gt_u32_e64 s36, s47, v85
	s_and_saveexec_b32 s38, s36
	s_cbranch_execz .LBB14_129
; %bb.128:
	ds_load_u8 v7, v1 offset:4864
	s_waitcnt lgkmcnt(0)
	v_and_b32_e32 v5, 0xff, v7
	v_xor_b32_e32 v7, -1, v7
	s_delay_alu instid0(VALU_DEP_2) | instskip(NEXT) | instid1(VALU_DEP_1)
	v_lshrrev_b32_e32 v5, s60, v5
	v_and_b32_e32 v5, s68, v5
	s_delay_alu instid0(VALU_DEP_1) | instskip(SKIP_3) | instid1(VALU_DEP_1)
	v_lshlrev_b32_e32 v5, 3, v5
	ds_load_b64 v[5:6], v5
	s_waitcnt lgkmcnt(0)
	v_add_co_u32 v5, s37, s50, v5
	v_add_co_ci_u32_e64 v6, s37, s51, v6, s37
	s_delay_alu instid0(VALU_DEP_2) | instskip(NEXT) | instid1(VALU_DEP_1)
	v_add_co_u32 v5, s37, v5, v1
	v_add_co_ci_u32_e64 v6, s37, 0, v6, s37
	global_store_b8 v[5:6], v7, off offset:2816
.LBB14_129:
	s_or_b32 exec_lo, exec_lo, s38
	v_or_b32_e32 v86, 0xc00, v1
	s_delay_alu instid0(VALU_DEP_1) | instskip(NEXT) | instid1(VALU_DEP_1)
	v_cmp_gt_u32_e64 s37, s47, v86
	s_and_saveexec_b32 s39, s37
	s_cbranch_execz .LBB14_131
; %bb.130:
	ds_load_u8 v7, v1 offset:5120
	s_waitcnt lgkmcnt(0)
	v_and_b32_e32 v5, 0xff, v7
	v_xor_b32_e32 v7, -1, v7
	s_delay_alu instid0(VALU_DEP_2) | instskip(NEXT) | instid1(VALU_DEP_1)
	v_lshrrev_b32_e32 v5, s60, v5
	v_and_b32_e32 v5, s68, v5
	s_delay_alu instid0(VALU_DEP_1) | instskip(SKIP_3) | instid1(VALU_DEP_1)
	v_lshlrev_b32_e32 v5, 3, v5
	ds_load_b64 v[5:6], v5
	s_waitcnt lgkmcnt(0)
	v_add_co_u32 v5, s38, s50, v5
	v_add_co_ci_u32_e64 v6, s38, s51, v6, s38
	s_delay_alu instid0(VALU_DEP_2) | instskip(NEXT) | instid1(VALU_DEP_1)
	v_add_co_u32 v5, s38, v5, v1
	v_add_co_ci_u32_e64 v6, s38, 0, v6, s38
	global_store_b8 v[5:6], v7, off offset:3072
.LBB14_131:
	s_or_b32 exec_lo, exec_lo, s39
	v_add_nc_u32_e32 v87, 0xd00, v1
	s_delay_alu instid0(VALU_DEP_1) | instskip(NEXT) | instid1(VALU_DEP_1)
	v_cmp_gt_u32_e64 s38, s47, v87
	s_and_saveexec_b32 s40, s38
	s_cbranch_execz .LBB14_133
; %bb.132:
	ds_load_u8 v7, v1 offset:5376
	s_waitcnt lgkmcnt(0)
	v_and_b32_e32 v5, 0xff, v7
	v_xor_b32_e32 v7, -1, v7
	s_delay_alu instid0(VALU_DEP_2) | instskip(NEXT) | instid1(VALU_DEP_1)
	v_lshrrev_b32_e32 v5, s60, v5
	v_and_b32_e32 v5, s68, v5
	s_delay_alu instid0(VALU_DEP_1) | instskip(SKIP_3) | instid1(VALU_DEP_1)
	v_lshlrev_b32_e32 v5, 3, v5
	ds_load_b64 v[5:6], v5
	s_waitcnt lgkmcnt(0)
	v_add_co_u32 v5, s39, s50, v5
	v_add_co_ci_u32_e64 v6, s39, s51, v6, s39
	s_delay_alu instid0(VALU_DEP_2) | instskip(NEXT) | instid1(VALU_DEP_1)
	v_add_co_u32 v5, s39, v5, v1
	v_add_co_ci_u32_e64 v6, s39, 0, v6, s39
	global_store_b8 v[5:6], v7, off offset:3328
.LBB14_133:
	s_or_b32 exec_lo, exec_lo, s40
	v_add_nc_u32_e32 v88, 0xe00, v1
	;; [unrolled: 25-line block ×3, first 2 shown]
	s_delay_alu instid0(VALU_DEP_1) | instskip(NEXT) | instid1(VALU_DEP_1)
	v_cmp_gt_u32_e64 s40, s47, v89
	s_and_saveexec_b32 s42, s40
	s_cbranch_execz .LBB14_137
; %bb.136:
	ds_load_u8 v7, v1 offset:5888
	s_waitcnt lgkmcnt(0)
	v_and_b32_e32 v5, 0xff, v7
	v_xor_b32_e32 v7, -1, v7
	s_delay_alu instid0(VALU_DEP_2) | instskip(NEXT) | instid1(VALU_DEP_1)
	v_lshrrev_b32_e32 v5, s60, v5
	v_and_b32_e32 v5, s68, v5
	s_delay_alu instid0(VALU_DEP_1) | instskip(SKIP_3) | instid1(VALU_DEP_1)
	v_lshlrev_b32_e32 v5, 3, v5
	ds_load_b64 v[5:6], v5
	s_waitcnt lgkmcnt(0)
	v_add_co_u32 v5, s41, s50, v5
	v_add_co_ci_u32_e64 v6, s41, s51, v6, s41
	s_delay_alu instid0(VALU_DEP_2) | instskip(NEXT) | instid1(VALU_DEP_1)
	v_add_co_u32 v5, s41, v5, v1
	v_add_co_ci_u32_e64 v6, s41, 0, v6, s41
	global_store_b8 v[5:6], v7, off offset:3840
.LBB14_137:
	s_or_b32 exec_lo, exec_lo, s42
	v_or_b32_e32 v90, 0x1000, v1
	s_delay_alu instid0(VALU_DEP_1) | instskip(NEXT) | instid1(VALU_DEP_1)
	v_cmp_gt_u32_e64 s41, s47, v90
	s_and_saveexec_b32 s43, s41
	s_cbranch_execz .LBB14_139
; %bb.138:
	ds_load_u8 v7, v1 offset:6144
	s_waitcnt lgkmcnt(0)
	v_and_b32_e32 v5, 0xff, v7
	v_xor_b32_e32 v7, -1, v7
	s_delay_alu instid0(VALU_DEP_2) | instskip(NEXT) | instid1(VALU_DEP_1)
	v_lshrrev_b32_e32 v5, s60, v5
	v_and_b32_e32 v5, s68, v5
	s_delay_alu instid0(VALU_DEP_1) | instskip(SKIP_3) | instid1(VALU_DEP_1)
	v_lshlrev_b32_e32 v5, 3, v5
	ds_load_b64 v[5:6], v5
	s_waitcnt lgkmcnt(0)
	v_add_co_u32 v5, s42, s50, v5
	v_add_co_ci_u32_e64 v6, s42, s51, v6, s42
	s_delay_alu instid0(VALU_DEP_2) | instskip(NEXT) | instid1(VALU_DEP_1)
	v_add_co_u32 v5, s42, v5, v90
	v_add_co_ci_u32_e64 v6, s42, 0, v6, s42
	global_store_b8 v[5:6], v7, off
.LBB14_139:
	s_or_b32 exec_lo, exec_lo, s43
	v_add_nc_u32_e32 v91, 0x1100, v1
	s_delay_alu instid0(VALU_DEP_1) | instskip(NEXT) | instid1(VALU_DEP_1)
	v_cmp_gt_u32_e64 s42, s47, v91
	s_and_saveexec_b32 s44, s42
	s_cbranch_execz .LBB14_141
; %bb.140:
	ds_load_u8 v7, v1 offset:6400
	s_waitcnt lgkmcnt(0)
	v_and_b32_e32 v5, 0xff, v7
	v_xor_b32_e32 v7, -1, v7
	s_delay_alu instid0(VALU_DEP_2) | instskip(NEXT) | instid1(VALU_DEP_1)
	v_lshrrev_b32_e32 v5, s60, v5
	v_and_b32_e32 v5, s68, v5
	s_delay_alu instid0(VALU_DEP_1) | instskip(SKIP_3) | instid1(VALU_DEP_1)
	v_lshlrev_b32_e32 v5, 3, v5
	ds_load_b64 v[5:6], v5
	s_waitcnt lgkmcnt(0)
	v_add_co_u32 v5, s43, s50, v5
	v_add_co_ci_u32_e64 v6, s43, s51, v6, s43
	s_delay_alu instid0(VALU_DEP_2) | instskip(NEXT) | instid1(VALU_DEP_1)
	v_add_co_u32 v5, s43, v5, v91
	v_add_co_ci_u32_e64 v6, s43, 0, v6, s43
	global_store_b8 v[5:6], v7, off
.LBB14_141:
	s_or_b32 exec_lo, exec_lo, s44
	v_add_nc_u32_e32 v92, 0x1200, v1
	;; [unrolled: 25-line block ×3, first 2 shown]
	s_delay_alu instid0(VALU_DEP_1) | instskip(NEXT) | instid1(VALU_DEP_1)
	v_cmp_gt_u32_e64 s44, s47, v93
	s_and_saveexec_b32 s46, s44
	s_cbranch_execz .LBB14_145
; %bb.144:
	ds_load_u8 v7, v1 offset:6912
	s_waitcnt lgkmcnt(0)
	v_and_b32_e32 v5, 0xff, v7
	v_xor_b32_e32 v7, -1, v7
	s_delay_alu instid0(VALU_DEP_2) | instskip(NEXT) | instid1(VALU_DEP_1)
	v_lshrrev_b32_e32 v5, s60, v5
	v_and_b32_e32 v5, s68, v5
	s_delay_alu instid0(VALU_DEP_1) | instskip(SKIP_3) | instid1(VALU_DEP_1)
	v_lshlrev_b32_e32 v5, 3, v5
	ds_load_b64 v[5:6], v5
	s_waitcnt lgkmcnt(0)
	v_add_co_u32 v5, s45, s50, v5
	v_add_co_ci_u32_e64 v6, s45, s51, v6, s45
	s_delay_alu instid0(VALU_DEP_2) | instskip(NEXT) | instid1(VALU_DEP_1)
	v_add_co_u32 v5, s45, v5, v93
	v_add_co_ci_u32_e64 v6, s45, 0, v6, s45
	global_store_b8 v[5:6], v7, off
.LBB14_145:
	s_or_b32 exec_lo, exec_lo, s46
	v_or_b32_e32 v94, 0x1400, v1
	s_delay_alu instid0(VALU_DEP_1) | instskip(NEXT) | instid1(VALU_DEP_1)
	v_cmp_gt_u32_e64 s45, s47, v94
	s_and_saveexec_b32 s69, s45
	s_cbranch_execz .LBB14_147
; %bb.146:
	ds_load_u8 v7, v1 offset:7168
	s_waitcnt lgkmcnt(0)
	v_and_b32_e32 v5, 0xff, v7
	v_xor_b32_e32 v7, -1, v7
	s_delay_alu instid0(VALU_DEP_2) | instskip(NEXT) | instid1(VALU_DEP_1)
	v_lshrrev_b32_e32 v5, s60, v5
	v_and_b32_e32 v5, s68, v5
	s_delay_alu instid0(VALU_DEP_1) | instskip(SKIP_3) | instid1(VALU_DEP_1)
	v_lshlrev_b32_e32 v5, 3, v5
	ds_load_b64 v[5:6], v5
	s_waitcnt lgkmcnt(0)
	v_add_co_u32 v5, s46, s50, v5
	v_add_co_ci_u32_e64 v6, s46, s51, v6, s46
	s_delay_alu instid0(VALU_DEP_2) | instskip(NEXT) | instid1(VALU_DEP_1)
	v_add_co_u32 v5, s46, v5, v94
	v_add_co_ci_u32_e64 v6, s46, 0, v6, s46
	global_store_b8 v[5:6], v7, off
.LBB14_147:
	s_or_b32 exec_lo, exec_lo, s69
	v_add_nc_u32_e32 v95, 0x1500, v1
	s_delay_alu instid0(VALU_DEP_1) | instskip(NEXT) | instid1(VALU_DEP_1)
	v_cmp_gt_u32_e64 s46, s47, v95
	s_and_saveexec_b32 s69, s46
	s_cbranch_execz .LBB14_149
; %bb.148:
	ds_load_u8 v7, v1 offset:7424
	s_waitcnt lgkmcnt(0)
	v_and_b32_e32 v5, 0xff, v7
	v_xor_b32_e32 v7, -1, v7
	s_delay_alu instid0(VALU_DEP_2) | instskip(NEXT) | instid1(VALU_DEP_1)
	v_lshrrev_b32_e32 v5, s60, v5
	v_and_b32_e32 v5, s68, v5
	s_delay_alu instid0(VALU_DEP_1) | instskip(SKIP_3) | instid1(VALU_DEP_1)
	v_lshlrev_b32_e32 v5, 3, v5
	ds_load_b64 v[5:6], v5
	s_waitcnt lgkmcnt(0)
	v_add_co_u32 v5, s47, s50, v5
	v_add_co_ci_u32_e64 v6, s47, s51, v6, s47
	s_delay_alu instid0(VALU_DEP_2) | instskip(NEXT) | instid1(VALU_DEP_1)
	v_add_co_u32 v5, s47, v5, v95
	v_add_co_ci_u32_e64 v6, s47, 0, v6, s47
	global_store_b8 v[5:6], v7, off
.LBB14_149:
	s_or_b32 exec_lo, exec_lo, s69
	v_lshlrev_b32_e32 v5, 3, v51
	s_lshl_b64 s[70:71], s[64:65], 3
	v_lshlrev_b32_e32 v6, 3, v10
	s_add_u32 s47, s52, s70
	s_addc_u32 s65, s53, s71
	v_add_co_u32 v5, s47, s47, v5
	s_delay_alu instid0(VALU_DEP_1) | instskip(NEXT) | instid1(VALU_DEP_2)
	v_add_co_ci_u32_e64 v7, null, s65, 0, s47
	v_add_co_u32 v49, s47, v5, v6
	s_delay_alu instid0(VALU_DEP_1) | instskip(SKIP_1) | instid1(SALU_CYCLE_1)
	v_add_co_ci_u32_e64 v50, s47, 0, v7, s47
                                        ; implicit-def: $vgpr5_vgpr6
	s_and_saveexec_b32 s47, vcc_lo
	s_xor_b32 s47, exec_lo, s47
	s_cbranch_execnz .LBB14_283
; %bb.150:
	s_or_b32 exec_lo, exec_lo, s47
                                        ; implicit-def: $vgpr7_vgpr8
	s_and_saveexec_b32 s47, s2
	s_cbranch_execnz .LBB14_284
.LBB14_151:
	s_or_b32 exec_lo, exec_lo, s47
                                        ; implicit-def: $vgpr9_vgpr10
	s_and_saveexec_b32 s2, s3
	s_cbranch_execnz .LBB14_285
.LBB14_152:
	s_or_b32 exec_lo, exec_lo, s2
                                        ; implicit-def: $vgpr11_vgpr12
	s_and_saveexec_b32 s2, s4
	s_cbranch_execnz .LBB14_286
.LBB14_153:
	s_or_b32 exec_lo, exec_lo, s2
                                        ; implicit-def: $vgpr13_vgpr14
	s_and_saveexec_b32 s2, s5
	s_cbranch_execnz .LBB14_287
.LBB14_154:
	s_or_b32 exec_lo, exec_lo, s2
                                        ; implicit-def: $vgpr15_vgpr16
	s_and_saveexec_b32 s2, s6
	s_cbranch_execnz .LBB14_288
.LBB14_155:
	s_or_b32 exec_lo, exec_lo, s2
                                        ; implicit-def: $vgpr17_vgpr18
	s_and_saveexec_b32 s2, s7
	s_cbranch_execnz .LBB14_289
.LBB14_156:
	s_or_b32 exec_lo, exec_lo, s2
                                        ; implicit-def: $vgpr19_vgpr20
	s_and_saveexec_b32 s2, s8
	s_cbranch_execnz .LBB14_290
.LBB14_157:
	s_or_b32 exec_lo, exec_lo, s2
                                        ; implicit-def: $vgpr21_vgpr22
	s_and_saveexec_b32 s2, s9
	s_cbranch_execnz .LBB14_291
.LBB14_158:
	s_or_b32 exec_lo, exec_lo, s2
                                        ; implicit-def: $vgpr23_vgpr24
	s_and_saveexec_b32 s2, s10
	s_cbranch_execnz .LBB14_292
.LBB14_159:
	s_or_b32 exec_lo, exec_lo, s2
                                        ; implicit-def: $vgpr25_vgpr26
	s_and_saveexec_b32 s2, s11
	s_cbranch_execnz .LBB14_293
.LBB14_160:
	s_or_b32 exec_lo, exec_lo, s2
                                        ; implicit-def: $vgpr27_vgpr28
	s_and_saveexec_b32 s2, s12
	s_cbranch_execnz .LBB14_294
.LBB14_161:
	s_or_b32 exec_lo, exec_lo, s2
                                        ; implicit-def: $vgpr29_vgpr30
	s_and_saveexec_b32 s2, s13
	s_cbranch_execnz .LBB14_295
.LBB14_162:
	s_or_b32 exec_lo, exec_lo, s2
                                        ; implicit-def: $vgpr31_vgpr32
	s_and_saveexec_b32 s2, s14
	s_cbranch_execnz .LBB14_296
.LBB14_163:
	s_or_b32 exec_lo, exec_lo, s2
                                        ; implicit-def: $vgpr33_vgpr34
	s_and_saveexec_b32 s2, s16
	s_cbranch_execnz .LBB14_297
.LBB14_164:
	s_or_b32 exec_lo, exec_lo, s2
                                        ; implicit-def: $vgpr35_vgpr36
	s_and_saveexec_b32 s2, s18
	s_cbranch_execnz .LBB14_298
.LBB14_165:
	s_or_b32 exec_lo, exec_lo, s2
                                        ; implicit-def: $vgpr37_vgpr38
	s_and_saveexec_b32 s2, s23
	s_cbranch_execnz .LBB14_299
.LBB14_166:
	s_or_b32 exec_lo, exec_lo, s2
                                        ; implicit-def: $vgpr39_vgpr40
	s_and_saveexec_b32 s2, s21
	s_cbranch_execnz .LBB14_300
.LBB14_167:
	s_or_b32 exec_lo, exec_lo, s2
                                        ; implicit-def: $vgpr41_vgpr42
	s_and_saveexec_b32 s2, s22
	s_cbranch_execnz .LBB14_301
.LBB14_168:
	s_or_b32 exec_lo, exec_lo, s2
                                        ; implicit-def: $vgpr43_vgpr44
	s_and_saveexec_b32 s2, s19
	s_cbranch_execnz .LBB14_302
.LBB14_169:
	s_or_b32 exec_lo, exec_lo, s2
                                        ; implicit-def: $vgpr45_vgpr46
	s_and_saveexec_b32 s2, s20
	s_cbranch_execnz .LBB14_303
.LBB14_170:
	s_or_b32 exec_lo, exec_lo, s2
                                        ; implicit-def: $vgpr47_vgpr48
	s_and_saveexec_b32 s2, s17
	s_cbranch_execnz .LBB14_304
.LBB14_171:
	s_or_b32 exec_lo, exec_lo, s2
                                        ; implicit-def: $vgpr115
	s_and_saveexec_b32 s2, s24
	s_cbranch_execnz .LBB14_305
.LBB14_172:
	s_or_b32 exec_lo, exec_lo, s2
                                        ; implicit-def: $vgpr114
	s_and_saveexec_b32 s2, s25
	s_cbranch_execnz .LBB14_306
.LBB14_173:
	s_or_b32 exec_lo, exec_lo, s2
                                        ; implicit-def: $vgpr113
	s_and_saveexec_b32 s2, s26
	s_cbranch_execnz .LBB14_307
.LBB14_174:
	s_or_b32 exec_lo, exec_lo, s2
                                        ; implicit-def: $vgpr112
	s_and_saveexec_b32 s2, s27
	s_cbranch_execnz .LBB14_308
.LBB14_175:
	s_or_b32 exec_lo, exec_lo, s2
                                        ; implicit-def: $vgpr111
	s_and_saveexec_b32 s2, s28
	s_cbranch_execnz .LBB14_309
.LBB14_176:
	s_or_b32 exec_lo, exec_lo, s2
                                        ; implicit-def: $vgpr110
	s_and_saveexec_b32 s2, s29
	s_cbranch_execnz .LBB14_310
.LBB14_177:
	s_or_b32 exec_lo, exec_lo, s2
                                        ; implicit-def: $vgpr109
	s_and_saveexec_b32 s2, s30
	s_cbranch_execnz .LBB14_311
.LBB14_178:
	s_or_b32 exec_lo, exec_lo, s2
                                        ; implicit-def: $vgpr108
	s_and_saveexec_b32 s2, s31
	s_cbranch_execnz .LBB14_312
.LBB14_179:
	s_or_b32 exec_lo, exec_lo, s2
                                        ; implicit-def: $vgpr107
	s_and_saveexec_b32 s2, s33
	s_cbranch_execnz .LBB14_313
.LBB14_180:
	s_or_b32 exec_lo, exec_lo, s2
                                        ; implicit-def: $vgpr106
	s_and_saveexec_b32 s2, s34
	s_cbranch_execnz .LBB14_314
.LBB14_181:
	s_or_b32 exec_lo, exec_lo, s2
                                        ; implicit-def: $vgpr105
	s_and_saveexec_b32 s2, s35
	s_cbranch_execnz .LBB14_315
.LBB14_182:
	s_or_b32 exec_lo, exec_lo, s2
                                        ; implicit-def: $vgpr104
	s_and_saveexec_b32 s2, s36
	s_cbranch_execnz .LBB14_316
.LBB14_183:
	s_or_b32 exec_lo, exec_lo, s2
                                        ; implicit-def: $vgpr103
	s_and_saveexec_b32 s2, s37
	s_cbranch_execnz .LBB14_317
.LBB14_184:
	s_or_b32 exec_lo, exec_lo, s2
                                        ; implicit-def: $vgpr102
	s_and_saveexec_b32 s2, s38
	s_cbranch_execnz .LBB14_318
.LBB14_185:
	s_or_b32 exec_lo, exec_lo, s2
                                        ; implicit-def: $vgpr101
	s_and_saveexec_b32 s2, s39
	s_cbranch_execnz .LBB14_319
.LBB14_186:
	s_or_b32 exec_lo, exec_lo, s2
                                        ; implicit-def: $vgpr100
	s_and_saveexec_b32 s2, s40
	s_cbranch_execnz .LBB14_320
.LBB14_187:
	s_or_b32 exec_lo, exec_lo, s2
                                        ; implicit-def: $vgpr99
	s_and_saveexec_b32 s2, s41
	s_cbranch_execnz .LBB14_321
.LBB14_188:
	s_or_b32 exec_lo, exec_lo, s2
                                        ; implicit-def: $vgpr98
	s_and_saveexec_b32 s2, s42
	s_cbranch_execnz .LBB14_322
.LBB14_189:
	s_or_b32 exec_lo, exec_lo, s2
                                        ; implicit-def: $vgpr97
	s_and_saveexec_b32 s2, s43
	s_cbranch_execnz .LBB14_323
.LBB14_190:
	s_or_b32 exec_lo, exec_lo, s2
                                        ; implicit-def: $vgpr96
	s_and_saveexec_b32 s2, s44
	s_cbranch_execnz .LBB14_324
.LBB14_191:
	s_or_b32 exec_lo, exec_lo, s2
                                        ; implicit-def: $vgpr50
	s_and_saveexec_b32 s2, s45
	s_cbranch_execnz .LBB14_325
.LBB14_192:
	s_or_b32 exec_lo, exec_lo, s2
                                        ; implicit-def: $vgpr49
	s_and_saveexec_b32 s2, s46
	s_cbranch_execz .LBB14_194
.LBB14_193:
	ds_load_u8 v49, v1 offset:7424
	s_waitcnt lgkmcnt(0)
	v_lshrrev_b32_e32 v49, s60, v49
	s_delay_alu instid0(VALU_DEP_1)
	v_and_b32_e32 v49, s68, v49
.LBB14_194:
	s_or_b32 exec_lo, exec_lo, s2
	v_lshlrev_b32_e32 v77, 3, v77
	v_lshlrev_b32_e32 v76, 3, v76
	s_waitcnt vmcnt(0)
	s_waitcnt_vscnt null, 0x0
	s_barrier
	buffer_gl0_inv
	ds_store_b64 v77, v[5:6] offset:2048
	ds_store_b64 v76, v[7:8] offset:2048
	v_lshlrev_b32_e32 v5, 3, v75
	v_lshlrev_b32_e32 v6, 3, v74
	v_lshlrev_b32_e32 v7, 3, v73
	v_lshlrev_b32_e32 v8, 3, v72
	v_lshlrev_b32_e32 v71, 3, v71
	ds_store_b64 v5, v[9:10] offset:2048
	ds_store_b64 v6, v[11:12] offset:2048
	ds_store_b64 v7, v[13:14] offset:2048
	ds_store_b64 v8, v[15:16] offset:2048
	ds_store_b64 v71, v[17:18] offset:2048
	v_lshlrev_b32_e32 v5, 3, v70
	v_lshlrev_b32_e32 v6, 3, v69
	v_lshlrev_b32_e32 v7, 3, v68
	v_lshlrev_b32_e32 v8, 3, v67
	v_lshlrev_b32_e32 v9, 3, v66
	ds_store_b64 v5, v[19:20] offset:2048
	ds_store_b64 v6, v[21:22] offset:2048
	ds_store_b64 v7, v[23:24] offset:2048
	;; [unrolled: 10-line block ×4, first 2 shown]
	ds_store_b64 v8, v[45:46] offset:2048
	ds_store_b64 v9, v[47:48] offset:2048
	s_waitcnt lgkmcnt(0)
	s_barrier
	buffer_gl0_inv
	s_and_saveexec_b32 s2, s24
	s_cbranch_execnz .LBB14_326
; %bb.195:
	s_or_b32 exec_lo, exec_lo, s2
	s_and_saveexec_b32 s2, s25
	s_cbranch_execnz .LBB14_327
.LBB14_196:
	s_or_b32 exec_lo, exec_lo, s2
	s_and_saveexec_b32 s2, s26
	s_cbranch_execnz .LBB14_328
.LBB14_197:
	s_or_b32 exec_lo, exec_lo, s2
	s_and_saveexec_b32 s2, s27
	s_cbranch_execnz .LBB14_329
.LBB14_198:
	s_or_b32 exec_lo, exec_lo, s2
	s_and_saveexec_b32 s2, s28
	s_cbranch_execnz .LBB14_330
.LBB14_199:
	s_or_b32 exec_lo, exec_lo, s2
	s_and_saveexec_b32 s2, s29
	s_cbranch_execnz .LBB14_331
.LBB14_200:
	s_or_b32 exec_lo, exec_lo, s2
	s_and_saveexec_b32 s2, s30
	s_cbranch_execnz .LBB14_332
.LBB14_201:
	s_or_b32 exec_lo, exec_lo, s2
	s_and_saveexec_b32 s2, s31
	s_cbranch_execnz .LBB14_333
.LBB14_202:
	s_or_b32 exec_lo, exec_lo, s2
	s_and_saveexec_b32 s2, s33
	s_cbranch_execnz .LBB14_334
.LBB14_203:
	s_or_b32 exec_lo, exec_lo, s2
	s_and_saveexec_b32 s2, s34
	s_cbranch_execnz .LBB14_335
.LBB14_204:
	s_or_b32 exec_lo, exec_lo, s2
	s_and_saveexec_b32 s2, s35
	s_cbranch_execnz .LBB14_336
.LBB14_205:
	s_or_b32 exec_lo, exec_lo, s2
	s_and_saveexec_b32 s2, s36
	s_cbranch_execnz .LBB14_337
.LBB14_206:
	s_or_b32 exec_lo, exec_lo, s2
	s_and_saveexec_b32 s2, s37
	s_cbranch_execnz .LBB14_338
.LBB14_207:
	s_or_b32 exec_lo, exec_lo, s2
	s_and_saveexec_b32 s2, s38
	s_cbranch_execnz .LBB14_339
.LBB14_208:
	s_or_b32 exec_lo, exec_lo, s2
	s_and_saveexec_b32 s2, s39
	s_cbranch_execnz .LBB14_340
.LBB14_209:
	s_or_b32 exec_lo, exec_lo, s2
	s_and_saveexec_b32 s2, s40
	s_cbranch_execnz .LBB14_341
.LBB14_210:
	s_or_b32 exec_lo, exec_lo, s2
	s_and_saveexec_b32 s2, s41
	s_cbranch_execnz .LBB14_342
.LBB14_211:
	s_or_b32 exec_lo, exec_lo, s2
	s_and_saveexec_b32 s2, s42
	s_cbranch_execnz .LBB14_343
.LBB14_212:
	s_or_b32 exec_lo, exec_lo, s2
	s_and_saveexec_b32 s2, s43
	s_cbranch_execnz .LBB14_344
.LBB14_213:
	s_or_b32 exec_lo, exec_lo, s2
	s_and_saveexec_b32 s2, s44
	s_cbranch_execnz .LBB14_345
.LBB14_214:
	s_or_b32 exec_lo, exec_lo, s2
	s_and_saveexec_b32 s2, s45
	s_cbranch_execnz .LBB14_346
.LBB14_215:
	s_or_b32 exec_lo, exec_lo, s2
	s_and_saveexec_b32 s2, s46
	s_cbranch_execz .LBB14_217
.LBB14_216:
	v_lshlrev_b32_e32 v5, 3, v49
	v_lshlrev_b32_e32 v7, 3, v1
	v_lshlrev_b32_e32 v9, 3, v95
	ds_load_b64 v[5:6], v5
	ds_load_b64 v[7:8], v7 offset:45056
	s_waitcnt lgkmcnt(1)
	v_lshlrev_b64 v[5:6], 3, v[5:6]
	s_delay_alu instid0(VALU_DEP_1) | instskip(NEXT) | instid1(VALU_DEP_2)
	v_add_co_u32 v5, vcc_lo, s54, v5
	v_add_co_ci_u32_e32 v6, vcc_lo, s55, v6, vcc_lo
	s_delay_alu instid0(VALU_DEP_2) | instskip(NEXT) | instid1(VALU_DEP_2)
	v_add_co_u32 v5, vcc_lo, v5, v9
	v_add_co_ci_u32_e32 v6, vcc_lo, 0, v6, vcc_lo
	s_waitcnt lgkmcnt(0)
	global_store_b64 v[5:6], v[7:8], off
.LBB14_217:
	s_or_b32 exec_lo, exec_lo, s2
	s_add_i32 s62, s62, -1
	s_delay_alu instid0(SALU_CYCLE_1)
	s_cmp_eq_u32 s15, s62
	s_cselect_b32 s2, -1, 0
	s_branch .LBB14_280
.LBB14_218:
	s_mov_b32 s2, 0
                                        ; implicit-def: $vgpr53
                                        ; implicit-def: $vgpr3_vgpr4
                                        ; implicit-def: $vgpr52
	s_cbranch_execz .LBB14_280
; %bb.219:
	v_dual_mov_b32 v15, 0 :: v_dual_and_b32 v12, 0xe0, v1
	s_add_u32 s2, s48, s64
	s_addc_u32 s3, s49, 0
	v_add_co_u32 v2, s2, s2, v51
	s_delay_alu instid0(VALU_DEP_2) | instskip(SKIP_3) | instid1(VALU_DEP_4)
	v_mul_u32_u24_e32 v10, 22, v12
	v_add_co_ci_u32_e64 v3, null, s3, 0, s2
	v_bfe_u32 v14, v0, 10, 10
	v_bfe_u32 v0, v0, 20, 10
	v_add_co_u32 v2, vcc_lo, v2, v10
	s_delay_alu instid0(VALU_DEP_4)
	v_add_co_ci_u32_e32 v3, vcc_lo, 0, v3, vcc_lo
	s_mov_b32 s65, 0
	global_load_u8 v11, v[2:3], off
	s_clause 0x1
	s_load_b32 s3, s[0:1], 0x5c
	s_load_b32 s2, s[0:1], 0x50
	s_add_u32 s0, s0, 0x50
	s_addc_u32 s1, s1, 0
	s_waitcnt lgkmcnt(0)
	s_lshr_b32 s3, s3, 16
	s_cmp_lt_u32 s15, s2
	v_mad_u32_u24 v0, v0, s3, v14
	s_cselect_b32 s4, 12, 18
	s_delay_alu instid0(SALU_CYCLE_1)
	s_add_u32 s0, s0, s4
	s_addc_u32 s1, s1, 0
	global_load_u16 v13, v15, s[0:1]
	s_clause 0x14
	global_load_u8 v17, v[2:3], off offset:32
	global_load_u8 v16, v[2:3], off offset:64
	;; [unrolled: 1-line block ×21, first 2 shown]
	s_lshl_b32 s0, -1, s61
	s_delay_alu instid0(SALU_CYCLE_1) | instskip(SKIP_2) | instid1(VALU_DEP_1)
	s_not_b32 s1, s0
	s_waitcnt vmcnt(22)
	v_xor_b32_e32 v11, 0xff, v11
	v_lshrrev_b32_e32 v3, s60, v11
	s_delay_alu instid0(VALU_DEP_1) | instskip(NEXT) | instid1(VALU_DEP_1)
	v_and_b32_e32 v3, s1, v3
	v_and_b32_e32 v18, 1, v3
	v_lshlrev_b32_e32 v19, 30, v3
	v_lshlrev_b32_e32 v21, 29, v3
	;; [unrolled: 1-line block ×4, first 2 shown]
	v_add_co_u32 v18, s0, v18, -1
	s_delay_alu instid0(VALU_DEP_1)
	v_cndmask_b32_e64 v23, 0, 1, s0
	v_not_b32_e32 v29, v19
	v_cmp_gt_i32_e64 s0, 0, v19
	v_not_b32_e32 v19, v21
	v_lshlrev_b32_e32 v26, 26, v3
	v_cmp_ne_u32_e32 vcc_lo, 0, v23
	v_ashrrev_i32_e32 v29, 31, v29
	v_lshlrev_b32_e32 v27, 25, v3
	v_ashrrev_i32_e32 v19, 31, v19
	v_lshlrev_b32_e32 v23, 24, v3
	v_xor_b32_e32 v18, vcc_lo, v18
	v_cmp_gt_i32_e32 vcc_lo, 0, v21
	v_not_b32_e32 v21, v22
	v_xor_b32_e32 v29, s0, v29
	v_cmp_gt_i32_e64 s0, 0, v22
	v_and_b32_e32 v18, exec_lo, v18
	v_not_b32_e32 v22, v25
	v_ashrrev_i32_e32 v21, 31, v21
	v_xor_b32_e32 v19, vcc_lo, v19
	v_cmp_gt_i32_e32 vcc_lo, 0, v25
	v_and_b32_e32 v18, v18, v29
	v_not_b32_e32 v25, v26
	v_ashrrev_i32_e32 v22, 31, v22
	v_xor_b32_e32 v21, s0, v21
	v_cmp_gt_i32_e64 s0, 0, v26
	v_and_b32_e32 v18, v18, v19
	v_not_b32_e32 v19, v27
	v_ashrrev_i32_e32 v25, 31, v25
	v_xor_b32_e32 v22, vcc_lo, v22
	v_cmp_gt_i32_e32 vcc_lo, 0, v27
	v_and_b32_e32 v18, v18, v21
	v_not_b32_e32 v21, v23
	v_ashrrev_i32_e32 v19, 31, v19
	v_xor_b32_e32 v25, s0, v25
	v_cmp_gt_i32_e64 s0, 0, v23
	v_and_b32_e32 v18, v18, v22
	v_ashrrev_i32_e32 v21, 31, v21
	v_xor_b32_e32 v19, vcc_lo, v19
	v_mul_u32_u24_e32 v22, 9, v1
	s_delay_alu instid0(VALU_DEP_4) | instskip(NEXT) | instid1(VALU_DEP_4)
	v_and_b32_e32 v18, v18, v25
	v_xor_b32_e32 v21, s0, v21
	s_delay_alu instid0(VALU_DEP_3)
	v_lshlrev_b32_e32 v14, 2, v22
	ds_store_2addr_b32 v14, v15, v15 offset0:8 offset1:9
	ds_store_2addr_b32 v14, v15, v15 offset0:10 offset1:11
	ds_store_2addr_b32 v14, v15, v15 offset0:12 offset1:13
	ds_store_2addr_b32 v14, v15, v15 offset0:14 offset1:15
	v_and_b32_e32 v23, v18, v19
	s_waitcnt vmcnt(0)
	v_mad_u64_u32 v[18:19], null, v0, v13, v[1:2]
	ds_store_b32 v14, v15 offset:64
	v_mul_u32_u24_e32 v15, 9, v3
	v_and_b32_e32 v0, v23, v21
	s_waitcnt lgkmcnt(0)
	s_waitcnt_vscnt null, 0x0
	s_barrier
	buffer_gl0_inv
	v_lshrrev_b32_e32 v3, 5, v18
	v_mbcnt_lo_u32_b32 v13, v0, 0
	v_cmp_ne_u32_e64 s0, 0, v0
	; wave barrier
	s_delay_alu instid0(VALU_DEP_3) | instskip(NEXT) | instid1(VALU_DEP_3)
	v_add_lshl_u32 v15, v3, v15, 2
	v_cmp_eq_u32_e32 vcc_lo, 0, v13
	s_delay_alu instid0(VALU_DEP_3) | instskip(NEXT) | instid1(SALU_CYCLE_1)
	s_and_b32 s3, s0, vcc_lo
	s_and_saveexec_b32 s0, s3
	s_cbranch_execz .LBB14_221
; %bb.220:
	v_bcnt_u32_b32 v0, v0, 0
	ds_store_b32 v15, v0 offset:32
.LBB14_221:
	s_or_b32 exec_lo, exec_lo, s0
	v_xor_b32_e32 v0, -1, v17
	; wave barrier
	s_delay_alu instid0(VALU_DEP_1) | instskip(NEXT) | instid1(VALU_DEP_1)
	v_and_b32_e32 v17, 0xff, v0
	v_lshrrev_b32_e32 v17, s60, v17
	s_delay_alu instid0(VALU_DEP_1) | instskip(NEXT) | instid1(VALU_DEP_1)
	v_and_b32_e32 v17, s1, v17
	v_and_b32_e32 v18, 1, v17
	v_lshlrev_b32_e32 v19, 30, v17
	v_lshlrev_b32_e32 v21, 29, v17
	v_lshlrev_b32_e32 v22, 28, v17
	v_lshlrev_b32_e32 v25, 27, v17
	v_add_co_u32 v18, s0, v18, -1
	s_delay_alu instid0(VALU_DEP_1)
	v_cndmask_b32_e64 v23, 0, 1, s0
	v_not_b32_e32 v29, v19
	v_cmp_gt_i32_e64 s0, 0, v19
	v_not_b32_e32 v19, v21
	v_lshlrev_b32_e32 v26, 26, v17
	v_cmp_ne_u32_e32 vcc_lo, 0, v23
	v_ashrrev_i32_e32 v29, 31, v29
	v_lshlrev_b32_e32 v27, 25, v17
	v_ashrrev_i32_e32 v19, 31, v19
	v_lshlrev_b32_e32 v23, 24, v17
	v_xor_b32_e32 v18, vcc_lo, v18
	v_cmp_gt_i32_e32 vcc_lo, 0, v21
	v_not_b32_e32 v21, v22
	v_xor_b32_e32 v29, s0, v29
	v_cmp_gt_i32_e64 s0, 0, v22
	v_and_b32_e32 v18, exec_lo, v18
	v_not_b32_e32 v22, v25
	v_ashrrev_i32_e32 v21, 31, v21
	v_xor_b32_e32 v19, vcc_lo, v19
	v_cmp_gt_i32_e32 vcc_lo, 0, v25
	v_and_b32_e32 v18, v18, v29
	v_not_b32_e32 v25, v26
	v_ashrrev_i32_e32 v22, 31, v22
	v_xor_b32_e32 v21, s0, v21
	v_cmp_gt_i32_e64 s0, 0, v26
	v_and_b32_e32 v18, v18, v19
	v_not_b32_e32 v19, v27
	v_ashrrev_i32_e32 v25, 31, v25
	v_xor_b32_e32 v22, vcc_lo, v22
	v_cmp_gt_i32_e32 vcc_lo, 0, v27
	v_and_b32_e32 v18, v18, v21
	v_not_b32_e32 v21, v23
	v_ashrrev_i32_e32 v19, 31, v19
	v_xor_b32_e32 v25, s0, v25
	v_mul_u32_u24_e32 v17, 9, v17
	v_and_b32_e32 v18, v18, v22
	v_cmp_gt_i32_e64 s0, 0, v23
	v_ashrrev_i32_e32 v21, 31, v21
	v_xor_b32_e32 v22, vcc_lo, v19
	v_add_lshl_u32 v19, v3, v17, 2
	v_and_b32_e32 v18, v18, v25
	s_delay_alu instid0(VALU_DEP_4) | instskip(SKIP_2) | instid1(VALU_DEP_1)
	v_xor_b32_e32 v21, s0, v21
	ds_load_b32 v17, v19 offset:32
	v_and_b32_e32 v18, v18, v22
	; wave barrier
	v_and_b32_e32 v21, v18, v21
	s_delay_alu instid0(VALU_DEP_1) | instskip(SKIP_1) | instid1(VALU_DEP_2)
	v_mbcnt_lo_u32_b32 v18, v21, 0
	v_cmp_ne_u32_e64 s0, 0, v21
	v_cmp_eq_u32_e32 vcc_lo, 0, v18
	s_delay_alu instid0(VALU_DEP_2) | instskip(NEXT) | instid1(SALU_CYCLE_1)
	s_and_b32 s3, s0, vcc_lo
	s_and_saveexec_b32 s0, s3
	s_cbranch_execz .LBB14_223
; %bb.222:
	s_waitcnt lgkmcnt(0)
	v_bcnt_u32_b32 v21, v21, v17
	ds_store_b32 v19, v21 offset:32
.LBB14_223:
	s_or_b32 exec_lo, exec_lo, s0
	v_xor_b32_e32 v16, -1, v16
	; wave barrier
	s_delay_alu instid0(VALU_DEP_1) | instskip(NEXT) | instid1(VALU_DEP_1)
	v_and_b32_e32 v21, 0xff, v16
	v_lshrrev_b32_e32 v21, s60, v21
	s_delay_alu instid0(VALU_DEP_1) | instskip(NEXT) | instid1(VALU_DEP_1)
	v_and_b32_e32 v21, s1, v21
	v_and_b32_e32 v22, 1, v21
	v_lshlrev_b32_e32 v23, 30, v21
	v_lshlrev_b32_e32 v25, 29, v21
	;; [unrolled: 1-line block ×4, first 2 shown]
	v_add_co_u32 v22, s0, v22, -1
	s_delay_alu instid0(VALU_DEP_1)
	v_cndmask_b32_e64 v27, 0, 1, s0
	v_not_b32_e32 v33, v23
	v_cmp_gt_i32_e64 s0, 0, v23
	v_not_b32_e32 v23, v25
	v_lshlrev_b32_e32 v30, 26, v21
	v_cmp_ne_u32_e32 vcc_lo, 0, v27
	v_ashrrev_i32_e32 v33, 31, v33
	v_lshlrev_b32_e32 v31, 25, v21
	v_ashrrev_i32_e32 v23, 31, v23
	v_lshlrev_b32_e32 v27, 24, v21
	v_xor_b32_e32 v22, vcc_lo, v22
	v_cmp_gt_i32_e32 vcc_lo, 0, v25
	v_not_b32_e32 v25, v26
	v_xor_b32_e32 v33, s0, v33
	v_cmp_gt_i32_e64 s0, 0, v26
	v_and_b32_e32 v22, exec_lo, v22
	v_not_b32_e32 v26, v29
	v_ashrrev_i32_e32 v25, 31, v25
	v_xor_b32_e32 v23, vcc_lo, v23
	v_cmp_gt_i32_e32 vcc_lo, 0, v29
	v_and_b32_e32 v22, v22, v33
	v_not_b32_e32 v29, v30
	v_ashrrev_i32_e32 v26, 31, v26
	v_xor_b32_e32 v25, s0, v25
	v_cmp_gt_i32_e64 s0, 0, v30
	v_and_b32_e32 v22, v22, v23
	v_not_b32_e32 v23, v31
	v_ashrrev_i32_e32 v29, 31, v29
	v_xor_b32_e32 v26, vcc_lo, v26
	v_cmp_gt_i32_e32 vcc_lo, 0, v31
	v_and_b32_e32 v22, v22, v25
	v_not_b32_e32 v25, v27
	v_ashrrev_i32_e32 v23, 31, v23
	v_xor_b32_e32 v29, s0, v29
	v_mul_u32_u24_e32 v21, 9, v21
	v_and_b32_e32 v22, v22, v26
	v_cmp_gt_i32_e64 s0, 0, v27
	v_ashrrev_i32_e32 v25, 31, v25
	v_xor_b32_e32 v26, vcc_lo, v23
	v_add_lshl_u32 v23, v3, v21, 2
	v_and_b32_e32 v22, v22, v29
	s_delay_alu instid0(VALU_DEP_4) | instskip(SKIP_2) | instid1(VALU_DEP_1)
	v_xor_b32_e32 v25, s0, v25
	ds_load_b32 v21, v23 offset:32
	v_and_b32_e32 v22, v22, v26
	; wave barrier
	v_and_b32_e32 v25, v22, v25
	s_delay_alu instid0(VALU_DEP_1) | instskip(SKIP_1) | instid1(VALU_DEP_2)
	v_mbcnt_lo_u32_b32 v22, v25, 0
	v_cmp_ne_u32_e64 s0, 0, v25
	v_cmp_eq_u32_e32 vcc_lo, 0, v22
	s_delay_alu instid0(VALU_DEP_2) | instskip(NEXT) | instid1(SALU_CYCLE_1)
	s_and_b32 s3, s0, vcc_lo
	s_and_saveexec_b32 s0, s3
	s_cbranch_execz .LBB14_225
; %bb.224:
	s_waitcnt lgkmcnt(0)
	v_bcnt_u32_b32 v25, v25, v21
	ds_store_b32 v23, v25 offset:32
.LBB14_225:
	s_or_b32 exec_lo, exec_lo, s0
	v_xor_b32_e32 v20, -1, v20
	; wave barrier
	s_delay_alu instid0(VALU_DEP_1) | instskip(NEXT) | instid1(VALU_DEP_1)
	v_and_b32_e32 v25, 0xff, v20
	v_lshrrev_b32_e32 v25, s60, v25
	s_delay_alu instid0(VALU_DEP_1) | instskip(NEXT) | instid1(VALU_DEP_1)
	v_and_b32_e32 v25, s1, v25
	v_and_b32_e32 v26, 1, v25
	v_lshlrev_b32_e32 v27, 30, v25
	v_lshlrev_b32_e32 v29, 29, v25
	;; [unrolled: 1-line block ×4, first 2 shown]
	v_add_co_u32 v26, s0, v26, -1
	s_delay_alu instid0(VALU_DEP_1)
	v_cndmask_b32_e64 v31, 0, 1, s0
	v_not_b32_e32 v37, v27
	v_cmp_gt_i32_e64 s0, 0, v27
	v_not_b32_e32 v27, v29
	v_lshlrev_b32_e32 v34, 26, v25
	v_cmp_ne_u32_e32 vcc_lo, 0, v31
	v_ashrrev_i32_e32 v37, 31, v37
	v_lshlrev_b32_e32 v35, 25, v25
	v_ashrrev_i32_e32 v27, 31, v27
	v_lshlrev_b32_e32 v31, 24, v25
	v_xor_b32_e32 v26, vcc_lo, v26
	v_cmp_gt_i32_e32 vcc_lo, 0, v29
	v_not_b32_e32 v29, v30
	v_xor_b32_e32 v37, s0, v37
	v_cmp_gt_i32_e64 s0, 0, v30
	v_and_b32_e32 v26, exec_lo, v26
	v_not_b32_e32 v30, v33
	v_ashrrev_i32_e32 v29, 31, v29
	v_xor_b32_e32 v27, vcc_lo, v27
	v_cmp_gt_i32_e32 vcc_lo, 0, v33
	v_and_b32_e32 v26, v26, v37
	v_not_b32_e32 v33, v34
	v_ashrrev_i32_e32 v30, 31, v30
	v_xor_b32_e32 v29, s0, v29
	v_cmp_gt_i32_e64 s0, 0, v34
	v_and_b32_e32 v26, v26, v27
	v_not_b32_e32 v27, v35
	v_ashrrev_i32_e32 v33, 31, v33
	v_xor_b32_e32 v30, vcc_lo, v30
	v_cmp_gt_i32_e32 vcc_lo, 0, v35
	v_and_b32_e32 v26, v26, v29
	v_not_b32_e32 v29, v31
	v_ashrrev_i32_e32 v27, 31, v27
	v_xor_b32_e32 v33, s0, v33
	v_mul_u32_u24_e32 v25, 9, v25
	v_and_b32_e32 v26, v26, v30
	v_cmp_gt_i32_e64 s0, 0, v31
	v_ashrrev_i32_e32 v29, 31, v29
	v_xor_b32_e32 v30, vcc_lo, v27
	v_add_lshl_u32 v27, v3, v25, 2
	v_and_b32_e32 v26, v26, v33
	s_delay_alu instid0(VALU_DEP_4) | instskip(SKIP_2) | instid1(VALU_DEP_1)
	v_xor_b32_e32 v29, s0, v29
	ds_load_b32 v25, v27 offset:32
	v_and_b32_e32 v26, v26, v30
	; wave barrier
	v_and_b32_e32 v29, v26, v29
	s_delay_alu instid0(VALU_DEP_1) | instskip(SKIP_1) | instid1(VALU_DEP_2)
	v_mbcnt_lo_u32_b32 v26, v29, 0
	v_cmp_ne_u32_e64 s0, 0, v29
	v_cmp_eq_u32_e32 vcc_lo, 0, v26
	s_delay_alu instid0(VALU_DEP_2) | instskip(NEXT) | instid1(SALU_CYCLE_1)
	s_and_b32 s3, s0, vcc_lo
	s_and_saveexec_b32 s0, s3
	s_cbranch_execz .LBB14_227
; %bb.226:
	s_waitcnt lgkmcnt(0)
	v_bcnt_u32_b32 v29, v29, v25
	ds_store_b32 v27, v29 offset:32
.LBB14_227:
	s_or_b32 exec_lo, exec_lo, s0
	v_xor_b32_e32 v24, -1, v24
	; wave barrier
	s_delay_alu instid0(VALU_DEP_1) | instskip(NEXT) | instid1(VALU_DEP_1)
	v_and_b32_e32 v29, 0xff, v24
	v_lshrrev_b32_e32 v29, s60, v29
	s_delay_alu instid0(VALU_DEP_1) | instskip(NEXT) | instid1(VALU_DEP_1)
	v_and_b32_e32 v29, s1, v29
	v_and_b32_e32 v30, 1, v29
	v_lshlrev_b32_e32 v31, 30, v29
	v_lshlrev_b32_e32 v33, 29, v29
	;; [unrolled: 1-line block ×4, first 2 shown]
	v_add_co_u32 v30, s0, v30, -1
	s_delay_alu instid0(VALU_DEP_1)
	v_cndmask_b32_e64 v35, 0, 1, s0
	v_not_b32_e32 v41, v31
	v_cmp_gt_i32_e64 s0, 0, v31
	v_not_b32_e32 v31, v33
	v_lshlrev_b32_e32 v38, 26, v29
	v_cmp_ne_u32_e32 vcc_lo, 0, v35
	v_ashrrev_i32_e32 v41, 31, v41
	v_lshlrev_b32_e32 v39, 25, v29
	v_ashrrev_i32_e32 v31, 31, v31
	v_lshlrev_b32_e32 v35, 24, v29
	v_xor_b32_e32 v30, vcc_lo, v30
	v_cmp_gt_i32_e32 vcc_lo, 0, v33
	v_not_b32_e32 v33, v34
	v_xor_b32_e32 v41, s0, v41
	v_cmp_gt_i32_e64 s0, 0, v34
	v_and_b32_e32 v30, exec_lo, v30
	v_not_b32_e32 v34, v37
	v_ashrrev_i32_e32 v33, 31, v33
	v_xor_b32_e32 v31, vcc_lo, v31
	v_cmp_gt_i32_e32 vcc_lo, 0, v37
	v_and_b32_e32 v30, v30, v41
	v_not_b32_e32 v37, v38
	v_ashrrev_i32_e32 v34, 31, v34
	v_xor_b32_e32 v33, s0, v33
	v_cmp_gt_i32_e64 s0, 0, v38
	v_and_b32_e32 v30, v30, v31
	v_not_b32_e32 v31, v39
	v_ashrrev_i32_e32 v37, 31, v37
	v_xor_b32_e32 v34, vcc_lo, v34
	v_cmp_gt_i32_e32 vcc_lo, 0, v39
	v_and_b32_e32 v30, v30, v33
	v_not_b32_e32 v33, v35
	v_ashrrev_i32_e32 v31, 31, v31
	v_xor_b32_e32 v37, s0, v37
	v_mul_u32_u24_e32 v29, 9, v29
	v_and_b32_e32 v30, v30, v34
	v_cmp_gt_i32_e64 s0, 0, v35
	v_ashrrev_i32_e32 v33, 31, v33
	v_xor_b32_e32 v34, vcc_lo, v31
	v_add_lshl_u32 v31, v3, v29, 2
	v_and_b32_e32 v30, v30, v37
	s_delay_alu instid0(VALU_DEP_4) | instskip(SKIP_2) | instid1(VALU_DEP_1)
	v_xor_b32_e32 v33, s0, v33
	ds_load_b32 v29, v31 offset:32
	v_and_b32_e32 v30, v30, v34
	; wave barrier
	v_and_b32_e32 v33, v30, v33
	s_delay_alu instid0(VALU_DEP_1) | instskip(SKIP_1) | instid1(VALU_DEP_2)
	v_mbcnt_lo_u32_b32 v30, v33, 0
	v_cmp_ne_u32_e64 s0, 0, v33
	v_cmp_eq_u32_e32 vcc_lo, 0, v30
	s_delay_alu instid0(VALU_DEP_2) | instskip(NEXT) | instid1(SALU_CYCLE_1)
	s_and_b32 s3, s0, vcc_lo
	s_and_saveexec_b32 s0, s3
	s_cbranch_execz .LBB14_229
; %bb.228:
	s_waitcnt lgkmcnt(0)
	v_bcnt_u32_b32 v33, v33, v29
	ds_store_b32 v31, v33 offset:32
.LBB14_229:
	s_or_b32 exec_lo, exec_lo, s0
	v_xor_b32_e32 v28, -1, v28
	; wave barrier
	s_delay_alu instid0(VALU_DEP_1) | instskip(NEXT) | instid1(VALU_DEP_1)
	v_and_b32_e32 v33, 0xff, v28
	v_lshrrev_b32_e32 v33, s60, v33
	s_delay_alu instid0(VALU_DEP_1) | instskip(NEXT) | instid1(VALU_DEP_1)
	v_and_b32_e32 v33, s1, v33
	v_and_b32_e32 v34, 1, v33
	v_lshlrev_b32_e32 v35, 30, v33
	v_lshlrev_b32_e32 v37, 29, v33
	;; [unrolled: 1-line block ×4, first 2 shown]
	v_add_co_u32 v34, s0, v34, -1
	s_delay_alu instid0(VALU_DEP_1)
	v_cndmask_b32_e64 v39, 0, 1, s0
	v_not_b32_e32 v45, v35
	v_cmp_gt_i32_e64 s0, 0, v35
	v_not_b32_e32 v35, v37
	v_lshlrev_b32_e32 v42, 26, v33
	v_cmp_ne_u32_e32 vcc_lo, 0, v39
	v_ashrrev_i32_e32 v45, 31, v45
	v_lshlrev_b32_e32 v43, 25, v33
	v_ashrrev_i32_e32 v35, 31, v35
	v_lshlrev_b32_e32 v39, 24, v33
	v_xor_b32_e32 v34, vcc_lo, v34
	v_cmp_gt_i32_e32 vcc_lo, 0, v37
	v_not_b32_e32 v37, v38
	v_xor_b32_e32 v45, s0, v45
	v_cmp_gt_i32_e64 s0, 0, v38
	v_and_b32_e32 v34, exec_lo, v34
	v_not_b32_e32 v38, v41
	v_ashrrev_i32_e32 v37, 31, v37
	v_xor_b32_e32 v35, vcc_lo, v35
	v_cmp_gt_i32_e32 vcc_lo, 0, v41
	v_and_b32_e32 v34, v34, v45
	v_not_b32_e32 v41, v42
	v_ashrrev_i32_e32 v38, 31, v38
	v_xor_b32_e32 v37, s0, v37
	v_cmp_gt_i32_e64 s0, 0, v42
	v_and_b32_e32 v34, v34, v35
	v_not_b32_e32 v35, v43
	v_ashrrev_i32_e32 v41, 31, v41
	v_xor_b32_e32 v38, vcc_lo, v38
	v_cmp_gt_i32_e32 vcc_lo, 0, v43
	v_and_b32_e32 v34, v34, v37
	v_not_b32_e32 v37, v39
	v_ashrrev_i32_e32 v35, 31, v35
	v_xor_b32_e32 v41, s0, v41
	v_mul_u32_u24_e32 v33, 9, v33
	v_and_b32_e32 v34, v34, v38
	v_cmp_gt_i32_e64 s0, 0, v39
	v_ashrrev_i32_e32 v37, 31, v37
	v_xor_b32_e32 v38, vcc_lo, v35
	v_add_lshl_u32 v35, v3, v33, 2
	v_and_b32_e32 v34, v34, v41
	s_delay_alu instid0(VALU_DEP_4) | instskip(SKIP_2) | instid1(VALU_DEP_1)
	v_xor_b32_e32 v37, s0, v37
	ds_load_b32 v33, v35 offset:32
	v_and_b32_e32 v34, v34, v38
	; wave barrier
	v_and_b32_e32 v37, v34, v37
	s_delay_alu instid0(VALU_DEP_1) | instskip(SKIP_1) | instid1(VALU_DEP_2)
	v_mbcnt_lo_u32_b32 v34, v37, 0
	v_cmp_ne_u32_e64 s0, 0, v37
	v_cmp_eq_u32_e32 vcc_lo, 0, v34
	s_delay_alu instid0(VALU_DEP_2) | instskip(NEXT) | instid1(SALU_CYCLE_1)
	s_and_b32 s3, s0, vcc_lo
	s_and_saveexec_b32 s0, s3
	s_cbranch_execz .LBB14_231
; %bb.230:
	s_waitcnt lgkmcnt(0)
	v_bcnt_u32_b32 v37, v37, v33
	ds_store_b32 v35, v37 offset:32
.LBB14_231:
	s_or_b32 exec_lo, exec_lo, s0
	v_xor_b32_e32 v32, -1, v32
	; wave barrier
	s_delay_alu instid0(VALU_DEP_1) | instskip(NEXT) | instid1(VALU_DEP_1)
	v_and_b32_e32 v37, 0xff, v32
	v_lshrrev_b32_e32 v37, s60, v37
	s_delay_alu instid0(VALU_DEP_1) | instskip(NEXT) | instid1(VALU_DEP_1)
	v_and_b32_e32 v37, s1, v37
	v_and_b32_e32 v38, 1, v37
	v_lshlrev_b32_e32 v39, 30, v37
	v_lshlrev_b32_e32 v41, 29, v37
	;; [unrolled: 1-line block ×4, first 2 shown]
	v_add_co_u32 v38, s0, v38, -1
	s_delay_alu instid0(VALU_DEP_1)
	v_cndmask_b32_e64 v43, 0, 1, s0
	v_not_b32_e32 v50, v39
	v_cmp_gt_i32_e64 s0, 0, v39
	v_not_b32_e32 v39, v41
	v_lshlrev_b32_e32 v46, 26, v37
	v_cmp_ne_u32_e32 vcc_lo, 0, v43
	v_ashrrev_i32_e32 v50, 31, v50
	v_lshlrev_b32_e32 v47, 25, v37
	v_ashrrev_i32_e32 v39, 31, v39
	v_lshlrev_b32_e32 v43, 24, v37
	v_xor_b32_e32 v38, vcc_lo, v38
	v_cmp_gt_i32_e32 vcc_lo, 0, v41
	v_not_b32_e32 v41, v42
	v_xor_b32_e32 v50, s0, v50
	v_cmp_gt_i32_e64 s0, 0, v42
	v_and_b32_e32 v38, exec_lo, v38
	v_not_b32_e32 v42, v45
	v_ashrrev_i32_e32 v41, 31, v41
	v_xor_b32_e32 v39, vcc_lo, v39
	v_cmp_gt_i32_e32 vcc_lo, 0, v45
	v_and_b32_e32 v38, v38, v50
	v_not_b32_e32 v45, v46
	v_ashrrev_i32_e32 v42, 31, v42
	v_xor_b32_e32 v41, s0, v41
	v_cmp_gt_i32_e64 s0, 0, v46
	v_and_b32_e32 v38, v38, v39
	v_not_b32_e32 v39, v47
	v_ashrrev_i32_e32 v45, 31, v45
	v_xor_b32_e32 v42, vcc_lo, v42
	v_cmp_gt_i32_e32 vcc_lo, 0, v47
	v_and_b32_e32 v38, v38, v41
	v_not_b32_e32 v41, v43
	v_ashrrev_i32_e32 v39, 31, v39
	v_xor_b32_e32 v45, s0, v45
	v_mul_u32_u24_e32 v37, 9, v37
	v_and_b32_e32 v38, v38, v42
	v_cmp_gt_i32_e64 s0, 0, v43
	v_ashrrev_i32_e32 v41, 31, v41
	v_xor_b32_e32 v42, vcc_lo, v39
	v_add_lshl_u32 v39, v3, v37, 2
	v_and_b32_e32 v38, v38, v45
	s_delay_alu instid0(VALU_DEP_4) | instskip(SKIP_2) | instid1(VALU_DEP_1)
	v_xor_b32_e32 v41, s0, v41
	ds_load_b32 v37, v39 offset:32
	v_and_b32_e32 v38, v38, v42
	; wave barrier
	v_and_b32_e32 v41, v38, v41
	s_delay_alu instid0(VALU_DEP_1) | instskip(SKIP_1) | instid1(VALU_DEP_2)
	v_mbcnt_lo_u32_b32 v38, v41, 0
	v_cmp_ne_u32_e64 s0, 0, v41
	v_cmp_eq_u32_e32 vcc_lo, 0, v38
	s_delay_alu instid0(VALU_DEP_2) | instskip(NEXT) | instid1(SALU_CYCLE_1)
	s_and_b32 s3, s0, vcc_lo
	s_and_saveexec_b32 s0, s3
	s_cbranch_execz .LBB14_233
; %bb.232:
	s_waitcnt lgkmcnt(0)
	v_bcnt_u32_b32 v41, v41, v37
	ds_store_b32 v39, v41 offset:32
.LBB14_233:
	s_or_b32 exec_lo, exec_lo, s0
	v_xor_b32_e32 v36, -1, v36
	; wave barrier
	s_delay_alu instid0(VALU_DEP_1) | instskip(NEXT) | instid1(VALU_DEP_1)
	v_and_b32_e32 v41, 0xff, v36
	v_lshrrev_b32_e32 v41, s60, v41
	s_delay_alu instid0(VALU_DEP_1) | instskip(NEXT) | instid1(VALU_DEP_1)
	v_and_b32_e32 v41, s1, v41
	v_and_b32_e32 v42, 1, v41
	v_lshlrev_b32_e32 v43, 30, v41
	v_lshlrev_b32_e32 v45, 29, v41
	;; [unrolled: 1-line block ×4, first 2 shown]
	v_add_co_u32 v42, s0, v42, -1
	s_delay_alu instid0(VALU_DEP_1)
	v_cndmask_b32_e64 v47, 0, 1, s0
	v_not_b32_e32 v56, v43
	v_cmp_gt_i32_e64 s0, 0, v43
	v_not_b32_e32 v43, v45
	v_lshlrev_b32_e32 v52, 26, v41
	v_cmp_ne_u32_e32 vcc_lo, 0, v47
	v_ashrrev_i32_e32 v56, 31, v56
	v_lshlrev_b32_e32 v53, 25, v41
	v_ashrrev_i32_e32 v43, 31, v43
	v_lshlrev_b32_e32 v47, 24, v41
	v_xor_b32_e32 v42, vcc_lo, v42
	v_cmp_gt_i32_e32 vcc_lo, 0, v45
	v_not_b32_e32 v45, v46
	v_xor_b32_e32 v56, s0, v56
	v_cmp_gt_i32_e64 s0, 0, v46
	v_and_b32_e32 v42, exec_lo, v42
	v_not_b32_e32 v46, v50
	v_ashrrev_i32_e32 v45, 31, v45
	v_xor_b32_e32 v43, vcc_lo, v43
	v_cmp_gt_i32_e32 vcc_lo, 0, v50
	v_and_b32_e32 v42, v42, v56
	v_not_b32_e32 v50, v52
	v_ashrrev_i32_e32 v46, 31, v46
	v_xor_b32_e32 v45, s0, v45
	v_cmp_gt_i32_e64 s0, 0, v52
	v_and_b32_e32 v42, v42, v43
	v_not_b32_e32 v43, v53
	v_ashrrev_i32_e32 v50, 31, v50
	v_xor_b32_e32 v46, vcc_lo, v46
	v_cmp_gt_i32_e32 vcc_lo, 0, v53
	v_and_b32_e32 v42, v42, v45
	v_not_b32_e32 v45, v47
	v_ashrrev_i32_e32 v43, 31, v43
	v_xor_b32_e32 v50, s0, v50
	v_mul_u32_u24_e32 v41, 9, v41
	v_and_b32_e32 v42, v42, v46
	v_cmp_gt_i32_e64 s0, 0, v47
	v_ashrrev_i32_e32 v45, 31, v45
	v_xor_b32_e32 v46, vcc_lo, v43
	v_add_lshl_u32 v43, v3, v41, 2
	v_and_b32_e32 v42, v42, v50
	s_delay_alu instid0(VALU_DEP_4) | instskip(SKIP_2) | instid1(VALU_DEP_1)
	v_xor_b32_e32 v45, s0, v45
	ds_load_b32 v41, v43 offset:32
	v_and_b32_e32 v42, v42, v46
	; wave barrier
	v_and_b32_e32 v45, v42, v45
	s_delay_alu instid0(VALU_DEP_1) | instskip(SKIP_1) | instid1(VALU_DEP_2)
	v_mbcnt_lo_u32_b32 v42, v45, 0
	v_cmp_ne_u32_e64 s0, 0, v45
	v_cmp_eq_u32_e32 vcc_lo, 0, v42
	s_delay_alu instid0(VALU_DEP_2) | instskip(NEXT) | instid1(SALU_CYCLE_1)
	s_and_b32 s3, s0, vcc_lo
	s_and_saveexec_b32 s0, s3
	s_cbranch_execz .LBB14_235
; %bb.234:
	s_waitcnt lgkmcnt(0)
	v_bcnt_u32_b32 v45, v45, v41
	ds_store_b32 v43, v45 offset:32
.LBB14_235:
	s_or_b32 exec_lo, exec_lo, s0
	v_xor_b32_e32 v40, -1, v40
	; wave barrier
	s_delay_alu instid0(VALU_DEP_1) | instskip(NEXT) | instid1(VALU_DEP_1)
	v_and_b32_e32 v45, 0xff, v40
	v_lshrrev_b32_e32 v45, s60, v45
	s_delay_alu instid0(VALU_DEP_1) | instskip(NEXT) | instid1(VALU_DEP_1)
	v_and_b32_e32 v45, s1, v45
	v_and_b32_e32 v46, 1, v45
	v_lshlrev_b32_e32 v47, 30, v45
	v_lshlrev_b32_e32 v50, 29, v45
	v_lshlrev_b32_e32 v52, 28, v45
	v_lshlrev_b32_e32 v56, 27, v45
	v_add_co_u32 v46, s0, v46, -1
	s_delay_alu instid0(VALU_DEP_1)
	v_cndmask_b32_e64 v53, 0, 1, s0
	v_not_b32_e32 v60, v47
	v_cmp_gt_i32_e64 s0, 0, v47
	v_not_b32_e32 v47, v50
	v_lshlrev_b32_e32 v57, 26, v45
	v_cmp_ne_u32_e32 vcc_lo, 0, v53
	v_ashrrev_i32_e32 v60, 31, v60
	v_lshlrev_b32_e32 v58, 25, v45
	v_ashrrev_i32_e32 v47, 31, v47
	v_lshlrev_b32_e32 v53, 24, v45
	v_xor_b32_e32 v46, vcc_lo, v46
	v_cmp_gt_i32_e32 vcc_lo, 0, v50
	v_not_b32_e32 v50, v52
	v_xor_b32_e32 v60, s0, v60
	v_cmp_gt_i32_e64 s0, 0, v52
	v_and_b32_e32 v46, exec_lo, v46
	v_not_b32_e32 v52, v56
	v_ashrrev_i32_e32 v50, 31, v50
	v_xor_b32_e32 v47, vcc_lo, v47
	v_cmp_gt_i32_e32 vcc_lo, 0, v56
	v_and_b32_e32 v46, v46, v60
	v_not_b32_e32 v56, v57
	v_ashrrev_i32_e32 v52, 31, v52
	v_xor_b32_e32 v50, s0, v50
	v_cmp_gt_i32_e64 s0, 0, v57
	v_and_b32_e32 v46, v46, v47
	v_not_b32_e32 v47, v58
	v_ashrrev_i32_e32 v56, 31, v56
	v_xor_b32_e32 v52, vcc_lo, v52
	v_cmp_gt_i32_e32 vcc_lo, 0, v58
	v_and_b32_e32 v46, v46, v50
	v_not_b32_e32 v50, v53
	v_ashrrev_i32_e32 v47, 31, v47
	v_xor_b32_e32 v56, s0, v56
	v_mul_u32_u24_e32 v45, 9, v45
	v_and_b32_e32 v46, v46, v52
	v_cmp_gt_i32_e64 s0, 0, v53
	v_ashrrev_i32_e32 v50, 31, v50
	v_xor_b32_e32 v52, vcc_lo, v47
	v_add_lshl_u32 v47, v3, v45, 2
	v_and_b32_e32 v46, v46, v56
	s_delay_alu instid0(VALU_DEP_4) | instskip(SKIP_2) | instid1(VALU_DEP_1)
	v_xor_b32_e32 v50, s0, v50
	ds_load_b32 v45, v47 offset:32
	v_and_b32_e32 v46, v46, v52
	; wave barrier
	v_and_b32_e32 v50, v46, v50
	s_delay_alu instid0(VALU_DEP_1) | instskip(SKIP_1) | instid1(VALU_DEP_2)
	v_mbcnt_lo_u32_b32 v46, v50, 0
	v_cmp_ne_u32_e64 s0, 0, v50
	v_cmp_eq_u32_e32 vcc_lo, 0, v46
	s_delay_alu instid0(VALU_DEP_2) | instskip(NEXT) | instid1(SALU_CYCLE_1)
	s_and_b32 s3, s0, vcc_lo
	s_and_saveexec_b32 s0, s3
	s_cbranch_execz .LBB14_237
; %bb.236:
	s_waitcnt lgkmcnt(0)
	v_bcnt_u32_b32 v50, v50, v45
	ds_store_b32 v47, v50 offset:32
.LBB14_237:
	s_or_b32 exec_lo, exec_lo, s0
	v_xor_b32_e32 v44, -1, v44
	; wave barrier
	s_delay_alu instid0(VALU_DEP_1) | instskip(NEXT) | instid1(VALU_DEP_1)
	v_and_b32_e32 v50, 0xff, v44
	v_lshrrev_b32_e32 v50, s60, v50
	s_delay_alu instid0(VALU_DEP_1) | instskip(NEXT) | instid1(VALU_DEP_1)
	v_and_b32_e32 v50, s1, v50
	v_and_b32_e32 v52, 1, v50
	v_lshlrev_b32_e32 v53, 30, v50
	v_lshlrev_b32_e32 v56, 29, v50
	;; [unrolled: 1-line block ×4, first 2 shown]
	v_add_co_u32 v52, s0, v52, -1
	s_delay_alu instid0(VALU_DEP_1)
	v_cndmask_b32_e64 v58, 0, 1, s0
	v_not_b32_e32 v63, v53
	v_cmp_gt_i32_e64 s0, 0, v53
	v_not_b32_e32 v53, v56
	v_lshlrev_b32_e32 v61, 26, v50
	v_cmp_ne_u32_e32 vcc_lo, 0, v58
	v_ashrrev_i32_e32 v63, 31, v63
	v_lshlrev_b32_e32 v62, 25, v50
	v_ashrrev_i32_e32 v53, 31, v53
	v_lshlrev_b32_e32 v58, 24, v50
	v_xor_b32_e32 v52, vcc_lo, v52
	v_cmp_gt_i32_e32 vcc_lo, 0, v56
	v_not_b32_e32 v56, v57
	v_xor_b32_e32 v63, s0, v63
	v_cmp_gt_i32_e64 s0, 0, v57
	v_and_b32_e32 v52, exec_lo, v52
	v_not_b32_e32 v57, v60
	v_ashrrev_i32_e32 v56, 31, v56
	v_xor_b32_e32 v53, vcc_lo, v53
	v_cmp_gt_i32_e32 vcc_lo, 0, v60
	v_and_b32_e32 v52, v52, v63
	v_not_b32_e32 v60, v61
	v_ashrrev_i32_e32 v57, 31, v57
	v_xor_b32_e32 v56, s0, v56
	v_cmp_gt_i32_e64 s0, 0, v61
	v_and_b32_e32 v52, v52, v53
	v_not_b32_e32 v53, v62
	v_ashrrev_i32_e32 v60, 31, v60
	v_xor_b32_e32 v57, vcc_lo, v57
	v_cmp_gt_i32_e32 vcc_lo, 0, v62
	v_and_b32_e32 v52, v52, v56
	v_not_b32_e32 v56, v58
	v_ashrrev_i32_e32 v53, 31, v53
	v_xor_b32_e32 v60, s0, v60
	v_mul_u32_u24_e32 v50, 9, v50
	v_and_b32_e32 v52, v52, v57
	v_cmp_gt_i32_e64 s0, 0, v58
	v_ashrrev_i32_e32 v56, 31, v56
	v_xor_b32_e32 v57, vcc_lo, v53
	v_add_lshl_u32 v53, v3, v50, 2
	v_and_b32_e32 v52, v52, v60
	s_delay_alu instid0(VALU_DEP_4) | instskip(SKIP_2) | instid1(VALU_DEP_1)
	v_xor_b32_e32 v56, s0, v56
	ds_load_b32 v50, v53 offset:32
	v_and_b32_e32 v52, v52, v57
	; wave barrier
	v_and_b32_e32 v56, v52, v56
	s_delay_alu instid0(VALU_DEP_1) | instskip(SKIP_1) | instid1(VALU_DEP_2)
	v_mbcnt_lo_u32_b32 v52, v56, 0
	v_cmp_ne_u32_e64 s0, 0, v56
	v_cmp_eq_u32_e32 vcc_lo, 0, v52
	s_delay_alu instid0(VALU_DEP_2) | instskip(NEXT) | instid1(SALU_CYCLE_1)
	s_and_b32 s3, s0, vcc_lo
	s_and_saveexec_b32 s0, s3
	s_cbranch_execz .LBB14_239
; %bb.238:
	s_waitcnt lgkmcnt(0)
	v_bcnt_u32_b32 v56, v56, v50
	ds_store_b32 v53, v56 offset:32
.LBB14_239:
	s_or_b32 exec_lo, exec_lo, s0
	v_xor_b32_e32 v49, -1, v49
	; wave barrier
	s_delay_alu instid0(VALU_DEP_1) | instskip(NEXT) | instid1(VALU_DEP_1)
	v_and_b32_e32 v56, 0xff, v49
	v_lshrrev_b32_e32 v56, s60, v56
	s_delay_alu instid0(VALU_DEP_1) | instskip(NEXT) | instid1(VALU_DEP_1)
	v_and_b32_e32 v56, s1, v56
	v_and_b32_e32 v57, 1, v56
	v_lshlrev_b32_e32 v58, 30, v56
	v_lshlrev_b32_e32 v60, 29, v56
	;; [unrolled: 1-line block ×4, first 2 shown]
	v_add_co_u32 v57, s0, v57, -1
	s_delay_alu instid0(VALU_DEP_1)
	v_cndmask_b32_e64 v62, 0, 1, s0
	v_not_b32_e32 v66, v58
	v_cmp_gt_i32_e64 s0, 0, v58
	v_not_b32_e32 v58, v60
	v_lshlrev_b32_e32 v64, 26, v56
	v_cmp_ne_u32_e32 vcc_lo, 0, v62
	v_ashrrev_i32_e32 v66, 31, v66
	v_lshlrev_b32_e32 v65, 25, v56
	v_ashrrev_i32_e32 v58, 31, v58
	v_lshlrev_b32_e32 v62, 24, v56
	v_xor_b32_e32 v57, vcc_lo, v57
	v_cmp_gt_i32_e32 vcc_lo, 0, v60
	v_not_b32_e32 v60, v61
	v_xor_b32_e32 v66, s0, v66
	v_cmp_gt_i32_e64 s0, 0, v61
	v_and_b32_e32 v57, exec_lo, v57
	v_not_b32_e32 v61, v63
	v_ashrrev_i32_e32 v60, 31, v60
	v_xor_b32_e32 v58, vcc_lo, v58
	v_cmp_gt_i32_e32 vcc_lo, 0, v63
	v_and_b32_e32 v57, v57, v66
	v_not_b32_e32 v63, v64
	v_ashrrev_i32_e32 v61, 31, v61
	v_xor_b32_e32 v60, s0, v60
	v_cmp_gt_i32_e64 s0, 0, v64
	v_and_b32_e32 v57, v57, v58
	v_not_b32_e32 v58, v65
	v_ashrrev_i32_e32 v63, 31, v63
	v_xor_b32_e32 v61, vcc_lo, v61
	v_cmp_gt_i32_e32 vcc_lo, 0, v65
	v_and_b32_e32 v57, v57, v60
	v_not_b32_e32 v60, v62
	v_ashrrev_i32_e32 v58, 31, v58
	v_xor_b32_e32 v63, s0, v63
	v_mul_u32_u24_e32 v56, 9, v56
	v_and_b32_e32 v57, v57, v61
	v_cmp_gt_i32_e64 s0, 0, v62
	v_ashrrev_i32_e32 v60, 31, v60
	v_xor_b32_e32 v61, vcc_lo, v58
	v_add_lshl_u32 v58, v3, v56, 2
	v_and_b32_e32 v57, v57, v63
	s_delay_alu instid0(VALU_DEP_4) | instskip(SKIP_2) | instid1(VALU_DEP_1)
	v_xor_b32_e32 v60, s0, v60
	ds_load_b32 v56, v58 offset:32
	v_and_b32_e32 v57, v57, v61
	; wave barrier
	v_and_b32_e32 v60, v57, v60
	s_delay_alu instid0(VALU_DEP_1) | instskip(SKIP_1) | instid1(VALU_DEP_2)
	v_mbcnt_lo_u32_b32 v57, v60, 0
	v_cmp_ne_u32_e64 s0, 0, v60
	v_cmp_eq_u32_e32 vcc_lo, 0, v57
	s_delay_alu instid0(VALU_DEP_2) | instskip(NEXT) | instid1(SALU_CYCLE_1)
	s_and_b32 s3, s0, vcc_lo
	s_and_saveexec_b32 s0, s3
	s_cbranch_execz .LBB14_241
; %bb.240:
	s_waitcnt lgkmcnt(0)
	v_bcnt_u32_b32 v60, v60, v56
	ds_store_b32 v58, v60 offset:32
.LBB14_241:
	s_or_b32 exec_lo, exec_lo, s0
	v_xor_b32_e32 v55, -1, v55
	; wave barrier
	s_delay_alu instid0(VALU_DEP_1) | instskip(NEXT) | instid1(VALU_DEP_1)
	v_and_b32_e32 v60, 0xff, v55
	v_lshrrev_b32_e32 v60, s60, v60
	s_delay_alu instid0(VALU_DEP_1) | instskip(NEXT) | instid1(VALU_DEP_1)
	v_and_b32_e32 v60, s1, v60
	v_and_b32_e32 v61, 1, v60
	v_lshlrev_b32_e32 v62, 30, v60
	v_lshlrev_b32_e32 v63, 29, v60
	;; [unrolled: 1-line block ×4, first 2 shown]
	v_add_co_u32 v61, s0, v61, -1
	s_delay_alu instid0(VALU_DEP_1)
	v_cndmask_b32_e64 v65, 0, 1, s0
	v_not_b32_e32 v69, v62
	v_cmp_gt_i32_e64 s0, 0, v62
	v_not_b32_e32 v62, v63
	v_lshlrev_b32_e32 v67, 26, v60
	v_cmp_ne_u32_e32 vcc_lo, 0, v65
	v_ashrrev_i32_e32 v69, 31, v69
	v_lshlrev_b32_e32 v68, 25, v60
	v_ashrrev_i32_e32 v62, 31, v62
	v_lshlrev_b32_e32 v65, 24, v60
	v_xor_b32_e32 v61, vcc_lo, v61
	v_cmp_gt_i32_e32 vcc_lo, 0, v63
	v_not_b32_e32 v63, v64
	v_xor_b32_e32 v69, s0, v69
	v_cmp_gt_i32_e64 s0, 0, v64
	v_and_b32_e32 v61, exec_lo, v61
	v_not_b32_e32 v64, v66
	v_ashrrev_i32_e32 v63, 31, v63
	v_xor_b32_e32 v62, vcc_lo, v62
	v_cmp_gt_i32_e32 vcc_lo, 0, v66
	v_and_b32_e32 v61, v61, v69
	v_not_b32_e32 v66, v67
	v_ashrrev_i32_e32 v64, 31, v64
	v_xor_b32_e32 v63, s0, v63
	v_cmp_gt_i32_e64 s0, 0, v67
	v_and_b32_e32 v61, v61, v62
	v_not_b32_e32 v62, v68
	v_ashrrev_i32_e32 v66, 31, v66
	v_xor_b32_e32 v64, vcc_lo, v64
	v_cmp_gt_i32_e32 vcc_lo, 0, v68
	v_and_b32_e32 v61, v61, v63
	v_not_b32_e32 v63, v65
	v_ashrrev_i32_e32 v62, 31, v62
	v_xor_b32_e32 v66, s0, v66
	v_mul_u32_u24_e32 v60, 9, v60
	v_and_b32_e32 v61, v61, v64
	v_cmp_gt_i32_e64 s0, 0, v65
	v_ashrrev_i32_e32 v63, 31, v63
	v_xor_b32_e32 v64, vcc_lo, v62
	v_add_lshl_u32 v62, v3, v60, 2
	v_and_b32_e32 v61, v61, v66
	s_delay_alu instid0(VALU_DEP_4) | instskip(SKIP_2) | instid1(VALU_DEP_1)
	v_xor_b32_e32 v63, s0, v63
	ds_load_b32 v60, v62 offset:32
	v_and_b32_e32 v61, v61, v64
	; wave barrier
	v_and_b32_e32 v63, v61, v63
	s_delay_alu instid0(VALU_DEP_1) | instskip(SKIP_1) | instid1(VALU_DEP_2)
	v_mbcnt_lo_u32_b32 v61, v63, 0
	v_cmp_ne_u32_e64 s0, 0, v63
	v_cmp_eq_u32_e32 vcc_lo, 0, v61
	s_delay_alu instid0(VALU_DEP_2) | instskip(NEXT) | instid1(SALU_CYCLE_1)
	s_and_b32 s3, s0, vcc_lo
	s_and_saveexec_b32 s0, s3
	s_cbranch_execz .LBB14_243
; %bb.242:
	s_waitcnt lgkmcnt(0)
	v_bcnt_u32_b32 v63, v63, v60
	ds_store_b32 v62, v63 offset:32
.LBB14_243:
	s_or_b32 exec_lo, exec_lo, s0
	v_xor_b32_e32 v59, -1, v59
	; wave barrier
	s_delay_alu instid0(VALU_DEP_1) | instskip(NEXT) | instid1(VALU_DEP_1)
	v_and_b32_e32 v63, 0xff, v59
	v_lshrrev_b32_e32 v63, s60, v63
	s_delay_alu instid0(VALU_DEP_1) | instskip(NEXT) | instid1(VALU_DEP_1)
	v_and_b32_e32 v63, s1, v63
	v_and_b32_e32 v64, 1, v63
	v_lshlrev_b32_e32 v65, 30, v63
	v_lshlrev_b32_e32 v66, 29, v63
	;; [unrolled: 1-line block ×4, first 2 shown]
	v_add_co_u32 v64, s0, v64, -1
	s_delay_alu instid0(VALU_DEP_1)
	v_cndmask_b32_e64 v68, 0, 1, s0
	v_not_b32_e32 v72, v65
	v_cmp_gt_i32_e64 s0, 0, v65
	v_not_b32_e32 v65, v66
	v_lshlrev_b32_e32 v70, 26, v63
	v_cmp_ne_u32_e32 vcc_lo, 0, v68
	v_ashrrev_i32_e32 v72, 31, v72
	v_lshlrev_b32_e32 v71, 25, v63
	v_ashrrev_i32_e32 v65, 31, v65
	v_lshlrev_b32_e32 v68, 24, v63
	v_xor_b32_e32 v64, vcc_lo, v64
	v_cmp_gt_i32_e32 vcc_lo, 0, v66
	v_not_b32_e32 v66, v67
	v_xor_b32_e32 v72, s0, v72
	v_cmp_gt_i32_e64 s0, 0, v67
	v_and_b32_e32 v64, exec_lo, v64
	v_not_b32_e32 v67, v69
	v_ashrrev_i32_e32 v66, 31, v66
	v_xor_b32_e32 v65, vcc_lo, v65
	v_cmp_gt_i32_e32 vcc_lo, 0, v69
	v_and_b32_e32 v64, v64, v72
	v_not_b32_e32 v69, v70
	v_ashrrev_i32_e32 v67, 31, v67
	v_xor_b32_e32 v66, s0, v66
	v_cmp_gt_i32_e64 s0, 0, v70
	v_and_b32_e32 v64, v64, v65
	v_not_b32_e32 v65, v71
	v_ashrrev_i32_e32 v69, 31, v69
	v_xor_b32_e32 v67, vcc_lo, v67
	v_cmp_gt_i32_e32 vcc_lo, 0, v71
	v_and_b32_e32 v64, v64, v66
	v_not_b32_e32 v66, v68
	v_ashrrev_i32_e32 v65, 31, v65
	v_xor_b32_e32 v69, s0, v69
	v_mul_u32_u24_e32 v63, 9, v63
	v_and_b32_e32 v64, v64, v67
	v_cmp_gt_i32_e64 s0, 0, v68
	v_ashrrev_i32_e32 v66, 31, v66
	v_xor_b32_e32 v67, vcc_lo, v65
	v_add_lshl_u32 v65, v3, v63, 2
	v_and_b32_e32 v64, v64, v69
	s_delay_alu instid0(VALU_DEP_4) | instskip(SKIP_2) | instid1(VALU_DEP_1)
	v_xor_b32_e32 v66, s0, v66
	ds_load_b32 v63, v65 offset:32
	v_and_b32_e32 v64, v64, v67
	; wave barrier
	v_and_b32_e32 v66, v64, v66
	s_delay_alu instid0(VALU_DEP_1) | instskip(SKIP_1) | instid1(VALU_DEP_2)
	v_mbcnt_lo_u32_b32 v64, v66, 0
	v_cmp_ne_u32_e64 s0, 0, v66
	v_cmp_eq_u32_e32 vcc_lo, 0, v64
	s_delay_alu instid0(VALU_DEP_2) | instskip(NEXT) | instid1(SALU_CYCLE_1)
	s_and_b32 s3, s0, vcc_lo
	s_and_saveexec_b32 s0, s3
	s_cbranch_execz .LBB14_245
; %bb.244:
	s_waitcnt lgkmcnt(0)
	v_bcnt_u32_b32 v66, v66, v63
	ds_store_b32 v65, v66 offset:32
.LBB14_245:
	s_or_b32 exec_lo, exec_lo, s0
	v_xor_b32_e32 v54, -1, v54
	; wave barrier
	s_delay_alu instid0(VALU_DEP_1) | instskip(NEXT) | instid1(VALU_DEP_1)
	v_and_b32_e32 v66, 0xff, v54
	v_lshrrev_b32_e32 v66, s60, v66
	s_delay_alu instid0(VALU_DEP_1) | instskip(NEXT) | instid1(VALU_DEP_1)
	v_and_b32_e32 v66, s1, v66
	v_and_b32_e32 v67, 1, v66
	v_lshlrev_b32_e32 v68, 30, v66
	v_lshlrev_b32_e32 v69, 29, v66
	;; [unrolled: 1-line block ×4, first 2 shown]
	v_add_co_u32 v67, s0, v67, -1
	s_delay_alu instid0(VALU_DEP_1)
	v_cndmask_b32_e64 v71, 0, 1, s0
	v_not_b32_e32 v75, v68
	v_cmp_gt_i32_e64 s0, 0, v68
	v_not_b32_e32 v68, v69
	v_lshlrev_b32_e32 v73, 26, v66
	v_cmp_ne_u32_e32 vcc_lo, 0, v71
	v_ashrrev_i32_e32 v75, 31, v75
	v_lshlrev_b32_e32 v74, 25, v66
	v_ashrrev_i32_e32 v68, 31, v68
	v_lshlrev_b32_e32 v71, 24, v66
	v_xor_b32_e32 v67, vcc_lo, v67
	v_cmp_gt_i32_e32 vcc_lo, 0, v69
	v_not_b32_e32 v69, v70
	v_xor_b32_e32 v75, s0, v75
	v_cmp_gt_i32_e64 s0, 0, v70
	v_and_b32_e32 v67, exec_lo, v67
	v_not_b32_e32 v70, v72
	v_ashrrev_i32_e32 v69, 31, v69
	v_xor_b32_e32 v68, vcc_lo, v68
	v_cmp_gt_i32_e32 vcc_lo, 0, v72
	v_and_b32_e32 v67, v67, v75
	v_not_b32_e32 v72, v73
	v_ashrrev_i32_e32 v70, 31, v70
	v_xor_b32_e32 v69, s0, v69
	v_cmp_gt_i32_e64 s0, 0, v73
	v_and_b32_e32 v67, v67, v68
	v_not_b32_e32 v68, v74
	v_ashrrev_i32_e32 v72, 31, v72
	v_xor_b32_e32 v70, vcc_lo, v70
	v_cmp_gt_i32_e32 vcc_lo, 0, v74
	v_and_b32_e32 v67, v67, v69
	v_not_b32_e32 v69, v71
	v_ashrrev_i32_e32 v68, 31, v68
	v_xor_b32_e32 v72, s0, v72
	v_mul_u32_u24_e32 v66, 9, v66
	v_and_b32_e32 v67, v67, v70
	v_cmp_gt_i32_e64 s0, 0, v71
	v_ashrrev_i32_e32 v69, 31, v69
	v_xor_b32_e32 v70, vcc_lo, v68
	v_add_lshl_u32 v68, v3, v66, 2
	v_and_b32_e32 v67, v67, v72
	s_delay_alu instid0(VALU_DEP_4) | instskip(SKIP_2) | instid1(VALU_DEP_1)
	v_xor_b32_e32 v69, s0, v69
	ds_load_b32 v66, v68 offset:32
	v_and_b32_e32 v67, v67, v70
	; wave barrier
	v_and_b32_e32 v69, v67, v69
	s_delay_alu instid0(VALU_DEP_1) | instskip(SKIP_1) | instid1(VALU_DEP_2)
	v_mbcnt_lo_u32_b32 v67, v69, 0
	v_cmp_ne_u32_e64 s0, 0, v69
	v_cmp_eq_u32_e32 vcc_lo, 0, v67
	s_delay_alu instid0(VALU_DEP_2) | instskip(NEXT) | instid1(SALU_CYCLE_1)
	s_and_b32 s3, s0, vcc_lo
	s_and_saveexec_b32 s0, s3
	s_cbranch_execz .LBB14_247
; %bb.246:
	s_waitcnt lgkmcnt(0)
	v_bcnt_u32_b32 v69, v69, v66
	ds_store_b32 v68, v69 offset:32
.LBB14_247:
	s_or_b32 exec_lo, exec_lo, s0
	v_xor_b32_e32 v48, -1, v48
	; wave barrier
	s_delay_alu instid0(VALU_DEP_1) | instskip(NEXT) | instid1(VALU_DEP_1)
	v_and_b32_e32 v69, 0xff, v48
	v_lshrrev_b32_e32 v69, s60, v69
	s_delay_alu instid0(VALU_DEP_1) | instskip(NEXT) | instid1(VALU_DEP_1)
	v_and_b32_e32 v69, s1, v69
	v_and_b32_e32 v70, 1, v69
	v_lshlrev_b32_e32 v71, 30, v69
	v_lshlrev_b32_e32 v72, 29, v69
	;; [unrolled: 1-line block ×4, first 2 shown]
	v_add_co_u32 v70, s0, v70, -1
	s_delay_alu instid0(VALU_DEP_1)
	v_cndmask_b32_e64 v74, 0, 1, s0
	v_not_b32_e32 v78, v71
	v_cmp_gt_i32_e64 s0, 0, v71
	v_not_b32_e32 v71, v72
	v_lshlrev_b32_e32 v76, 26, v69
	v_cmp_ne_u32_e32 vcc_lo, 0, v74
	v_ashrrev_i32_e32 v78, 31, v78
	v_lshlrev_b32_e32 v77, 25, v69
	v_ashrrev_i32_e32 v71, 31, v71
	v_lshlrev_b32_e32 v74, 24, v69
	v_xor_b32_e32 v70, vcc_lo, v70
	v_cmp_gt_i32_e32 vcc_lo, 0, v72
	v_not_b32_e32 v72, v73
	v_xor_b32_e32 v78, s0, v78
	v_cmp_gt_i32_e64 s0, 0, v73
	v_and_b32_e32 v70, exec_lo, v70
	v_not_b32_e32 v73, v75
	v_ashrrev_i32_e32 v72, 31, v72
	v_xor_b32_e32 v71, vcc_lo, v71
	v_cmp_gt_i32_e32 vcc_lo, 0, v75
	v_and_b32_e32 v70, v70, v78
	v_not_b32_e32 v75, v76
	v_ashrrev_i32_e32 v73, 31, v73
	v_xor_b32_e32 v72, s0, v72
	v_cmp_gt_i32_e64 s0, 0, v76
	v_and_b32_e32 v70, v70, v71
	v_not_b32_e32 v71, v77
	v_ashrrev_i32_e32 v75, 31, v75
	v_xor_b32_e32 v73, vcc_lo, v73
	v_cmp_gt_i32_e32 vcc_lo, 0, v77
	v_and_b32_e32 v70, v70, v72
	v_not_b32_e32 v72, v74
	v_ashrrev_i32_e32 v71, 31, v71
	v_xor_b32_e32 v75, s0, v75
	v_mul_u32_u24_e32 v69, 9, v69
	v_and_b32_e32 v70, v70, v73
	v_cmp_gt_i32_e64 s0, 0, v74
	v_ashrrev_i32_e32 v73, 31, v72
	v_xor_b32_e32 v71, vcc_lo, v71
	v_add_lshl_u32 v72, v3, v69, 2
	v_and_b32_e32 v70, v70, v75
	s_delay_alu instid0(VALU_DEP_4) | instskip(NEXT) | instid1(VALU_DEP_2)
	v_xor_b32_e32 v69, s0, v73
	v_and_b32_e32 v71, v70, v71
	ds_load_b32 v70, v72 offset:32
	; wave barrier
	v_and_b32_e32 v69, v71, v69
	s_delay_alu instid0(VALU_DEP_1) | instskip(SKIP_1) | instid1(VALU_DEP_2)
	v_mbcnt_lo_u32_b32 v71, v69, 0
	v_cmp_ne_u32_e64 s0, 0, v69
	v_cmp_eq_u32_e32 vcc_lo, 0, v71
	s_delay_alu instid0(VALU_DEP_2) | instskip(NEXT) | instid1(SALU_CYCLE_1)
	s_and_b32 s3, s0, vcc_lo
	s_and_saveexec_b32 s0, s3
	s_cbranch_execz .LBB14_249
; %bb.248:
	s_waitcnt lgkmcnt(0)
	v_bcnt_u32_b32 v69, v69, v70
	ds_store_b32 v72, v69 offset:32
.LBB14_249:
	s_or_b32 exec_lo, exec_lo, s0
	v_xor_b32_e32 v69, -1, v9
	; wave barrier
	s_delay_alu instid0(VALU_DEP_1) | instskip(NEXT) | instid1(VALU_DEP_1)
	v_and_b32_e32 v9, 0xff, v69
	v_lshrrev_b32_e32 v9, s60, v9
	s_delay_alu instid0(VALU_DEP_1) | instskip(NEXT) | instid1(VALU_DEP_1)
	v_and_b32_e32 v9, s1, v9
	v_and_b32_e32 v73, 1, v9
	v_lshlrev_b32_e32 v74, 30, v9
	v_lshlrev_b32_e32 v75, 29, v9
	;; [unrolled: 1-line block ×4, first 2 shown]
	v_add_co_u32 v73, s0, v73, -1
	s_delay_alu instid0(VALU_DEP_1)
	v_cndmask_b32_e64 v77, 0, 1, s0
	v_not_b32_e32 v81, v74
	v_cmp_gt_i32_e64 s0, 0, v74
	v_not_b32_e32 v74, v75
	v_lshlrev_b32_e32 v79, 26, v9
	v_cmp_ne_u32_e32 vcc_lo, 0, v77
	v_ashrrev_i32_e32 v81, 31, v81
	v_lshlrev_b32_e32 v80, 25, v9
	v_ashrrev_i32_e32 v74, 31, v74
	v_lshlrev_b32_e32 v77, 24, v9
	v_xor_b32_e32 v73, vcc_lo, v73
	v_cmp_gt_i32_e32 vcc_lo, 0, v75
	v_not_b32_e32 v75, v76
	v_xor_b32_e32 v81, s0, v81
	v_cmp_gt_i32_e64 s0, 0, v76
	v_and_b32_e32 v73, exec_lo, v73
	v_not_b32_e32 v76, v78
	v_ashrrev_i32_e32 v75, 31, v75
	v_xor_b32_e32 v74, vcc_lo, v74
	v_cmp_gt_i32_e32 vcc_lo, 0, v78
	v_and_b32_e32 v73, v73, v81
	v_not_b32_e32 v78, v79
	v_ashrrev_i32_e32 v76, 31, v76
	v_xor_b32_e32 v75, s0, v75
	v_cmp_gt_i32_e64 s0, 0, v79
	v_and_b32_e32 v73, v73, v74
	v_not_b32_e32 v74, v80
	v_ashrrev_i32_e32 v78, 31, v78
	v_xor_b32_e32 v76, vcc_lo, v76
	v_cmp_gt_i32_e32 vcc_lo, 0, v80
	v_and_b32_e32 v73, v73, v75
	v_not_b32_e32 v75, v77
	v_ashrrev_i32_e32 v74, 31, v74
	v_xor_b32_e32 v78, s0, v78
	v_mul_u32_u24_e32 v9, 9, v9
	v_and_b32_e32 v73, v73, v76
	v_cmp_gt_i32_e64 s0, 0, v77
	v_ashrrev_i32_e32 v75, 31, v75
	v_xor_b32_e32 v74, vcc_lo, v74
	v_add_lshl_u32 v76, v3, v9, 2
	v_and_b32_e32 v73, v73, v78
	s_delay_alu instid0(VALU_DEP_4) | instskip(NEXT) | instid1(VALU_DEP_2)
	v_xor_b32_e32 v9, s0, v75
	v_and_b32_e32 v73, v73, v74
	ds_load_b32 v74, v76 offset:32
	; wave barrier
	v_and_b32_e32 v9, v73, v9
	s_delay_alu instid0(VALU_DEP_1) | instskip(SKIP_1) | instid1(VALU_DEP_2)
	v_mbcnt_lo_u32_b32 v75, v9, 0
	v_cmp_ne_u32_e64 s0, 0, v9
	v_cmp_eq_u32_e32 vcc_lo, 0, v75
	s_delay_alu instid0(VALU_DEP_2) | instskip(NEXT) | instid1(SALU_CYCLE_1)
	s_and_b32 s3, s0, vcc_lo
	s_and_saveexec_b32 s0, s3
	s_cbranch_execz .LBB14_251
; %bb.250:
	s_waitcnt lgkmcnt(0)
	v_bcnt_u32_b32 v9, v9, v74
	ds_store_b32 v76, v9 offset:32
.LBB14_251:
	s_or_b32 exec_lo, exec_lo, s0
	v_xor_b32_e32 v73, -1, v8
	; wave barrier
	s_delay_alu instid0(VALU_DEP_1) | instskip(NEXT) | instid1(VALU_DEP_1)
	v_and_b32_e32 v8, 0xff, v73
	v_lshrrev_b32_e32 v8, s60, v8
	s_delay_alu instid0(VALU_DEP_1) | instskip(NEXT) | instid1(VALU_DEP_1)
	v_and_b32_e32 v8, s1, v8
	v_and_b32_e32 v9, 1, v8
	v_lshlrev_b32_e32 v77, 30, v8
	v_lshlrev_b32_e32 v78, 29, v8
	;; [unrolled: 1-line block ×4, first 2 shown]
	v_add_co_u32 v9, s0, v9, -1
	s_delay_alu instid0(VALU_DEP_1)
	v_cndmask_b32_e64 v80, 0, 1, s0
	v_not_b32_e32 v84, v77
	v_cmp_gt_i32_e64 s0, 0, v77
	v_not_b32_e32 v77, v78
	v_lshlrev_b32_e32 v82, 26, v8
	v_cmp_ne_u32_e32 vcc_lo, 0, v80
	v_ashrrev_i32_e32 v84, 31, v84
	v_lshlrev_b32_e32 v83, 25, v8
	v_ashrrev_i32_e32 v77, 31, v77
	v_lshlrev_b32_e32 v80, 24, v8
	v_xor_b32_e32 v9, vcc_lo, v9
	v_cmp_gt_i32_e32 vcc_lo, 0, v78
	v_not_b32_e32 v78, v79
	v_xor_b32_e32 v84, s0, v84
	v_cmp_gt_i32_e64 s0, 0, v79
	v_and_b32_e32 v9, exec_lo, v9
	v_not_b32_e32 v79, v81
	v_ashrrev_i32_e32 v78, 31, v78
	v_xor_b32_e32 v77, vcc_lo, v77
	v_cmp_gt_i32_e32 vcc_lo, 0, v81
	v_and_b32_e32 v9, v9, v84
	v_not_b32_e32 v81, v82
	v_ashrrev_i32_e32 v79, 31, v79
	v_xor_b32_e32 v78, s0, v78
	v_cmp_gt_i32_e64 s0, 0, v82
	v_and_b32_e32 v9, v9, v77
	v_not_b32_e32 v77, v83
	v_ashrrev_i32_e32 v81, 31, v81
	v_xor_b32_e32 v79, vcc_lo, v79
	v_cmp_gt_i32_e32 vcc_lo, 0, v83
	v_and_b32_e32 v9, v9, v78
	v_not_b32_e32 v78, v80
	v_ashrrev_i32_e32 v77, 31, v77
	v_xor_b32_e32 v81, s0, v81
	v_mul_u32_u24_e32 v8, 9, v8
	v_and_b32_e32 v9, v9, v79
	v_cmp_gt_i32_e64 s0, 0, v80
	v_ashrrev_i32_e32 v78, 31, v78
	v_xor_b32_e32 v77, vcc_lo, v77
	v_add_lshl_u32 v80, v3, v8, 2
	v_and_b32_e32 v9, v9, v81
	s_delay_alu instid0(VALU_DEP_4) | instskip(SKIP_2) | instid1(VALU_DEP_1)
	v_xor_b32_e32 v8, s0, v78
	ds_load_b32 v78, v80 offset:32
	v_and_b32_e32 v9, v9, v77
	; wave barrier
	v_and_b32_e32 v8, v9, v8
	s_delay_alu instid0(VALU_DEP_1) | instskip(SKIP_1) | instid1(VALU_DEP_2)
	v_mbcnt_lo_u32_b32 v79, v8, 0
	v_cmp_ne_u32_e64 s0, 0, v8
	v_cmp_eq_u32_e32 vcc_lo, 0, v79
	s_delay_alu instid0(VALU_DEP_2) | instskip(NEXT) | instid1(SALU_CYCLE_1)
	s_and_b32 s3, s0, vcc_lo
	s_and_saveexec_b32 s0, s3
	s_cbranch_execz .LBB14_253
; %bb.252:
	s_waitcnt lgkmcnt(0)
	v_bcnt_u32_b32 v8, v8, v78
	ds_store_b32 v80, v8 offset:32
.LBB14_253:
	s_or_b32 exec_lo, exec_lo, s0
	v_xor_b32_e32 v77, -1, v7
	; wave barrier
	s_delay_alu instid0(VALU_DEP_1) | instskip(NEXT) | instid1(VALU_DEP_1)
	v_and_b32_e32 v7, 0xff, v77
	v_lshrrev_b32_e32 v7, s60, v7
	s_delay_alu instid0(VALU_DEP_1) | instskip(NEXT) | instid1(VALU_DEP_1)
	v_and_b32_e32 v7, s1, v7
	v_and_b32_e32 v8, 1, v7
	v_lshlrev_b32_e32 v9, 30, v7
	v_lshlrev_b32_e32 v81, 29, v7
	;; [unrolled: 1-line block ×4, first 2 shown]
	v_add_co_u32 v8, s0, v8, -1
	s_delay_alu instid0(VALU_DEP_1)
	v_cndmask_b32_e64 v83, 0, 1, s0
	v_not_b32_e32 v87, v9
	v_cmp_gt_i32_e64 s0, 0, v9
	v_not_b32_e32 v9, v81
	v_lshlrev_b32_e32 v85, 26, v7
	v_cmp_ne_u32_e32 vcc_lo, 0, v83
	v_ashrrev_i32_e32 v87, 31, v87
	v_lshlrev_b32_e32 v86, 25, v7
	v_ashrrev_i32_e32 v9, 31, v9
	v_lshlrev_b32_e32 v83, 24, v7
	v_xor_b32_e32 v8, vcc_lo, v8
	v_cmp_gt_i32_e32 vcc_lo, 0, v81
	v_not_b32_e32 v81, v82
	v_xor_b32_e32 v87, s0, v87
	v_cmp_gt_i32_e64 s0, 0, v82
	v_and_b32_e32 v8, exec_lo, v8
	v_not_b32_e32 v82, v84
	v_ashrrev_i32_e32 v81, 31, v81
	v_xor_b32_e32 v9, vcc_lo, v9
	v_cmp_gt_i32_e32 vcc_lo, 0, v84
	v_and_b32_e32 v8, v8, v87
	v_not_b32_e32 v84, v85
	v_ashrrev_i32_e32 v82, 31, v82
	v_xor_b32_e32 v81, s0, v81
	v_cmp_gt_i32_e64 s0, 0, v85
	v_and_b32_e32 v8, v8, v9
	v_not_b32_e32 v9, v86
	v_ashrrev_i32_e32 v84, 31, v84
	v_xor_b32_e32 v82, vcc_lo, v82
	v_cmp_gt_i32_e32 vcc_lo, 0, v86
	v_and_b32_e32 v8, v8, v81
	v_not_b32_e32 v81, v83
	v_ashrrev_i32_e32 v9, 31, v9
	v_xor_b32_e32 v84, s0, v84
	v_mul_u32_u24_e32 v7, 9, v7
	v_and_b32_e32 v8, v8, v82
	v_cmp_gt_i32_e64 s0, 0, v83
	v_ashrrev_i32_e32 v81, 31, v81
	v_xor_b32_e32 v9, vcc_lo, v9
	s_delay_alu instid0(VALU_DEP_4) | instskip(SKIP_1) | instid1(VALU_DEP_4)
	v_and_b32_e32 v8, v8, v84
	v_add_lshl_u32 v84, v3, v7, 2
	v_xor_b32_e32 v7, s0, v81
	s_delay_alu instid0(VALU_DEP_3) | instskip(SKIP_2) | instid1(VALU_DEP_1)
	v_and_b32_e32 v8, v8, v9
	ds_load_b32 v82, v84 offset:32
	; wave barrier
	v_and_b32_e32 v7, v8, v7
	v_mbcnt_lo_u32_b32 v83, v7, 0
	v_cmp_ne_u32_e64 s0, 0, v7
	s_delay_alu instid0(VALU_DEP_2) | instskip(NEXT) | instid1(VALU_DEP_2)
	v_cmp_eq_u32_e32 vcc_lo, 0, v83
	s_and_b32 s3, s0, vcc_lo
	s_delay_alu instid0(SALU_CYCLE_1)
	s_and_saveexec_b32 s0, s3
	s_cbranch_execz .LBB14_255
; %bb.254:
	s_waitcnt lgkmcnt(0)
	v_bcnt_u32_b32 v7, v7, v82
	ds_store_b32 v84, v7 offset:32
.LBB14_255:
	s_or_b32 exec_lo, exec_lo, s0
	v_xor_b32_e32 v81, -1, v6
	; wave barrier
	s_delay_alu instid0(VALU_DEP_1) | instskip(NEXT) | instid1(VALU_DEP_1)
	v_and_b32_e32 v6, 0xff, v81
	v_lshrrev_b32_e32 v6, s60, v6
	s_delay_alu instid0(VALU_DEP_1) | instskip(NEXT) | instid1(VALU_DEP_1)
	v_and_b32_e32 v6, s1, v6
	v_and_b32_e32 v7, 1, v6
	v_lshlrev_b32_e32 v8, 30, v6
	v_lshlrev_b32_e32 v9, 29, v6
	;; [unrolled: 1-line block ×4, first 2 shown]
	v_add_co_u32 v7, s0, v7, -1
	s_delay_alu instid0(VALU_DEP_1)
	v_cndmask_b32_e64 v86, 0, 1, s0
	v_not_b32_e32 v90, v8
	v_cmp_gt_i32_e64 s0, 0, v8
	v_not_b32_e32 v8, v9
	v_lshlrev_b32_e32 v88, 26, v6
	v_cmp_ne_u32_e32 vcc_lo, 0, v86
	v_ashrrev_i32_e32 v90, 31, v90
	v_lshlrev_b32_e32 v89, 25, v6
	v_ashrrev_i32_e32 v8, 31, v8
	v_lshlrev_b32_e32 v86, 24, v6
	v_xor_b32_e32 v7, vcc_lo, v7
	v_cmp_gt_i32_e32 vcc_lo, 0, v9
	v_not_b32_e32 v9, v85
	v_xor_b32_e32 v90, s0, v90
	v_cmp_gt_i32_e64 s0, 0, v85
	v_and_b32_e32 v7, exec_lo, v7
	v_not_b32_e32 v85, v87
	v_ashrrev_i32_e32 v9, 31, v9
	v_xor_b32_e32 v8, vcc_lo, v8
	v_cmp_gt_i32_e32 vcc_lo, 0, v87
	v_and_b32_e32 v7, v7, v90
	v_not_b32_e32 v87, v88
	v_ashrrev_i32_e32 v85, 31, v85
	v_xor_b32_e32 v9, s0, v9
	v_cmp_gt_i32_e64 s0, 0, v88
	v_and_b32_e32 v7, v7, v8
	v_not_b32_e32 v8, v89
	v_ashrrev_i32_e32 v87, 31, v87
	v_xor_b32_e32 v85, vcc_lo, v85
	v_cmp_gt_i32_e32 vcc_lo, 0, v89
	v_and_b32_e32 v7, v7, v9
	v_not_b32_e32 v9, v86
	v_ashrrev_i32_e32 v8, 31, v8
	v_xor_b32_e32 v87, s0, v87
	v_mul_u32_u24_e32 v6, 9, v6
	v_and_b32_e32 v7, v7, v85
	v_cmp_gt_i32_e64 s0, 0, v86
	v_ashrrev_i32_e32 v9, 31, v9
	v_xor_b32_e32 v8, vcc_lo, v8
	v_add_lshl_u32 v88, v3, v6, 2
	v_and_b32_e32 v7, v7, v87
	s_delay_alu instid0(VALU_DEP_4) | instskip(SKIP_2) | instid1(VALU_DEP_1)
	v_xor_b32_e32 v6, s0, v9
	ds_load_b32 v86, v88 offset:32
	v_and_b32_e32 v7, v7, v8
	; wave barrier
	v_and_b32_e32 v6, v7, v6
	s_delay_alu instid0(VALU_DEP_1) | instskip(SKIP_1) | instid1(VALU_DEP_2)
	v_mbcnt_lo_u32_b32 v87, v6, 0
	v_cmp_ne_u32_e64 s0, 0, v6
	v_cmp_eq_u32_e32 vcc_lo, 0, v87
	s_delay_alu instid0(VALU_DEP_2) | instskip(NEXT) | instid1(SALU_CYCLE_1)
	s_and_b32 s3, s0, vcc_lo
	s_and_saveexec_b32 s0, s3
	s_cbranch_execz .LBB14_257
; %bb.256:
	s_waitcnt lgkmcnt(0)
	v_bcnt_u32_b32 v6, v6, v86
	ds_store_b32 v88, v6 offset:32
.LBB14_257:
	s_or_b32 exec_lo, exec_lo, s0
	v_xor_b32_e32 v85, -1, v5
	; wave barrier
	s_delay_alu instid0(VALU_DEP_1) | instskip(NEXT) | instid1(VALU_DEP_1)
	v_and_b32_e32 v5, 0xff, v85
	v_lshrrev_b32_e32 v5, s60, v5
	s_delay_alu instid0(VALU_DEP_1) | instskip(NEXT) | instid1(VALU_DEP_1)
	v_and_b32_e32 v5, s1, v5
	v_and_b32_e32 v6, 1, v5
	v_lshlrev_b32_e32 v7, 30, v5
	v_lshlrev_b32_e32 v8, 29, v5
	;; [unrolled: 1-line block ×4, first 2 shown]
	v_add_co_u32 v6, s0, v6, -1
	s_delay_alu instid0(VALU_DEP_1)
	v_cndmask_b32_e64 v89, 0, 1, s0
	v_not_b32_e32 v93, v7
	v_cmp_gt_i32_e64 s0, 0, v7
	v_not_b32_e32 v7, v8
	v_lshlrev_b32_e32 v91, 26, v5
	v_cmp_ne_u32_e32 vcc_lo, 0, v89
	v_ashrrev_i32_e32 v93, 31, v93
	v_lshlrev_b32_e32 v92, 25, v5
	v_ashrrev_i32_e32 v7, 31, v7
	v_lshlrev_b32_e32 v89, 24, v5
	v_xor_b32_e32 v6, vcc_lo, v6
	v_cmp_gt_i32_e32 vcc_lo, 0, v8
	v_not_b32_e32 v8, v9
	v_xor_b32_e32 v93, s0, v93
	v_cmp_gt_i32_e64 s0, 0, v9
	v_and_b32_e32 v6, exec_lo, v6
	v_not_b32_e32 v9, v90
	v_ashrrev_i32_e32 v8, 31, v8
	v_xor_b32_e32 v7, vcc_lo, v7
	v_cmp_gt_i32_e32 vcc_lo, 0, v90
	v_and_b32_e32 v6, v6, v93
	v_not_b32_e32 v90, v91
	v_ashrrev_i32_e32 v9, 31, v9
	v_xor_b32_e32 v8, s0, v8
	v_cmp_gt_i32_e64 s0, 0, v91
	v_and_b32_e32 v6, v6, v7
	v_not_b32_e32 v7, v92
	v_ashrrev_i32_e32 v90, 31, v90
	v_xor_b32_e32 v9, vcc_lo, v9
	v_cmp_gt_i32_e32 vcc_lo, 0, v92
	v_and_b32_e32 v6, v6, v8
	v_not_b32_e32 v8, v89
	v_ashrrev_i32_e32 v7, 31, v7
	v_xor_b32_e32 v90, s0, v90
	v_mul_u32_u24_e32 v5, 9, v5
	v_and_b32_e32 v6, v6, v9
	v_cmp_gt_i32_e64 s0, 0, v89
	v_ashrrev_i32_e32 v8, 31, v8
	v_xor_b32_e32 v7, vcc_lo, v7
	v_add_lshl_u32 v92, v3, v5, 2
	v_and_b32_e32 v6, v6, v90
	s_delay_alu instid0(VALU_DEP_4) | instskip(SKIP_2) | instid1(VALU_DEP_1)
	v_xor_b32_e32 v5, s0, v8
	ds_load_b32 v90, v92 offset:32
	v_and_b32_e32 v6, v6, v7
	; wave barrier
	v_and_b32_e32 v5, v6, v5
	s_delay_alu instid0(VALU_DEP_1) | instskip(SKIP_1) | instid1(VALU_DEP_2)
	v_mbcnt_lo_u32_b32 v91, v5, 0
	v_cmp_ne_u32_e64 s0, 0, v5
	v_cmp_eq_u32_e32 vcc_lo, 0, v91
	s_delay_alu instid0(VALU_DEP_2) | instskip(NEXT) | instid1(SALU_CYCLE_1)
	s_and_b32 s3, s0, vcc_lo
	s_and_saveexec_b32 s0, s3
	s_cbranch_execz .LBB14_259
; %bb.258:
	s_waitcnt lgkmcnt(0)
	v_bcnt_u32_b32 v5, v5, v90
	ds_store_b32 v92, v5 offset:32
.LBB14_259:
	s_or_b32 exec_lo, exec_lo, s0
	v_xor_b32_e32 v89, -1, v4
	; wave barrier
	s_delay_alu instid0(VALU_DEP_1) | instskip(NEXT) | instid1(VALU_DEP_1)
	v_and_b32_e32 v4, 0xff, v89
	v_lshrrev_b32_e32 v4, s60, v4
	s_delay_alu instid0(VALU_DEP_1) | instskip(NEXT) | instid1(VALU_DEP_1)
	v_and_b32_e32 v4, s1, v4
	v_and_b32_e32 v5, 1, v4
	v_lshlrev_b32_e32 v6, 30, v4
	v_lshlrev_b32_e32 v7, 29, v4
	;; [unrolled: 1-line block ×4, first 2 shown]
	v_add_co_u32 v5, s0, v5, -1
	s_delay_alu instid0(VALU_DEP_1)
	v_cndmask_b32_e64 v9, 0, 1, s0
	v_not_b32_e32 v96, v6
	v_cmp_gt_i32_e64 s0, 0, v6
	v_not_b32_e32 v6, v7
	v_lshlrev_b32_e32 v94, 26, v4
	v_cmp_ne_u32_e32 vcc_lo, 0, v9
	v_ashrrev_i32_e32 v96, 31, v96
	v_lshlrev_b32_e32 v95, 25, v4
	v_ashrrev_i32_e32 v6, 31, v6
	v_lshlrev_b32_e32 v9, 24, v4
	v_xor_b32_e32 v5, vcc_lo, v5
	v_cmp_gt_i32_e32 vcc_lo, 0, v7
	v_not_b32_e32 v7, v8
	v_xor_b32_e32 v96, s0, v96
	v_cmp_gt_i32_e64 s0, 0, v8
	v_and_b32_e32 v5, exec_lo, v5
	v_not_b32_e32 v8, v93
	v_ashrrev_i32_e32 v7, 31, v7
	v_xor_b32_e32 v6, vcc_lo, v6
	v_cmp_gt_i32_e32 vcc_lo, 0, v93
	v_and_b32_e32 v5, v5, v96
	v_not_b32_e32 v93, v94
	v_ashrrev_i32_e32 v8, 31, v8
	v_xor_b32_e32 v7, s0, v7
	v_cmp_gt_i32_e64 s0, 0, v94
	v_and_b32_e32 v5, v5, v6
	v_not_b32_e32 v6, v95
	v_ashrrev_i32_e32 v93, 31, v93
	v_xor_b32_e32 v8, vcc_lo, v8
	v_cmp_gt_i32_e32 vcc_lo, 0, v95
	v_and_b32_e32 v5, v5, v7
	v_not_b32_e32 v7, v9
	v_ashrrev_i32_e32 v6, 31, v6
	v_xor_b32_e32 v93, s0, v93
	v_mul_u32_u24_e32 v4, 9, v4
	v_and_b32_e32 v5, v5, v8
	v_cmp_gt_i32_e64 s0, 0, v9
	v_ashrrev_i32_e32 v7, 31, v7
	v_xor_b32_e32 v6, vcc_lo, v6
	v_add_lshl_u32 v96, v3, v4, 2
	v_and_b32_e32 v5, v5, v93
	s_delay_alu instid0(VALU_DEP_4) | instskip(SKIP_2) | instid1(VALU_DEP_1)
	v_xor_b32_e32 v4, s0, v7
	ds_load_b32 v94, v96 offset:32
	v_and_b32_e32 v5, v5, v6
	; wave barrier
	v_and_b32_e32 v4, v5, v4
	s_delay_alu instid0(VALU_DEP_1) | instskip(SKIP_1) | instid1(VALU_DEP_2)
	v_mbcnt_lo_u32_b32 v95, v4, 0
	v_cmp_ne_u32_e64 s0, 0, v4
	v_cmp_eq_u32_e32 vcc_lo, 0, v95
	s_delay_alu instid0(VALU_DEP_2) | instskip(NEXT) | instid1(SALU_CYCLE_1)
	s_and_b32 s3, s0, vcc_lo
	s_and_saveexec_b32 s0, s3
	s_cbranch_execz .LBB14_261
; %bb.260:
	s_waitcnt lgkmcnt(0)
	v_bcnt_u32_b32 v4, v4, v94
	ds_store_b32 v96, v4 offset:32
.LBB14_261:
	s_or_b32 exec_lo, exec_lo, s0
	v_xor_b32_e32 v93, -1, v2
	; wave barrier
	v_add_nc_u32_e32 v100, 32, v14
	s_delay_alu instid0(VALU_DEP_2) | instskip(NEXT) | instid1(VALU_DEP_1)
	v_and_b32_e32 v2, 0xff, v93
	v_lshrrev_b32_e32 v2, s60, v2
	s_delay_alu instid0(VALU_DEP_1) | instskip(NEXT) | instid1(VALU_DEP_1)
	v_and_b32_e32 v2, s1, v2
	v_and_b32_e32 v4, 1, v2
	v_lshlrev_b32_e32 v5, 30, v2
	v_lshlrev_b32_e32 v6, 29, v2
	;; [unrolled: 1-line block ×4, first 2 shown]
	v_add_co_u32 v4, s0, v4, -1
	s_delay_alu instid0(VALU_DEP_1)
	v_cndmask_b32_e64 v8, 0, 1, s0
	v_not_b32_e32 v99, v5
	v_cmp_gt_i32_e64 s0, 0, v5
	v_not_b32_e32 v5, v6
	v_lshlrev_b32_e32 v97, 26, v2
	v_cmp_ne_u32_e32 vcc_lo, 0, v8
	v_ashrrev_i32_e32 v99, 31, v99
	v_lshlrev_b32_e32 v98, 25, v2
	v_ashrrev_i32_e32 v5, 31, v5
	v_lshlrev_b32_e32 v8, 24, v2
	v_xor_b32_e32 v4, vcc_lo, v4
	v_cmp_gt_i32_e32 vcc_lo, 0, v6
	v_not_b32_e32 v6, v7
	v_xor_b32_e32 v99, s0, v99
	v_cmp_gt_i32_e64 s0, 0, v7
	v_and_b32_e32 v4, exec_lo, v4
	v_not_b32_e32 v7, v9
	v_ashrrev_i32_e32 v6, 31, v6
	v_xor_b32_e32 v5, vcc_lo, v5
	v_cmp_gt_i32_e32 vcc_lo, 0, v9
	v_and_b32_e32 v4, v4, v99
	v_not_b32_e32 v9, v97
	v_ashrrev_i32_e32 v7, 31, v7
	v_xor_b32_e32 v6, s0, v6
	v_cmp_gt_i32_e64 s0, 0, v97
	v_and_b32_e32 v4, v4, v5
	v_not_b32_e32 v5, v98
	v_ashrrev_i32_e32 v9, 31, v9
	v_xor_b32_e32 v7, vcc_lo, v7
	v_cmp_gt_i32_e32 vcc_lo, 0, v98
	v_and_b32_e32 v4, v4, v6
	v_not_b32_e32 v6, v8
	v_ashrrev_i32_e32 v5, 31, v5
	v_xor_b32_e32 v9, s0, v9
	v_mul_u32_u24_e32 v2, 9, v2
	v_and_b32_e32 v4, v4, v7
	v_cmp_gt_i32_e64 s0, 0, v8
	v_ashrrev_i32_e32 v6, 31, v6
	v_xor_b32_e32 v5, vcc_lo, v5
	v_add_lshl_u32 v99, v3, v2, 2
	v_and_b32_e32 v4, v4, v9
	s_delay_alu instid0(VALU_DEP_4) | instskip(SKIP_2) | instid1(VALU_DEP_1)
	v_xor_b32_e32 v2, s0, v6
	ds_load_b32 v97, v99 offset:32
	v_and_b32_e32 v3, v4, v5
	; wave barrier
	v_and_b32_e32 v2, v3, v2
	s_delay_alu instid0(VALU_DEP_1) | instskip(SKIP_1) | instid1(VALU_DEP_2)
	v_mbcnt_lo_u32_b32 v98, v2, 0
	v_cmp_ne_u32_e64 s0, 0, v2
	v_cmp_eq_u32_e32 vcc_lo, 0, v98
	s_delay_alu instid0(VALU_DEP_2) | instskip(NEXT) | instid1(SALU_CYCLE_1)
	s_and_b32 s3, s0, vcc_lo
	s_and_saveexec_b32 s0, s3
	s_cbranch_execz .LBB14_263
; %bb.262:
	s_waitcnt lgkmcnt(0)
	v_bcnt_u32_b32 v2, v2, v97
	ds_store_b32 v99, v2 offset:32
.LBB14_263:
	s_or_b32 exec_lo, exec_lo, s0
	; wave barrier
	s_waitcnt lgkmcnt(0)
	s_barrier
	buffer_gl0_inv
	ds_load_2addr_b32 v[8:9], v14 offset0:8 offset1:9
	ds_load_2addr_b32 v[6:7], v100 offset0:2 offset1:3
	;; [unrolled: 1-line block ×4, first 2 shown]
	ds_load_b32 v101, v100 offset:32
	v_min_u32_e32 v12, 0xe0, v12
	s_mov_b32 s0, exec_lo
	s_delay_alu instid0(VALU_DEP_1) | instskip(SKIP_3) | instid1(VALU_DEP_1)
	v_or_b32_e32 v104, 31, v12
	s_waitcnt lgkmcnt(3)
	v_add3_u32 v102, v9, v8, v6
	s_waitcnt lgkmcnt(2)
	v_add3_u32 v102, v102, v7, v4
	s_waitcnt lgkmcnt(1)
	s_delay_alu instid0(VALU_DEP_1) | instskip(SKIP_1) | instid1(VALU_DEP_1)
	v_add3_u32 v102, v102, v5, v2
	s_waitcnt lgkmcnt(0)
	v_add3_u32 v101, v102, v3, v101
	v_and_b32_e32 v102, 15, v51
	s_delay_alu instid0(VALU_DEP_2) | instskip(NEXT) | instid1(VALU_DEP_2)
	v_mov_b32_dpp v103, v101 row_shr:1 row_mask:0xf bank_mask:0xf
	v_cmp_ne_u32_e32 vcc_lo, 0, v102
	s_delay_alu instid0(VALU_DEP_2) | instskip(SKIP_1) | instid1(VALU_DEP_2)
	v_cndmask_b32_e32 v103, 0, v103, vcc_lo
	v_cmp_lt_u32_e32 vcc_lo, 1, v102
	v_add_nc_u32_e32 v101, v103, v101
	s_delay_alu instid0(VALU_DEP_1) | instskip(NEXT) | instid1(VALU_DEP_1)
	v_mov_b32_dpp v103, v101 row_shr:2 row_mask:0xf bank_mask:0xf
	v_cndmask_b32_e32 v103, 0, v103, vcc_lo
	v_cmp_lt_u32_e32 vcc_lo, 3, v102
	s_delay_alu instid0(VALU_DEP_2) | instskip(NEXT) | instid1(VALU_DEP_1)
	v_add_nc_u32_e32 v101, v101, v103
	v_mov_b32_dpp v103, v101 row_shr:4 row_mask:0xf bank_mask:0xf
	s_delay_alu instid0(VALU_DEP_1) | instskip(SKIP_1) | instid1(VALU_DEP_2)
	v_cndmask_b32_e32 v103, 0, v103, vcc_lo
	v_cmp_lt_u32_e32 vcc_lo, 7, v102
	v_add_nc_u32_e32 v101, v101, v103
	s_delay_alu instid0(VALU_DEP_1) | instskip(NEXT) | instid1(VALU_DEP_1)
	v_mov_b32_dpp v103, v101 row_shr:8 row_mask:0xf bank_mask:0xf
	v_cndmask_b32_e32 v102, 0, v103, vcc_lo
	v_bfe_i32 v103, v51, 4, 1
	s_delay_alu instid0(VALU_DEP_2) | instskip(SKIP_4) | instid1(VALU_DEP_2)
	v_add_nc_u32_e32 v102, v101, v102
	ds_swizzle_b32 v101, v102 offset:swizzle(BROADCAST,32,15)
	s_waitcnt lgkmcnt(0)
	v_and_b32_e32 v103, v103, v101
	v_lshrrev_b32_e32 v101, 5, v1
	v_add_nc_u32_e32 v12, v102, v103
	v_cmpx_eq_u32_e64 v104, v1
	s_cbranch_execz .LBB14_265
; %bb.264:
	s_delay_alu instid0(VALU_DEP_3)
	v_lshlrev_b32_e32 v102, 2, v101
	ds_store_b32 v102, v12
.LBB14_265:
	s_or_b32 exec_lo, exec_lo, s0
	s_delay_alu instid0(SALU_CYCLE_1)
	s_mov_b32 s0, exec_lo
	s_waitcnt lgkmcnt(0)
	s_barrier
	buffer_gl0_inv
	v_cmpx_gt_u32_e32 8, v1
	s_cbranch_execz .LBB14_267
; %bb.266:
	v_lshlrev_b32_e32 v102, 2, v1
	ds_load_b32 v103, v102
	s_waitcnt lgkmcnt(0)
	v_mov_b32_dpp v105, v103 row_shr:1 row_mask:0xf bank_mask:0xf
	v_and_b32_e32 v104, 7, v51
	s_delay_alu instid0(VALU_DEP_1) | instskip(NEXT) | instid1(VALU_DEP_3)
	v_cmp_ne_u32_e32 vcc_lo, 0, v104
	v_cndmask_b32_e32 v105, 0, v105, vcc_lo
	v_cmp_lt_u32_e32 vcc_lo, 1, v104
	s_delay_alu instid0(VALU_DEP_2) | instskip(NEXT) | instid1(VALU_DEP_1)
	v_add_nc_u32_e32 v103, v105, v103
	v_mov_b32_dpp v105, v103 row_shr:2 row_mask:0xf bank_mask:0xf
	s_delay_alu instid0(VALU_DEP_1) | instskip(SKIP_1) | instid1(VALU_DEP_2)
	v_cndmask_b32_e32 v105, 0, v105, vcc_lo
	v_cmp_lt_u32_e32 vcc_lo, 3, v104
	v_add_nc_u32_e32 v103, v103, v105
	s_delay_alu instid0(VALU_DEP_1) | instskip(NEXT) | instid1(VALU_DEP_1)
	v_mov_b32_dpp v105, v103 row_shr:4 row_mask:0xf bank_mask:0xf
	v_cndmask_b32_e32 v104, 0, v105, vcc_lo
	s_delay_alu instid0(VALU_DEP_1)
	v_add_nc_u32_e32 v103, v103, v104
	ds_store_b32 v102, v103
.LBB14_267:
	s_or_b32 exec_lo, exec_lo, s0
	v_mov_b32_e32 v102, 0
	s_mov_b32 s0, exec_lo
	s_waitcnt lgkmcnt(0)
	s_barrier
	buffer_gl0_inv
	v_cmpx_lt_u32_e32 31, v1
	s_cbranch_execz .LBB14_269
; %bb.268:
	v_lshl_add_u32 v101, v101, 2, -4
	ds_load_b32 v102, v101
.LBB14_269:
	s_or_b32 exec_lo, exec_lo, s0
	v_add_nc_u32_e32 v101, -1, v51
	s_mov_b32 s0, 0
	s_mov_b32 s3, exec_lo
	s_waitcnt lgkmcnt(0)
	v_add_nc_u32_e32 v12, v102, v12
	v_cmp_gt_i32_e32 vcc_lo, 0, v101
	v_cndmask_b32_e32 v101, v101, v51, vcc_lo
	v_cmp_eq_u32_e32 vcc_lo, 0, v51
	s_delay_alu instid0(VALU_DEP_2) | instskip(SKIP_4) | instid1(VALU_DEP_2)
	v_lshlrev_b32_e32 v101, 2, v101
	ds_bpermute_b32 v12, v101, v12
	s_waitcnt lgkmcnt(0)
	v_cndmask_b32_e32 v12, v12, v102, vcc_lo
	v_cmp_ne_u32_e32 vcc_lo, 0, v1
	v_cndmask_b32_e32 v12, 0, v12, vcc_lo
	s_delay_alu instid0(VALU_DEP_1) | instskip(NEXT) | instid1(VALU_DEP_1)
	v_add_nc_u32_e32 v8, v12, v8
	v_add_nc_u32_e32 v9, v8, v9
	s_delay_alu instid0(VALU_DEP_1) | instskip(NEXT) | instid1(VALU_DEP_1)
	v_add_nc_u32_e32 v6, v9, v6
	v_add_nc_u32_e32 v7, v6, v7
	;; [unrolled: 3-line block ×4, first 2 shown]
	ds_store_2addr_b32 v14, v12, v8 offset0:8 offset1:9
	ds_store_2addr_b32 v100, v9, v6 offset0:2 offset1:3
	;; [unrolled: 1-line block ×4, first 2 shown]
	ds_store_b32 v100, v3 offset:32
	v_mov_b32_e32 v2, 0x1600
	s_waitcnt lgkmcnt(0)
	s_barrier
	buffer_gl0_inv
	ds_load_b32 v4, v19 offset:32
	ds_load_b32 v5, v23 offset:32
	;; [unrolled: 1-line block ×23, first 2 shown]
	v_add_nc_u32_e32 v14, 1, v1
	s_delay_alu instid0(VALU_DEP_1)
	v_cmpx_ne_u32_e32 0x100, v14
	s_cbranch_execz .LBB14_271
; %bb.270:
	v_mul_u32_u24_e32 v2, 9, v14
	s_delay_alu instid0(VALU_DEP_1)
	v_lshlrev_b32_e32 v2, 2, v2
	ds_load_b32 v2, v2 offset:32
.LBB14_271:
	s_or_b32 exec_lo, exec_lo, s3
	s_waitcnt lgkmcnt(1)
	v_add_nc_u32_e32 v58, v15, v13
	v_add3_u32 v47, v18, v17, v4
	v_add3_u32 v43, v22, v21, v5
	v_mov_b32_e32 v5, 0
	v_lshl_add_u32 v4, s15, 8, v1
	v_add3_u32 v39, v26, v25, v6
	v_add3_u32 v35, v30, v29, v7
	v_add3_u32 v27, v52, v50, v23
	s_waitcnt lgkmcnt(0)
	v_sub_nc_u32_e32 v52, v2, v3
	v_lshlrev_b64 v[6:7], 2, v[4:5]
	v_add3_u32 v33, v34, v33, v8
	v_add3_u32 v31, v38, v37, v9
	;; [unrolled: 1-line block ×5, first 2 shown]
	v_add_co_u32 v6, vcc_lo, s66, v6
	v_add3_u32 v25, v61, v60, v62
	v_add3_u32 v23, v64, v63, v65
	;; [unrolled: 1-line block ×11, first 2 shown]
	s_barrier
	buffer_gl0_inv
	ds_store_b8 v58, v11 offset:2048
	ds_store_b8 v47, v0 offset:2048
	;; [unrolled: 1-line block ×15, first 2 shown]
	v_add_co_ci_u32_e32 v7, vcc_lo, s67, v7, vcc_lo
	v_or_b32_e32 v2, 2.0, v52
	v_mov_b32_e32 v0, 0
	ds_store_b8 v19, v69 offset:2048
	ds_store_b8 v18, v73 offset:2048
	;; [unrolled: 1-line block ×7, first 2 shown]
	s_waitcnt lgkmcnt(0)
	s_barrier
	buffer_gl0_inv
	global_store_b32 v[6:7], v2, off
                                        ; implicit-def: $sgpr3
	s_branch .LBB14_274
	.p2align	6
.LBB14_272:                             ;   in Loop: Header=BB14_274 Depth=1
	s_or_b32 exec_lo, exec_lo, s4
.LBB14_273:                             ;   in Loop: Header=BB14_274 Depth=1
	s_delay_alu instid0(SALU_CYCLE_1) | instskip(SKIP_2) | instid1(VALU_DEP_2)
	s_or_b32 exec_lo, exec_lo, s3
	v_and_b32_e32 v4, 0x3fffffff, v4
	v_cmp_eq_u32_e64 s3, 0x80000000, v2
	v_add_nc_u32_e32 v0, v4, v0
	s_delay_alu instid0(VALU_DEP_2) | instskip(NEXT) | instid1(SALU_CYCLE_1)
	s_and_b32 s4, exec_lo, s3
	s_or_b32 s0, s4, s0
	s_delay_alu instid0(SALU_CYCLE_1)
	s_and_not1_b32 exec_lo, exec_lo, s0
	s_cbranch_execz .LBB14_279
.LBB14_274:                             ; =>This Loop Header: Depth=1
                                        ;     Child Loop BB14_277 Depth 2
	s_or_b32 s3, s3, exec_lo
	s_cmp_eq_u32 s63, 0
	s_cbranch_scc1 .LBB14_278
; %bb.275:                              ;   in Loop: Header=BB14_274 Depth=1
	s_add_i32 s63, s63, -1
	s_mov_b32 s3, exec_lo
	v_lshl_add_u32 v4, s63, 8, v1
	s_delay_alu instid0(VALU_DEP_1) | instskip(NEXT) | instid1(VALU_DEP_1)
	v_lshlrev_b64 v[8:9], 2, v[4:5]
	v_add_co_u32 v8, vcc_lo, s66, v8
	s_delay_alu instid0(VALU_DEP_2) | instskip(SKIP_3) | instid1(VALU_DEP_1)
	v_add_co_ci_u32_e32 v9, vcc_lo, s67, v9, vcc_lo
	global_load_b32 v4, v[8:9], off glc
	s_waitcnt vmcnt(0)
	v_and_b32_e32 v2, -2.0, v4
	v_cmpx_eq_u32_e32 0, v2
	s_cbranch_execz .LBB14_273
; %bb.276:                              ;   in Loop: Header=BB14_274 Depth=1
	s_mov_b32 s4, 0
.LBB14_277:                             ;   Parent Loop BB14_274 Depth=1
                                        ; =>  This Inner Loop Header: Depth=2
	global_load_b32 v4, v[8:9], off glc
	s_waitcnt vmcnt(0)
	v_and_b32_e32 v2, -2.0, v4
	s_delay_alu instid0(VALU_DEP_1) | instskip(SKIP_1) | instid1(SALU_CYCLE_1)
	v_cmp_ne_u32_e32 vcc_lo, 0, v2
	s_or_b32 s4, vcc_lo, s4
	s_and_not1_b32 exec_lo, exec_lo, s4
	s_cbranch_execnz .LBB14_277
	s_branch .LBB14_272
.LBB14_278:                             ;   in Loop: Header=BB14_274 Depth=1
                                        ; implicit-def: $sgpr63
	s_and_b32 s4, exec_lo, s3
	s_delay_alu instid0(SALU_CYCLE_1) | instskip(NEXT) | instid1(SALU_CYCLE_1)
	s_or_b32 s0, s4, s0
	s_and_not1_b32 exec_lo, exec_lo, s0
	s_cbranch_execnz .LBB14_274
.LBB14_279:
	s_or_b32 exec_lo, exec_lo, s0
	v_add_nc_u32_e32 v2, v0, v52
	v_lshlrev_b32_e32 v53, 3, v1
	v_lshlrev_b32_e32 v9, 3, v51
	s_lshl_b64 s[4:5], s[64:65], 3
	v_lshlrev_b32_e32 v10, 3, v10
	v_or_b32_e32 v2, 0x80000000, v2
	v_add_nc_u32_e32 v5, 0x1100, v1
	v_or_b32_e32 v8, 0x1400, v1
	v_lshlrev_b32_e32 v58, 3, v58
	v_lshlrev_b32_e32 v47, 3, v47
	global_store_b32 v[6:7], v2, off
	global_load_b64 v[36:37], v53, s[56:57]
	v_sub_co_u32 v2, s0, v0, v3
	s_delay_alu instid0(VALU_DEP_1) | instskip(SKIP_3) | instid1(VALU_DEP_1)
	v_sub_co_ci_u32_e64 v4, null, 0, 0, s0
	s_add_u32 s0, s52, s4
	s_addc_u32 s3, s53, s5
	v_add_co_u32 v11, s0, s0, v9
	v_add_co_ci_u32_e64 v16, null, s3, 0, s0
	v_or_b32_e32 v0, 0x1000, v1
	s_delay_alu instid0(VALU_DEP_3) | instskip(NEXT) | instid1(VALU_DEP_3)
	v_add_co_u32 v54, vcc_lo, v11, v10
	v_add_co_ci_u32_e32 v55, vcc_lo, 0, v16, vcc_lo
	v_add_nc_u32_e32 v6, 0x1200, v1
	v_add_nc_u32_e32 v7, 0x1300, v1
	v_add_nc_u32_e32 v9, 0x1500, v1
	v_lshlrev_b32_e32 v43, 3, v43
	v_lshlrev_b32_e32 v39, 3, v39
	;; [unrolled: 1-line block ×20, first 2 shown]
	s_add_i32 s2, s2, -1
	s_delay_alu instid0(SALU_CYCLE_1)
	s_cmp_eq_u32 s15, s2
	s_cselect_b32 s2, -1, 0
	s_waitcnt vmcnt(0)
	v_add_co_u32 v10, vcc_lo, v2, v36
	v_add_co_ci_u32_e32 v11, vcc_lo, v4, v37, vcc_lo
	v_add_co_u32 v56, vcc_lo, 0x1000, v54
	v_add_co_ci_u32_e32 v57, vcc_lo, 0, v55, vcc_lo
	ds_store_b64 v53, v[10:11]
	s_waitcnt lgkmcnt(0)
	s_waitcnt_vscnt null, 0x0
	s_barrier
	buffer_gl0_inv
	ds_load_u8 v2, v1 offset:2304
	ds_load_u8 v4, v1 offset:2560
	;; [unrolled: 1-line block ×22, first 2 shown]
	s_waitcnt lgkmcnt(19)
	v_and_b32_e32 v59, 0xff, v10
	v_xor_b32_e32 v103, -1, v10
	s_waitcnt lgkmcnt(18)
	v_and_b32_e32 v10, 0xff, v11
	v_xor_b32_e32 v104, -1, v11
	;; [unrolled: 3-line block ×18, first 2 shown]
	s_waitcnt lgkmcnt(1)
	v_and_b32_e32 v48, 0xff, v49
	v_lshrrev_b32_e32 v10, s60, v10
	v_lshrrev_b32_e32 v11, s60, v11
	;; [unrolled: 1-line block ×6, first 2 shown]
	v_and_b32_e32 v50, 0xff, v2
	v_and_b32_e32 v51, 0xff, v4
	v_lshrrev_b32_e32 v24, s60, v24
	v_lshrrev_b32_e32 v28, s60, v28
	;; [unrolled: 1-line block ×12, first 2 shown]
	v_and_b32_e32 v10, s1, v10
	v_and_b32_e32 v65, s1, v46
	v_and_b32_e32 v11, s1, v11
	v_and_b32_e32 v66, s1, v48
	v_and_b32_e32 v16, s1, v16
	v_and_b32_e32 v20, s1, v20
	v_xor_b32_e32 v121, -1, v49
	v_lshrrev_b32_e32 v49, s60, v50
	v_lshrrev_b32_e32 v50, s60, v51
	;; [unrolled: 1-line block ×3, first 2 shown]
	v_and_b32_e32 v24, s1, v24
	v_and_b32_e32 v28, s1, v28
	v_and_b32_e32 v32, s1, v32
	v_and_b32_e32 v34, s1, v34
	v_and_b32_e32 v36, s1, v36
	v_and_b32_e32 v37, s1, v37
	v_and_b32_e32 v59, s1, v38
	v_and_b32_e32 v60, s1, v40
	v_and_b32_e32 v61, s1, v41
	v_and_b32_e32 v62, s1, v42
	v_and_b32_e32 v63, s1, v44
	v_and_b32_e32 v64, s1, v45
	v_lshlrev_b32_e32 v44, 3, v10
	v_lshlrev_b32_e32 v10, 3, v65
	;; [unrolled: 1-line block ×18, first 2 shown]
	ds_load_b64 v[59:60], v10
	ds_load_b64 v[61:62], v11
	s_waitcnt lgkmcnt(2)
	v_and_b32_e32 v71, 0xff, v67
	v_xor_b32_e32 v122, -1, v67
	ds_load_b64 v[63:64], v44
	ds_load_b64 v[65:66], v45
	;; [unrolled: 1-line block ×4, first 2 shown]
	v_and_b32_e32 v49, s1, v49
	v_and_b32_e32 v50, s1, v50
	v_lshrrev_b32_e32 v79, s60, v71
	ds_load_b64 v[71:72], v38
	ds_load_b64 v[73:74], v40
	;; [unrolled: 1-line block ×4, first 2 shown]
	v_and_b32_e32 v51, s1, v51
	v_lshlrev_b32_e32 v49, 3, v49
	v_lshlrev_b32_e32 v50, 3, v50
	v_and_b32_e32 v87, s1, v79
	ds_load_b64 v[79:80], v20
	ds_load_b64 v[81:82], v24
	;; [unrolled: 1-line block ×4, first 2 shown]
	v_lshlrev_b32_e32 v51, 3, v51
	v_xor_b32_e32 v2, -1, v2
	v_xor_b32_e32 v4, -1, v4
	v_lshlrev_b32_e32 v123, 3, v87
	ds_load_b64 v[87:88], v16
	ds_load_b64 v[89:90], v34
	;; [unrolled: 1-line block ×8, first 2 shown]
	s_waitcnt lgkmcnt(19)
	v_add_co_u32 v63, vcc_lo, s50, v63
	v_add_co_ci_u32_e32 v64, vcc_lo, s51, v64, vcc_lo
	s_waitcnt lgkmcnt(18)
	v_add_co_u32 v65, vcc_lo, s50, v65
	v_add_co_ci_u32_e32 v66, vcc_lo, s51, v66, vcc_lo
	;; [unrolled: 3-line block ×16, first 2 shown]
	v_add_co_u32 v124, vcc_lo, s50, v59
	v_add_co_ci_u32_e32 v125, vcc_lo, s51, v60, vcc_lo
	v_add_co_u32 v126, vcc_lo, s50, v61
	v_add_co_ci_u32_e32 v127, vcc_lo, s51, v62, vcc_lo
	;; [unrolled: 2-line block ×19, first 2 shown]
	s_waitcnt lgkmcnt(3)
	v_add_co_u32 v93, vcc_lo, s50, v95
	v_add_co_ci_u32_e32 v94, vcc_lo, s51, v96, vcc_lo
	s_waitcnt lgkmcnt(2)
	v_add_co_u32 v95, vcc_lo, s50, v97
	v_add_co_ci_u32_e32 v96, vcc_lo, s51, v98, vcc_lo
	;; [unrolled: 3-line block ×4, first 2 shown]
	v_add_co_u32 v93, vcc_lo, v93, v1
	v_add_co_ci_u32_e32 v94, vcc_lo, 0, v94, vcc_lo
	v_add_co_u32 v95, vcc_lo, v95, v1
	v_add_co_ci_u32_e32 v96, vcc_lo, 0, v96, vcc_lo
	v_add_co_u32 v97, vcc_lo, v97, v1
	v_add_co_ci_u32_e32 v98, vcc_lo, 0, v98, vcc_lo
	v_add_co_u32 v99, vcc_lo, v99, v1
	v_add_co_ci_u32_e32 v100, vcc_lo, 0, v100, vcc_lo
	v_add_co_u32 v101, vcc_lo, v126, v9
	v_add_co_ci_u32_e32 v102, vcc_lo, 0, v127, vcc_lo
	s_clause 0x15
	global_store_b8 v[93:94], v122, off
	global_store_b8 v[95:96], v2, off offset:256
	global_store_b8 v[97:98], v4, off offset:512
	;; [unrolled: 1-line block ×15, first 2 shown]
	global_store_b8 v[83:84], v116, off
	global_store_b8 v[85:86], v117, off
	;; [unrolled: 1-line block ×6, first 2 shown]
	s_clause 0x15
	global_load_b64 v[59:60], v[54:55], off
	global_load_b64 v[61:62], v[54:55], off offset:256
	global_load_b64 v[63:64], v[54:55], off offset:512
	;; [unrolled: 1-line block ×15, first 2 shown]
	global_load_b64 v[89:90], v[56:57], off
	global_load_b64 v[91:92], v[56:57], off offset:256
	global_load_b64 v[93:94], v[56:57], off offset:512
	;; [unrolled: 1-line block ×5, first 2 shown]
	v_dual_mov_b32 v2, 0 :: v_dual_lshlrev_b32 v115, 3, v6
	v_lshlrev_b32_e32 v116, 3, v7
	v_lshlrev_b32_e32 v117, 3, v8
	;; [unrolled: 1-line block ×3, first 2 shown]
	s_delay_alu instid0(VALU_DEP_4)
	v_mov_b32_e32 v4, v2
	v_lshlrev_b32_e32 v114, 3, v5
	s_waitcnt vmcnt(0)
	s_waitcnt_vscnt null, 0x0
	s_barrier
	buffer_gl0_inv
	v_add_nc_u32_e32 v100, 0x1000, v53
	v_add_nc_u32_e32 v101, 0x1800, v53
	v_or_b32_e32 v102, 0x2000, v53
	v_add_nc_u32_e32 v103, 0x2800, v53
	v_add_nc_u32_e32 v104, 0x3000, v53
	v_add_nc_u32_e32 v105, 0x3800, v53
	v_or_b32_e32 v106, 0x4000, v53
	v_add_nc_u32_e32 v107, 0x4800, v53
	;; [unrolled: 4-line block ×3, first 2 shown]
	v_add_nc_u32_e32 v112, 0x7000, v53
	v_add_nc_u32_e32 v113, 0x7800, v53
	v_lshlrev_b32_e32 v0, 3, v0
	ds_store_b64 v58, v[59:60] offset:2048
	ds_store_b64 v47, v[61:62] offset:2048
	;; [unrolled: 1-line block ×22, first 2 shown]
	s_waitcnt lgkmcnt(0)
	s_barrier
	buffer_gl0_inv
	ds_load_2addr_stride64_b64 v[5:8], v53 offset0:4 offset1:8
	ds_load_2addr_stride64_b64 v[12:15], v53 offset0:12 offset1:16
	ds_load_b64 v[29:30], v123
	ds_load_b64 v[66:67], v49
	ds_load_b64 v[68:69], v50
	ds_load_b64 v[70:71], v51
	ds_load_2addr_stride64_b64 v[54:57], v53 offset0:20 offset1:24
	ds_load_2addr_stride64_b64 v[58:61], v53 offset0:28 offset1:32
	ds_load_b64 v[72:73], v44
	ds_load_b64 v[74:75], v45
	ds_load_b64 v[76:77], v46
	ds_load_b64 v[78:79], v48
	;; [unrolled: 6-line block ×5, first 2 shown]
	ds_load_2addr_stride64_b64 v[25:28], v53 offset0:84 offset1:88
	ds_load_b64 v[9:10], v10
	ds_load_b64 v[98:99], v11
	s_waitcnt lgkmcnt(30)
	v_lshlrev_b64 v[29:30], 3, v[29:30]
	s_waitcnt lgkmcnt(29)
	v_lshlrev_b64 v[66:67], 3, v[66:67]
	;; [unrolled: 2-line block ×6, first 2 shown]
	v_add_co_u32 v11, vcc_lo, s54, v29
	v_add_co_ci_u32_e32 v16, vcc_lo, s55, v30, vcc_lo
	v_add_co_u32 v29, vcc_lo, s54, v66
	v_add_co_ci_u32_e32 v30, vcc_lo, s55, v67, vcc_lo
	;; [unrolled: 2-line block ×4, first 2 shown]
	s_waitcnt lgkmcnt(22)
	v_lshlrev_b64 v[76:77], 3, v[76:77]
	v_add_co_u32 v67, vcc_lo, s54, v72
	v_add_co_ci_u32_e32 v68, vcc_lo, s55, v73, vcc_lo
	s_waitcnt lgkmcnt(21)
	v_lshlrev_b64 v[78:79], 3, v[78:79]
	v_add_co_u32 v69, vcc_lo, s54, v74
	v_add_co_ci_u32_e32 v70, vcc_lo, s55, v75, vcc_lo
	;; [unrolled: 4-line block ×16, first 2 shown]
	v_add_co_u32 v120, vcc_lo, s54, v9
	v_add_co_ci_u32_e32 v121, vcc_lo, s55, v10, vcc_lo
	v_add_co_u32 v98, vcc_lo, s54, v98
	v_add_co_ci_u32_e32 v99, vcc_lo, s55, v99, vcc_lo
	;; [unrolled: 2-line block ×24, first 2 shown]
	s_clause 0x15
	global_store_b64 v[9:10], v[5:6], off
	global_store_b64 v[29:30], v[7:8], off offset:2048
	global_store_b64 v[31:32], v[12:13], off
	global_store_b64 v[33:34], v[14:15], off
	;; [unrolled: 1-line block ×20, first 2 shown]
.LBB14_280:
	s_and_b32 vcc_lo, exec_lo, s2
	s_cbranch_vccnz .LBB14_282
; %bb.281:
	s_nop 0
	s_sendmsg sendmsg(MSG_DEALLOC_VGPRS)
	s_endpgm
.LBB14_282:
	ds_load_b64 v[5:6], v53
	v_lshlrev_b64 v[0:1], 3, v[1:2]
	v_add_co_u32 v2, vcc_lo, v3, v52
	v_add_co_ci_u32_e32 v3, vcc_lo, 0, v4, vcc_lo
	s_delay_alu instid0(VALU_DEP_3) | instskip(NEXT) | instid1(VALU_DEP_4)
	v_add_co_u32 v0, vcc_lo, s58, v0
	v_add_co_ci_u32_e32 v1, vcc_lo, s59, v1, vcc_lo
	s_waitcnt lgkmcnt(0)
	v_add_co_u32 v2, vcc_lo, v2, v5
	v_add_co_ci_u32_e32 v3, vcc_lo, v3, v6, vcc_lo
	global_store_b64 v[0:1], v[2:3], off
	s_nop 0
	s_sendmsg sendmsg(MSG_DEALLOC_VGPRS)
	s_endpgm
.LBB14_283:
	global_load_b64 v[5:6], v[49:50], off
	s_or_b32 exec_lo, exec_lo, s47
                                        ; implicit-def: $vgpr7_vgpr8
	s_and_saveexec_b32 s47, s2
	s_cbranch_execz .LBB14_151
.LBB14_284:
	global_load_b64 v[7:8], v[49:50], off offset:256
	s_or_b32 exec_lo, exec_lo, s47
                                        ; implicit-def: $vgpr9_vgpr10
	s_and_saveexec_b32 s2, s3
	s_cbranch_execz .LBB14_152
.LBB14_285:
	global_load_b64 v[9:10], v[49:50], off offset:512
	s_or_b32 exec_lo, exec_lo, s2
                                        ; implicit-def: $vgpr11_vgpr12
	s_and_saveexec_b32 s2, s4
	s_cbranch_execz .LBB14_153
.LBB14_286:
	global_load_b64 v[11:12], v[49:50], off offset:768
	s_or_b32 exec_lo, exec_lo, s2
                                        ; implicit-def: $vgpr13_vgpr14
	s_and_saveexec_b32 s2, s5
	s_cbranch_execz .LBB14_154
.LBB14_287:
	global_load_b64 v[13:14], v[49:50], off offset:1024
	s_or_b32 exec_lo, exec_lo, s2
                                        ; implicit-def: $vgpr15_vgpr16
	s_and_saveexec_b32 s2, s6
	s_cbranch_execz .LBB14_155
.LBB14_288:
	global_load_b64 v[15:16], v[49:50], off offset:1280
	s_or_b32 exec_lo, exec_lo, s2
                                        ; implicit-def: $vgpr17_vgpr18
	s_and_saveexec_b32 s2, s7
	s_cbranch_execz .LBB14_156
.LBB14_289:
	global_load_b64 v[17:18], v[49:50], off offset:1536
	s_or_b32 exec_lo, exec_lo, s2
                                        ; implicit-def: $vgpr19_vgpr20
	s_and_saveexec_b32 s2, s8
	s_cbranch_execz .LBB14_157
.LBB14_290:
	global_load_b64 v[19:20], v[49:50], off offset:1792
	s_or_b32 exec_lo, exec_lo, s2
                                        ; implicit-def: $vgpr21_vgpr22
	s_and_saveexec_b32 s2, s9
	s_cbranch_execz .LBB14_158
.LBB14_291:
	global_load_b64 v[21:22], v[49:50], off offset:2048
	s_or_b32 exec_lo, exec_lo, s2
                                        ; implicit-def: $vgpr23_vgpr24
	s_and_saveexec_b32 s2, s10
	s_cbranch_execz .LBB14_159
.LBB14_292:
	global_load_b64 v[23:24], v[49:50], off offset:2304
	s_or_b32 exec_lo, exec_lo, s2
                                        ; implicit-def: $vgpr25_vgpr26
	s_and_saveexec_b32 s2, s11
	s_cbranch_execz .LBB14_160
.LBB14_293:
	global_load_b64 v[25:26], v[49:50], off offset:2560
	s_or_b32 exec_lo, exec_lo, s2
                                        ; implicit-def: $vgpr27_vgpr28
	s_and_saveexec_b32 s2, s12
	s_cbranch_execz .LBB14_161
.LBB14_294:
	global_load_b64 v[27:28], v[49:50], off offset:2816
	s_or_b32 exec_lo, exec_lo, s2
                                        ; implicit-def: $vgpr29_vgpr30
	s_and_saveexec_b32 s2, s13
	s_cbranch_execz .LBB14_162
.LBB14_295:
	global_load_b64 v[29:30], v[49:50], off offset:3072
	s_or_b32 exec_lo, exec_lo, s2
                                        ; implicit-def: $vgpr31_vgpr32
	s_and_saveexec_b32 s2, s14
	s_cbranch_execz .LBB14_163
.LBB14_296:
	global_load_b64 v[31:32], v[49:50], off offset:3328
	s_or_b32 exec_lo, exec_lo, s2
                                        ; implicit-def: $vgpr33_vgpr34
	s_and_saveexec_b32 s2, s16
	s_cbranch_execz .LBB14_164
.LBB14_297:
	global_load_b64 v[33:34], v[49:50], off offset:3584
	s_or_b32 exec_lo, exec_lo, s2
                                        ; implicit-def: $vgpr35_vgpr36
	s_and_saveexec_b32 s2, s18
	s_cbranch_execz .LBB14_165
.LBB14_298:
	global_load_b64 v[35:36], v[49:50], off offset:3840
	s_or_b32 exec_lo, exec_lo, s2
                                        ; implicit-def: $vgpr37_vgpr38
	s_and_saveexec_b32 s2, s23
	s_cbranch_execz .LBB14_166
.LBB14_299:
	v_add_co_u32 v37, vcc_lo, 0x1000, v49
	v_add_co_ci_u32_e32 v38, vcc_lo, 0, v50, vcc_lo
	global_load_b64 v[37:38], v[37:38], off
	s_or_b32 exec_lo, exec_lo, s2
                                        ; implicit-def: $vgpr39_vgpr40
	s_and_saveexec_b32 s2, s21
	s_cbranch_execz .LBB14_167
.LBB14_300:
	v_add_co_u32 v39, vcc_lo, 0x1000, v49
	v_add_co_ci_u32_e32 v40, vcc_lo, 0, v50, vcc_lo
	global_load_b64 v[39:40], v[39:40], off offset:256
	s_or_b32 exec_lo, exec_lo, s2
                                        ; implicit-def: $vgpr41_vgpr42
	s_and_saveexec_b32 s2, s22
	s_cbranch_execz .LBB14_168
.LBB14_301:
	v_add_co_u32 v41, vcc_lo, 0x1000, v49
	v_add_co_ci_u32_e32 v42, vcc_lo, 0, v50, vcc_lo
	global_load_b64 v[41:42], v[41:42], off offset:512
	s_or_b32 exec_lo, exec_lo, s2
                                        ; implicit-def: $vgpr43_vgpr44
	s_and_saveexec_b32 s2, s19
	s_cbranch_execz .LBB14_169
.LBB14_302:
	v_add_co_u32 v43, vcc_lo, 0x1000, v49
	v_add_co_ci_u32_e32 v44, vcc_lo, 0, v50, vcc_lo
	global_load_b64 v[43:44], v[43:44], off offset:768
	s_or_b32 exec_lo, exec_lo, s2
                                        ; implicit-def: $vgpr45_vgpr46
	s_and_saveexec_b32 s2, s20
	s_cbranch_execz .LBB14_170
.LBB14_303:
	v_add_co_u32 v45, vcc_lo, 0x1000, v49
	v_add_co_ci_u32_e32 v46, vcc_lo, 0, v50, vcc_lo
	global_load_b64 v[45:46], v[45:46], off offset:1024
	s_or_b32 exec_lo, exec_lo, s2
                                        ; implicit-def: $vgpr47_vgpr48
	s_and_saveexec_b32 s2, s17
	s_cbranch_execz .LBB14_171
.LBB14_304:
	v_add_co_u32 v47, vcc_lo, 0x1000, v49
	v_add_co_ci_u32_e32 v48, vcc_lo, 0, v50, vcc_lo
	global_load_b64 v[47:48], v[47:48], off offset:1280
	s_or_b32 exec_lo, exec_lo, s2
                                        ; implicit-def: $vgpr115
	s_and_saveexec_b32 s2, s24
	s_cbranch_execz .LBB14_172
.LBB14_305:
	ds_load_u8 v49, v1 offset:2048
	s_waitcnt lgkmcnt(0)
	v_lshrrev_b32_e32 v49, s60, v49
	s_delay_alu instid0(VALU_DEP_1)
	v_and_b32_e32 v115, s68, v49
	s_or_b32 exec_lo, exec_lo, s2
                                        ; implicit-def: $vgpr114
	s_and_saveexec_b32 s2, s25
	s_cbranch_execz .LBB14_173
.LBB14_306:
	ds_load_u8 v49, v1 offset:2304
	s_waitcnt lgkmcnt(0)
	v_lshrrev_b32_e32 v49, s60, v49
	s_delay_alu instid0(VALU_DEP_1)
	v_and_b32_e32 v114, s68, v49
	s_or_b32 exec_lo, exec_lo, s2
                                        ; implicit-def: $vgpr113
	s_and_saveexec_b32 s2, s26
	s_cbranch_execz .LBB14_174
.LBB14_307:
	ds_load_u8 v49, v1 offset:2560
	s_waitcnt lgkmcnt(0)
	v_lshrrev_b32_e32 v49, s60, v49
	s_delay_alu instid0(VALU_DEP_1)
	v_and_b32_e32 v113, s68, v49
	s_or_b32 exec_lo, exec_lo, s2
                                        ; implicit-def: $vgpr112
	s_and_saveexec_b32 s2, s27
	s_cbranch_execz .LBB14_175
.LBB14_308:
	ds_load_u8 v49, v1 offset:2816
	s_waitcnt lgkmcnt(0)
	v_lshrrev_b32_e32 v49, s60, v49
	s_delay_alu instid0(VALU_DEP_1)
	v_and_b32_e32 v112, s68, v49
	s_or_b32 exec_lo, exec_lo, s2
                                        ; implicit-def: $vgpr111
	s_and_saveexec_b32 s2, s28
	s_cbranch_execz .LBB14_176
.LBB14_309:
	ds_load_u8 v49, v1 offset:3072
	s_waitcnt lgkmcnt(0)
	v_lshrrev_b32_e32 v49, s60, v49
	s_delay_alu instid0(VALU_DEP_1)
	v_and_b32_e32 v111, s68, v49
	s_or_b32 exec_lo, exec_lo, s2
                                        ; implicit-def: $vgpr110
	s_and_saveexec_b32 s2, s29
	s_cbranch_execz .LBB14_177
.LBB14_310:
	ds_load_u8 v49, v1 offset:3328
	s_waitcnt lgkmcnt(0)
	v_lshrrev_b32_e32 v49, s60, v49
	s_delay_alu instid0(VALU_DEP_1)
	v_and_b32_e32 v110, s68, v49
	s_or_b32 exec_lo, exec_lo, s2
                                        ; implicit-def: $vgpr109
	s_and_saveexec_b32 s2, s30
	s_cbranch_execz .LBB14_178
.LBB14_311:
	ds_load_u8 v49, v1 offset:3584
	s_waitcnt lgkmcnt(0)
	v_lshrrev_b32_e32 v49, s60, v49
	s_delay_alu instid0(VALU_DEP_1)
	v_and_b32_e32 v109, s68, v49
	s_or_b32 exec_lo, exec_lo, s2
                                        ; implicit-def: $vgpr108
	s_and_saveexec_b32 s2, s31
	s_cbranch_execz .LBB14_179
.LBB14_312:
	ds_load_u8 v49, v1 offset:3840
	s_waitcnt lgkmcnt(0)
	v_lshrrev_b32_e32 v49, s60, v49
	s_delay_alu instid0(VALU_DEP_1)
	v_and_b32_e32 v108, s68, v49
	s_or_b32 exec_lo, exec_lo, s2
                                        ; implicit-def: $vgpr107
	s_and_saveexec_b32 s2, s33
	s_cbranch_execz .LBB14_180
.LBB14_313:
	ds_load_u8 v49, v1 offset:4096
	s_waitcnt lgkmcnt(0)
	v_lshrrev_b32_e32 v49, s60, v49
	s_delay_alu instid0(VALU_DEP_1)
	v_and_b32_e32 v107, s68, v49
	s_or_b32 exec_lo, exec_lo, s2
                                        ; implicit-def: $vgpr106
	s_and_saveexec_b32 s2, s34
	s_cbranch_execz .LBB14_181
.LBB14_314:
	ds_load_u8 v49, v1 offset:4352
	s_waitcnt lgkmcnt(0)
	v_lshrrev_b32_e32 v49, s60, v49
	s_delay_alu instid0(VALU_DEP_1)
	v_and_b32_e32 v106, s68, v49
	s_or_b32 exec_lo, exec_lo, s2
                                        ; implicit-def: $vgpr105
	s_and_saveexec_b32 s2, s35
	s_cbranch_execz .LBB14_182
.LBB14_315:
	ds_load_u8 v49, v1 offset:4608
	s_waitcnt lgkmcnt(0)
	v_lshrrev_b32_e32 v49, s60, v49
	s_delay_alu instid0(VALU_DEP_1)
	v_and_b32_e32 v105, s68, v49
	s_or_b32 exec_lo, exec_lo, s2
                                        ; implicit-def: $vgpr104
	s_and_saveexec_b32 s2, s36
	s_cbranch_execz .LBB14_183
.LBB14_316:
	ds_load_u8 v49, v1 offset:4864
	s_waitcnt lgkmcnt(0)
	v_lshrrev_b32_e32 v49, s60, v49
	s_delay_alu instid0(VALU_DEP_1)
	v_and_b32_e32 v104, s68, v49
	s_or_b32 exec_lo, exec_lo, s2
                                        ; implicit-def: $vgpr103
	s_and_saveexec_b32 s2, s37
	s_cbranch_execz .LBB14_184
.LBB14_317:
	ds_load_u8 v49, v1 offset:5120
	s_waitcnt lgkmcnt(0)
	v_lshrrev_b32_e32 v49, s60, v49
	s_delay_alu instid0(VALU_DEP_1)
	v_and_b32_e32 v103, s68, v49
	s_or_b32 exec_lo, exec_lo, s2
                                        ; implicit-def: $vgpr102
	s_and_saveexec_b32 s2, s38
	s_cbranch_execz .LBB14_185
.LBB14_318:
	ds_load_u8 v49, v1 offset:5376
	s_waitcnt lgkmcnt(0)
	v_lshrrev_b32_e32 v49, s60, v49
	s_delay_alu instid0(VALU_DEP_1)
	v_and_b32_e32 v102, s68, v49
	s_or_b32 exec_lo, exec_lo, s2
                                        ; implicit-def: $vgpr101
	s_and_saveexec_b32 s2, s39
	s_cbranch_execz .LBB14_186
.LBB14_319:
	ds_load_u8 v49, v1 offset:5632
	s_waitcnt lgkmcnt(0)
	v_lshrrev_b32_e32 v49, s60, v49
	s_delay_alu instid0(VALU_DEP_1)
	v_and_b32_e32 v101, s68, v49
	s_or_b32 exec_lo, exec_lo, s2
                                        ; implicit-def: $vgpr100
	s_and_saveexec_b32 s2, s40
	s_cbranch_execz .LBB14_187
.LBB14_320:
	ds_load_u8 v49, v1 offset:5888
	s_waitcnt lgkmcnt(0)
	v_lshrrev_b32_e32 v49, s60, v49
	s_delay_alu instid0(VALU_DEP_1)
	v_and_b32_e32 v100, s68, v49
	s_or_b32 exec_lo, exec_lo, s2
                                        ; implicit-def: $vgpr99
	s_and_saveexec_b32 s2, s41
	s_cbranch_execz .LBB14_188
.LBB14_321:
	ds_load_u8 v49, v1 offset:6144
	s_waitcnt lgkmcnt(0)
	v_lshrrev_b32_e32 v49, s60, v49
	s_delay_alu instid0(VALU_DEP_1)
	v_and_b32_e32 v99, s68, v49
	s_or_b32 exec_lo, exec_lo, s2
                                        ; implicit-def: $vgpr98
	s_and_saveexec_b32 s2, s42
	s_cbranch_execz .LBB14_189
.LBB14_322:
	ds_load_u8 v49, v1 offset:6400
	s_waitcnt lgkmcnt(0)
	v_lshrrev_b32_e32 v49, s60, v49
	s_delay_alu instid0(VALU_DEP_1)
	v_and_b32_e32 v98, s68, v49
	s_or_b32 exec_lo, exec_lo, s2
                                        ; implicit-def: $vgpr97
	s_and_saveexec_b32 s2, s43
	s_cbranch_execz .LBB14_190
.LBB14_323:
	ds_load_u8 v49, v1 offset:6656
	s_waitcnt lgkmcnt(0)
	v_lshrrev_b32_e32 v49, s60, v49
	s_delay_alu instid0(VALU_DEP_1)
	v_and_b32_e32 v97, s68, v49
	s_or_b32 exec_lo, exec_lo, s2
                                        ; implicit-def: $vgpr96
	s_and_saveexec_b32 s2, s44
	s_cbranch_execz .LBB14_191
.LBB14_324:
	ds_load_u8 v49, v1 offset:6912
	s_waitcnt lgkmcnt(0)
	v_lshrrev_b32_e32 v49, s60, v49
	s_delay_alu instid0(VALU_DEP_1)
	v_and_b32_e32 v96, s68, v49
	s_or_b32 exec_lo, exec_lo, s2
                                        ; implicit-def: $vgpr50
	s_and_saveexec_b32 s2, s45
	s_cbranch_execz .LBB14_192
.LBB14_325:
	ds_load_u8 v49, v1 offset:7168
	s_waitcnt lgkmcnt(0)
	v_lshrrev_b32_e32 v49, s60, v49
	s_delay_alu instid0(VALU_DEP_1)
	v_and_b32_e32 v50, s68, v49
	s_or_b32 exec_lo, exec_lo, s2
                                        ; implicit-def: $vgpr49
	s_and_saveexec_b32 s2, s46
	s_cbranch_execnz .LBB14_193
	s_branch .LBB14_194
.LBB14_326:
	v_lshlrev_b32_e32 v5, 3, v115
	ds_load_b64 v[5:6], v5
	ds_load_b64 v[7:8], v53 offset:2048
	s_waitcnt lgkmcnt(1)
	v_lshlrev_b64 v[5:6], 3, v[5:6]
	s_delay_alu instid0(VALU_DEP_1) | instskip(NEXT) | instid1(VALU_DEP_2)
	v_add_co_u32 v5, vcc_lo, s54, v5
	v_add_co_ci_u32_e32 v6, vcc_lo, s55, v6, vcc_lo
	s_delay_alu instid0(VALU_DEP_2) | instskip(NEXT) | instid1(VALU_DEP_2)
	v_add_co_u32 v5, vcc_lo, v5, v53
	v_add_co_ci_u32_e32 v6, vcc_lo, 0, v6, vcc_lo
	s_waitcnt lgkmcnt(0)
	global_store_b64 v[5:6], v[7:8], off
	s_or_b32 exec_lo, exec_lo, s2
	s_and_saveexec_b32 s2, s25
	s_cbranch_execz .LBB14_196
.LBB14_327:
	v_lshlrev_b32_e32 v5, 3, v114
	v_lshlrev_b32_e32 v9, 3, v1
	ds_load_b64 v[5:6], v5
	ds_load_b64 v[7:8], v9 offset:4096
	s_waitcnt lgkmcnt(1)
	v_lshlrev_b64 v[5:6], 3, v[5:6]
	s_delay_alu instid0(VALU_DEP_1) | instskip(NEXT) | instid1(VALU_DEP_2)
	v_add_co_u32 v5, vcc_lo, s54, v5
	v_add_co_ci_u32_e32 v6, vcc_lo, s55, v6, vcc_lo
	s_delay_alu instid0(VALU_DEP_2) | instskip(NEXT) | instid1(VALU_DEP_2)
	v_add_co_u32 v5, vcc_lo, v5, v9
	v_add_co_ci_u32_e32 v6, vcc_lo, 0, v6, vcc_lo
	s_waitcnt lgkmcnt(0)
	global_store_b64 v[5:6], v[7:8], off offset:2048
	s_or_b32 exec_lo, exec_lo, s2
	s_and_saveexec_b32 s2, s26
	s_cbranch_execz .LBB14_197
.LBB14_328:
	v_lshlrev_b32_e32 v5, 3, v113
	v_lshlrev_b32_e32 v7, 3, v1
	;; [unrolled: 1-line block ×3, first 2 shown]
	ds_load_b64 v[5:6], v5
	ds_load_b64 v[7:8], v7 offset:6144
	s_waitcnt lgkmcnt(1)
	v_lshlrev_b64 v[5:6], 3, v[5:6]
	s_delay_alu instid0(VALU_DEP_1) | instskip(NEXT) | instid1(VALU_DEP_2)
	v_add_co_u32 v5, vcc_lo, s54, v5
	v_add_co_ci_u32_e32 v6, vcc_lo, s55, v6, vcc_lo
	s_delay_alu instid0(VALU_DEP_2) | instskip(NEXT) | instid1(VALU_DEP_2)
	v_add_co_u32 v5, vcc_lo, v5, v9
	v_add_co_ci_u32_e32 v6, vcc_lo, 0, v6, vcc_lo
	s_waitcnt lgkmcnt(0)
	global_store_b64 v[5:6], v[7:8], off
	s_or_b32 exec_lo, exec_lo, s2
	s_and_saveexec_b32 s2, s27
	s_cbranch_execz .LBB14_198
.LBB14_329:
	v_lshlrev_b32_e32 v5, 3, v112
	v_lshlrev_b32_e32 v7, 3, v1
	;; [unrolled: 1-line block ×3, first 2 shown]
	ds_load_b64 v[5:6], v5
	ds_load_b64 v[7:8], v7 offset:8192
	s_waitcnt lgkmcnt(1)
	v_lshlrev_b64 v[5:6], 3, v[5:6]
	s_delay_alu instid0(VALU_DEP_1) | instskip(NEXT) | instid1(VALU_DEP_2)
	v_add_co_u32 v5, vcc_lo, s54, v5
	v_add_co_ci_u32_e32 v6, vcc_lo, s55, v6, vcc_lo
	s_delay_alu instid0(VALU_DEP_2) | instskip(NEXT) | instid1(VALU_DEP_2)
	v_add_co_u32 v5, vcc_lo, v5, v9
	v_add_co_ci_u32_e32 v6, vcc_lo, 0, v6, vcc_lo
	s_waitcnt lgkmcnt(0)
	global_store_b64 v[5:6], v[7:8], off
	s_or_b32 exec_lo, exec_lo, s2
	s_and_saveexec_b32 s2, s28
	s_cbranch_execz .LBB14_199
.LBB14_330:
	v_lshlrev_b32_e32 v5, 3, v111
	v_lshlrev_b32_e32 v7, 3, v1
	;; [unrolled: 1-line block ×3, first 2 shown]
	ds_load_b64 v[5:6], v5
	ds_load_b64 v[7:8], v7 offset:10240
	s_waitcnt lgkmcnt(1)
	v_lshlrev_b64 v[5:6], 3, v[5:6]
	s_delay_alu instid0(VALU_DEP_1) | instskip(NEXT) | instid1(VALU_DEP_2)
	v_add_co_u32 v5, vcc_lo, s54, v5
	v_add_co_ci_u32_e32 v6, vcc_lo, s55, v6, vcc_lo
	s_delay_alu instid0(VALU_DEP_2) | instskip(NEXT) | instid1(VALU_DEP_2)
	v_add_co_u32 v5, vcc_lo, v5, v9
	v_add_co_ci_u32_e32 v6, vcc_lo, 0, v6, vcc_lo
	s_waitcnt lgkmcnt(0)
	global_store_b64 v[5:6], v[7:8], off
	s_or_b32 exec_lo, exec_lo, s2
	s_and_saveexec_b32 s2, s29
	s_cbranch_execz .LBB14_200
.LBB14_331:
	v_lshlrev_b32_e32 v5, 3, v110
	v_lshlrev_b32_e32 v7, 3, v1
	;; [unrolled: 1-line block ×3, first 2 shown]
	ds_load_b64 v[5:6], v5
	ds_load_b64 v[7:8], v7 offset:12288
	s_waitcnt lgkmcnt(1)
	v_lshlrev_b64 v[5:6], 3, v[5:6]
	s_delay_alu instid0(VALU_DEP_1) | instskip(NEXT) | instid1(VALU_DEP_2)
	v_add_co_u32 v5, vcc_lo, s54, v5
	v_add_co_ci_u32_e32 v6, vcc_lo, s55, v6, vcc_lo
	s_delay_alu instid0(VALU_DEP_2) | instskip(NEXT) | instid1(VALU_DEP_2)
	v_add_co_u32 v5, vcc_lo, v5, v9
	v_add_co_ci_u32_e32 v6, vcc_lo, 0, v6, vcc_lo
	s_waitcnt lgkmcnt(0)
	global_store_b64 v[5:6], v[7:8], off
	s_or_b32 exec_lo, exec_lo, s2
	s_and_saveexec_b32 s2, s30
	s_cbranch_execz .LBB14_201
.LBB14_332:
	v_lshlrev_b32_e32 v5, 3, v109
	v_lshlrev_b32_e32 v7, 3, v1
	;; [unrolled: 1-line block ×3, first 2 shown]
	ds_load_b64 v[5:6], v5
	ds_load_b64 v[7:8], v7 offset:14336
	s_waitcnt lgkmcnt(1)
	v_lshlrev_b64 v[5:6], 3, v[5:6]
	s_delay_alu instid0(VALU_DEP_1) | instskip(NEXT) | instid1(VALU_DEP_2)
	v_add_co_u32 v5, vcc_lo, s54, v5
	v_add_co_ci_u32_e32 v6, vcc_lo, s55, v6, vcc_lo
	s_delay_alu instid0(VALU_DEP_2) | instskip(NEXT) | instid1(VALU_DEP_2)
	v_add_co_u32 v5, vcc_lo, v5, v9
	v_add_co_ci_u32_e32 v6, vcc_lo, 0, v6, vcc_lo
	s_waitcnt lgkmcnt(0)
	global_store_b64 v[5:6], v[7:8], off
	s_or_b32 exec_lo, exec_lo, s2
	s_and_saveexec_b32 s2, s31
	s_cbranch_execz .LBB14_202
.LBB14_333:
	v_lshlrev_b32_e32 v5, 3, v108
	v_lshlrev_b32_e32 v7, 3, v1
	;; [unrolled: 1-line block ×3, first 2 shown]
	ds_load_b64 v[5:6], v5
	ds_load_b64 v[7:8], v7 offset:16384
	s_waitcnt lgkmcnt(1)
	v_lshlrev_b64 v[5:6], 3, v[5:6]
	s_delay_alu instid0(VALU_DEP_1) | instskip(NEXT) | instid1(VALU_DEP_2)
	v_add_co_u32 v5, vcc_lo, s54, v5
	v_add_co_ci_u32_e32 v6, vcc_lo, s55, v6, vcc_lo
	s_delay_alu instid0(VALU_DEP_2) | instskip(NEXT) | instid1(VALU_DEP_2)
	v_add_co_u32 v5, vcc_lo, v5, v9
	v_add_co_ci_u32_e32 v6, vcc_lo, 0, v6, vcc_lo
	s_waitcnt lgkmcnt(0)
	global_store_b64 v[5:6], v[7:8], off
	s_or_b32 exec_lo, exec_lo, s2
	s_and_saveexec_b32 s2, s33
	s_cbranch_execz .LBB14_203
.LBB14_334:
	v_lshlrev_b32_e32 v5, 3, v107
	v_lshlrev_b32_e32 v7, 3, v1
	;; [unrolled: 1-line block ×3, first 2 shown]
	ds_load_b64 v[5:6], v5
	ds_load_b64 v[7:8], v7 offset:18432
	s_waitcnt lgkmcnt(1)
	v_lshlrev_b64 v[5:6], 3, v[5:6]
	s_delay_alu instid0(VALU_DEP_1) | instskip(NEXT) | instid1(VALU_DEP_2)
	v_add_co_u32 v5, vcc_lo, s54, v5
	v_add_co_ci_u32_e32 v6, vcc_lo, s55, v6, vcc_lo
	s_delay_alu instid0(VALU_DEP_2) | instskip(NEXT) | instid1(VALU_DEP_2)
	v_add_co_u32 v5, vcc_lo, v5, v9
	v_add_co_ci_u32_e32 v6, vcc_lo, 0, v6, vcc_lo
	s_waitcnt lgkmcnt(0)
	global_store_b64 v[5:6], v[7:8], off
	s_or_b32 exec_lo, exec_lo, s2
	s_and_saveexec_b32 s2, s34
	s_cbranch_execz .LBB14_204
.LBB14_335:
	v_lshlrev_b32_e32 v5, 3, v106
	v_lshlrev_b32_e32 v7, 3, v1
	;; [unrolled: 1-line block ×3, first 2 shown]
	ds_load_b64 v[5:6], v5
	ds_load_b64 v[7:8], v7 offset:20480
	s_waitcnt lgkmcnt(1)
	v_lshlrev_b64 v[5:6], 3, v[5:6]
	s_delay_alu instid0(VALU_DEP_1) | instskip(NEXT) | instid1(VALU_DEP_2)
	v_add_co_u32 v5, vcc_lo, s54, v5
	v_add_co_ci_u32_e32 v6, vcc_lo, s55, v6, vcc_lo
	s_delay_alu instid0(VALU_DEP_2) | instskip(NEXT) | instid1(VALU_DEP_2)
	v_add_co_u32 v5, vcc_lo, v5, v9
	v_add_co_ci_u32_e32 v6, vcc_lo, 0, v6, vcc_lo
	s_waitcnt lgkmcnt(0)
	global_store_b64 v[5:6], v[7:8], off
	s_or_b32 exec_lo, exec_lo, s2
	s_and_saveexec_b32 s2, s35
	s_cbranch_execz .LBB14_205
.LBB14_336:
	v_lshlrev_b32_e32 v5, 3, v105
	v_lshlrev_b32_e32 v7, 3, v1
	;; [unrolled: 1-line block ×3, first 2 shown]
	ds_load_b64 v[5:6], v5
	ds_load_b64 v[7:8], v7 offset:22528
	s_waitcnt lgkmcnt(1)
	v_lshlrev_b64 v[5:6], 3, v[5:6]
	s_delay_alu instid0(VALU_DEP_1) | instskip(NEXT) | instid1(VALU_DEP_2)
	v_add_co_u32 v5, vcc_lo, s54, v5
	v_add_co_ci_u32_e32 v6, vcc_lo, s55, v6, vcc_lo
	s_delay_alu instid0(VALU_DEP_2) | instskip(NEXT) | instid1(VALU_DEP_2)
	v_add_co_u32 v5, vcc_lo, v5, v9
	v_add_co_ci_u32_e32 v6, vcc_lo, 0, v6, vcc_lo
	s_waitcnt lgkmcnt(0)
	global_store_b64 v[5:6], v[7:8], off
	s_or_b32 exec_lo, exec_lo, s2
	s_and_saveexec_b32 s2, s36
	s_cbranch_execz .LBB14_206
.LBB14_337:
	v_lshlrev_b32_e32 v5, 3, v104
	v_lshlrev_b32_e32 v7, 3, v1
	;; [unrolled: 1-line block ×3, first 2 shown]
	ds_load_b64 v[5:6], v5
	ds_load_b64 v[7:8], v7 offset:24576
	s_waitcnt lgkmcnt(1)
	v_lshlrev_b64 v[5:6], 3, v[5:6]
	s_delay_alu instid0(VALU_DEP_1) | instskip(NEXT) | instid1(VALU_DEP_2)
	v_add_co_u32 v5, vcc_lo, s54, v5
	v_add_co_ci_u32_e32 v6, vcc_lo, s55, v6, vcc_lo
	s_delay_alu instid0(VALU_DEP_2) | instskip(NEXT) | instid1(VALU_DEP_2)
	v_add_co_u32 v5, vcc_lo, v5, v9
	v_add_co_ci_u32_e32 v6, vcc_lo, 0, v6, vcc_lo
	s_waitcnt lgkmcnt(0)
	global_store_b64 v[5:6], v[7:8], off
	s_or_b32 exec_lo, exec_lo, s2
	s_and_saveexec_b32 s2, s37
	s_cbranch_execz .LBB14_207
.LBB14_338:
	v_lshlrev_b32_e32 v5, 3, v103
	v_lshlrev_b32_e32 v7, 3, v1
	;; [unrolled: 1-line block ×3, first 2 shown]
	ds_load_b64 v[5:6], v5
	ds_load_b64 v[7:8], v7 offset:26624
	s_waitcnt lgkmcnt(1)
	v_lshlrev_b64 v[5:6], 3, v[5:6]
	s_delay_alu instid0(VALU_DEP_1) | instskip(NEXT) | instid1(VALU_DEP_2)
	v_add_co_u32 v5, vcc_lo, s54, v5
	v_add_co_ci_u32_e32 v6, vcc_lo, s55, v6, vcc_lo
	s_delay_alu instid0(VALU_DEP_2) | instskip(NEXT) | instid1(VALU_DEP_2)
	v_add_co_u32 v5, vcc_lo, v5, v9
	v_add_co_ci_u32_e32 v6, vcc_lo, 0, v6, vcc_lo
	s_waitcnt lgkmcnt(0)
	global_store_b64 v[5:6], v[7:8], off
	s_or_b32 exec_lo, exec_lo, s2
	s_and_saveexec_b32 s2, s38
	s_cbranch_execz .LBB14_208
.LBB14_339:
	v_lshlrev_b32_e32 v5, 3, v102
	v_lshlrev_b32_e32 v7, 3, v1
	;; [unrolled: 1-line block ×3, first 2 shown]
	ds_load_b64 v[5:6], v5
	ds_load_b64 v[7:8], v7 offset:28672
	s_waitcnt lgkmcnt(1)
	v_lshlrev_b64 v[5:6], 3, v[5:6]
	s_delay_alu instid0(VALU_DEP_1) | instskip(NEXT) | instid1(VALU_DEP_2)
	v_add_co_u32 v5, vcc_lo, s54, v5
	v_add_co_ci_u32_e32 v6, vcc_lo, s55, v6, vcc_lo
	s_delay_alu instid0(VALU_DEP_2) | instskip(NEXT) | instid1(VALU_DEP_2)
	v_add_co_u32 v5, vcc_lo, v5, v9
	v_add_co_ci_u32_e32 v6, vcc_lo, 0, v6, vcc_lo
	s_waitcnt lgkmcnt(0)
	global_store_b64 v[5:6], v[7:8], off
	s_or_b32 exec_lo, exec_lo, s2
	s_and_saveexec_b32 s2, s39
	s_cbranch_execz .LBB14_209
.LBB14_340:
	v_lshlrev_b32_e32 v5, 3, v101
	v_lshlrev_b32_e32 v7, 3, v1
	;; [unrolled: 1-line block ×3, first 2 shown]
	ds_load_b64 v[5:6], v5
	ds_load_b64 v[7:8], v7 offset:30720
	s_waitcnt lgkmcnt(1)
	v_lshlrev_b64 v[5:6], 3, v[5:6]
	s_delay_alu instid0(VALU_DEP_1) | instskip(NEXT) | instid1(VALU_DEP_2)
	v_add_co_u32 v5, vcc_lo, s54, v5
	v_add_co_ci_u32_e32 v6, vcc_lo, s55, v6, vcc_lo
	s_delay_alu instid0(VALU_DEP_2) | instskip(NEXT) | instid1(VALU_DEP_2)
	v_add_co_u32 v5, vcc_lo, v5, v9
	v_add_co_ci_u32_e32 v6, vcc_lo, 0, v6, vcc_lo
	s_waitcnt lgkmcnt(0)
	global_store_b64 v[5:6], v[7:8], off
	s_or_b32 exec_lo, exec_lo, s2
	s_and_saveexec_b32 s2, s40
	s_cbranch_execz .LBB14_210
.LBB14_341:
	v_lshlrev_b32_e32 v5, 3, v100
	v_lshlrev_b32_e32 v7, 3, v1
	v_lshlrev_b32_e32 v9, 3, v89
	ds_load_b64 v[5:6], v5
	ds_load_b64 v[7:8], v7 offset:32768
	s_waitcnt lgkmcnt(1)
	v_lshlrev_b64 v[5:6], 3, v[5:6]
	s_delay_alu instid0(VALU_DEP_1) | instskip(NEXT) | instid1(VALU_DEP_2)
	v_add_co_u32 v5, vcc_lo, s54, v5
	v_add_co_ci_u32_e32 v6, vcc_lo, s55, v6, vcc_lo
	s_delay_alu instid0(VALU_DEP_2) | instskip(NEXT) | instid1(VALU_DEP_2)
	v_add_co_u32 v5, vcc_lo, v5, v9
	v_add_co_ci_u32_e32 v6, vcc_lo, 0, v6, vcc_lo
	s_waitcnt lgkmcnt(0)
	global_store_b64 v[5:6], v[7:8], off
	s_or_b32 exec_lo, exec_lo, s2
	s_and_saveexec_b32 s2, s41
	s_cbranch_execz .LBB14_211
.LBB14_342:
	v_lshlrev_b32_e32 v5, 3, v99
	v_lshlrev_b32_e32 v7, 3, v1
	;; [unrolled: 1-line block ×3, first 2 shown]
	ds_load_b64 v[5:6], v5
	ds_load_b64 v[7:8], v7 offset:34816
	s_waitcnt lgkmcnt(1)
	v_lshlrev_b64 v[5:6], 3, v[5:6]
	s_delay_alu instid0(VALU_DEP_1) | instskip(NEXT) | instid1(VALU_DEP_2)
	v_add_co_u32 v5, vcc_lo, s54, v5
	v_add_co_ci_u32_e32 v6, vcc_lo, s55, v6, vcc_lo
	s_delay_alu instid0(VALU_DEP_2) | instskip(NEXT) | instid1(VALU_DEP_2)
	v_add_co_u32 v5, vcc_lo, v5, v9
	v_add_co_ci_u32_e32 v6, vcc_lo, 0, v6, vcc_lo
	s_waitcnt lgkmcnt(0)
	global_store_b64 v[5:6], v[7:8], off
	s_or_b32 exec_lo, exec_lo, s2
	s_and_saveexec_b32 s2, s42
	s_cbranch_execz .LBB14_212
.LBB14_343:
	v_lshlrev_b32_e32 v5, 3, v98
	v_lshlrev_b32_e32 v7, 3, v1
	;; [unrolled: 1-line block ×3, first 2 shown]
	ds_load_b64 v[5:6], v5
	ds_load_b64 v[7:8], v7 offset:36864
	s_waitcnt lgkmcnt(1)
	v_lshlrev_b64 v[5:6], 3, v[5:6]
	s_delay_alu instid0(VALU_DEP_1) | instskip(NEXT) | instid1(VALU_DEP_2)
	v_add_co_u32 v5, vcc_lo, s54, v5
	v_add_co_ci_u32_e32 v6, vcc_lo, s55, v6, vcc_lo
	s_delay_alu instid0(VALU_DEP_2) | instskip(NEXT) | instid1(VALU_DEP_2)
	v_add_co_u32 v5, vcc_lo, v5, v9
	v_add_co_ci_u32_e32 v6, vcc_lo, 0, v6, vcc_lo
	s_waitcnt lgkmcnt(0)
	global_store_b64 v[5:6], v[7:8], off
	s_or_b32 exec_lo, exec_lo, s2
	s_and_saveexec_b32 s2, s43
	s_cbranch_execz .LBB14_213
.LBB14_344:
	v_lshlrev_b32_e32 v5, 3, v97
	v_lshlrev_b32_e32 v7, 3, v1
	;; [unrolled: 1-line block ×3, first 2 shown]
	ds_load_b64 v[5:6], v5
	ds_load_b64 v[7:8], v7 offset:38912
	s_waitcnt lgkmcnt(1)
	v_lshlrev_b64 v[5:6], 3, v[5:6]
	s_delay_alu instid0(VALU_DEP_1) | instskip(NEXT) | instid1(VALU_DEP_2)
	v_add_co_u32 v5, vcc_lo, s54, v5
	v_add_co_ci_u32_e32 v6, vcc_lo, s55, v6, vcc_lo
	s_delay_alu instid0(VALU_DEP_2) | instskip(NEXT) | instid1(VALU_DEP_2)
	v_add_co_u32 v5, vcc_lo, v5, v9
	v_add_co_ci_u32_e32 v6, vcc_lo, 0, v6, vcc_lo
	s_waitcnt lgkmcnt(0)
	global_store_b64 v[5:6], v[7:8], off
	s_or_b32 exec_lo, exec_lo, s2
	s_and_saveexec_b32 s2, s44
	s_cbranch_execz .LBB14_214
.LBB14_345:
	v_lshlrev_b32_e32 v5, 3, v96
	v_lshlrev_b32_e32 v7, 3, v1
	v_lshlrev_b32_e32 v9, 3, v93
	ds_load_b64 v[5:6], v5
	ds_load_b64 v[7:8], v7 offset:40960
	s_waitcnt lgkmcnt(1)
	v_lshlrev_b64 v[5:6], 3, v[5:6]
	s_delay_alu instid0(VALU_DEP_1) | instskip(NEXT) | instid1(VALU_DEP_2)
	v_add_co_u32 v5, vcc_lo, s54, v5
	v_add_co_ci_u32_e32 v6, vcc_lo, s55, v6, vcc_lo
	s_delay_alu instid0(VALU_DEP_2) | instskip(NEXT) | instid1(VALU_DEP_2)
	v_add_co_u32 v5, vcc_lo, v5, v9
	v_add_co_ci_u32_e32 v6, vcc_lo, 0, v6, vcc_lo
	s_waitcnt lgkmcnt(0)
	global_store_b64 v[5:6], v[7:8], off
	s_or_b32 exec_lo, exec_lo, s2
	s_and_saveexec_b32 s2, s45
	s_cbranch_execz .LBB14_215
.LBB14_346:
	v_lshlrev_b32_e32 v5, 3, v50
	v_lshlrev_b32_e32 v7, 3, v1
	;; [unrolled: 1-line block ×3, first 2 shown]
	ds_load_b64 v[5:6], v5
	ds_load_b64 v[7:8], v7 offset:43008
	s_waitcnt lgkmcnt(1)
	v_lshlrev_b64 v[5:6], 3, v[5:6]
	s_delay_alu instid0(VALU_DEP_1) | instskip(NEXT) | instid1(VALU_DEP_2)
	v_add_co_u32 v5, vcc_lo, s54, v5
	v_add_co_ci_u32_e32 v6, vcc_lo, s55, v6, vcc_lo
	s_delay_alu instid0(VALU_DEP_2) | instskip(NEXT) | instid1(VALU_DEP_2)
	v_add_co_u32 v5, vcc_lo, v5, v9
	v_add_co_ci_u32_e32 v6, vcc_lo, 0, v6, vcc_lo
	s_waitcnt lgkmcnt(0)
	global_store_b64 v[5:6], v[7:8], off
	s_or_b32 exec_lo, exec_lo, s2
	s_and_saveexec_b32 s2, s46
	s_cbranch_execnz .LBB14_216
	s_branch .LBB14_217
	.section	.rodata,"a",@progbits
	.p2align	6, 0x0
	.amdhsa_kernel _ZN7rocprim17ROCPRIM_304000_NS6detail25onesweep_iteration_kernelINS1_34wrapped_radix_sort_onesweep_configINS0_14default_configEhN2at4cuda3cub6detail10OpaqueTypeILi8EEEEELb1EPKhPhPKSA_PSA_mNS0_19identity_decomposerEEEvT1_T2_T3_T4_jPT5_SO_PNS1_23onesweep_lookback_stateET6_jjj
		.amdhsa_group_segment_fixed_size 47104
		.amdhsa_private_segment_fixed_size 0
		.amdhsa_kernarg_size 336
		.amdhsa_user_sgpr_count 15
		.amdhsa_user_sgpr_dispatch_ptr 0
		.amdhsa_user_sgpr_queue_ptr 0
		.amdhsa_user_sgpr_kernarg_segment_ptr 1
		.amdhsa_user_sgpr_dispatch_id 0
		.amdhsa_user_sgpr_private_segment_size 0
		.amdhsa_wavefront_size32 1
		.amdhsa_uses_dynamic_stack 0
		.amdhsa_enable_private_segment 0
		.amdhsa_system_sgpr_workgroup_id_x 1
		.amdhsa_system_sgpr_workgroup_id_y 0
		.amdhsa_system_sgpr_workgroup_id_z 0
		.amdhsa_system_sgpr_workgroup_info 0
		.amdhsa_system_vgpr_workitem_id 2
		.amdhsa_next_free_vgpr 128
		.amdhsa_next_free_sgpr 72
		.amdhsa_reserve_vcc 1
		.amdhsa_float_round_mode_32 0
		.amdhsa_float_round_mode_16_64 0
		.amdhsa_float_denorm_mode_32 3
		.amdhsa_float_denorm_mode_16_64 3
		.amdhsa_dx10_clamp 1
		.amdhsa_ieee_mode 1
		.amdhsa_fp16_overflow 0
		.amdhsa_workgroup_processor_mode 1
		.amdhsa_memory_ordered 1
		.amdhsa_forward_progress 0
		.amdhsa_shared_vgpr_count 0
		.amdhsa_exception_fp_ieee_invalid_op 0
		.amdhsa_exception_fp_denorm_src 0
		.amdhsa_exception_fp_ieee_div_zero 0
		.amdhsa_exception_fp_ieee_overflow 0
		.amdhsa_exception_fp_ieee_underflow 0
		.amdhsa_exception_fp_ieee_inexact 0
		.amdhsa_exception_int_div_zero 0
	.end_amdhsa_kernel
	.section	.text._ZN7rocprim17ROCPRIM_304000_NS6detail25onesweep_iteration_kernelINS1_34wrapped_radix_sort_onesweep_configINS0_14default_configEhN2at4cuda3cub6detail10OpaqueTypeILi8EEEEELb1EPKhPhPKSA_PSA_mNS0_19identity_decomposerEEEvT1_T2_T3_T4_jPT5_SO_PNS1_23onesweep_lookback_stateET6_jjj,"axG",@progbits,_ZN7rocprim17ROCPRIM_304000_NS6detail25onesweep_iteration_kernelINS1_34wrapped_radix_sort_onesweep_configINS0_14default_configEhN2at4cuda3cub6detail10OpaqueTypeILi8EEEEELb1EPKhPhPKSA_PSA_mNS0_19identity_decomposerEEEvT1_T2_T3_T4_jPT5_SO_PNS1_23onesweep_lookback_stateET6_jjj,comdat
.Lfunc_end14:
	.size	_ZN7rocprim17ROCPRIM_304000_NS6detail25onesweep_iteration_kernelINS1_34wrapped_radix_sort_onesweep_configINS0_14default_configEhN2at4cuda3cub6detail10OpaqueTypeILi8EEEEELb1EPKhPhPKSA_PSA_mNS0_19identity_decomposerEEEvT1_T2_T3_T4_jPT5_SO_PNS1_23onesweep_lookback_stateET6_jjj, .Lfunc_end14-_ZN7rocprim17ROCPRIM_304000_NS6detail25onesweep_iteration_kernelINS1_34wrapped_radix_sort_onesweep_configINS0_14default_configEhN2at4cuda3cub6detail10OpaqueTypeILi8EEEEELb1EPKhPhPKSA_PSA_mNS0_19identity_decomposerEEEvT1_T2_T3_T4_jPT5_SO_PNS1_23onesweep_lookback_stateET6_jjj
                                        ; -- End function
	.section	.AMDGPU.csdata,"",@progbits
; Kernel info:
; codeLenInByte = 31724
; NumSgprs: 74
; NumVgprs: 128
; ScratchSize: 0
; MemoryBound: 0
; FloatMode: 240
; IeeeMode: 1
; LDSByteSize: 47104 bytes/workgroup (compile time only)
; SGPRBlocks: 9
; VGPRBlocks: 15
; NumSGPRsForWavesPerEU: 74
; NumVGPRsForWavesPerEU: 128
; Occupancy: 4
; WaveLimiterHint : 1
; COMPUTE_PGM_RSRC2:SCRATCH_EN: 0
; COMPUTE_PGM_RSRC2:USER_SGPR: 15
; COMPUTE_PGM_RSRC2:TRAP_HANDLER: 0
; COMPUTE_PGM_RSRC2:TGID_X_EN: 1
; COMPUTE_PGM_RSRC2:TGID_Y_EN: 0
; COMPUTE_PGM_RSRC2:TGID_Z_EN: 0
; COMPUTE_PGM_RSRC2:TIDIG_COMP_CNT: 2
	.section	.text._ZN7rocprim17ROCPRIM_304000_NS6detail25onesweep_iteration_kernelINS1_34wrapped_radix_sort_onesweep_configINS0_14default_configEhN2at4cuda3cub6detail10OpaqueTypeILi8EEEEELb1EPhSC_PSA_SD_mNS0_19identity_decomposerEEEvT1_T2_T3_T4_jPT5_SK_PNS1_23onesweep_lookback_stateET6_jjj,"axG",@progbits,_ZN7rocprim17ROCPRIM_304000_NS6detail25onesweep_iteration_kernelINS1_34wrapped_radix_sort_onesweep_configINS0_14default_configEhN2at4cuda3cub6detail10OpaqueTypeILi8EEEEELb1EPhSC_PSA_SD_mNS0_19identity_decomposerEEEvT1_T2_T3_T4_jPT5_SK_PNS1_23onesweep_lookback_stateET6_jjj,comdat
	.protected	_ZN7rocprim17ROCPRIM_304000_NS6detail25onesweep_iteration_kernelINS1_34wrapped_radix_sort_onesweep_configINS0_14default_configEhN2at4cuda3cub6detail10OpaqueTypeILi8EEEEELb1EPhSC_PSA_SD_mNS0_19identity_decomposerEEEvT1_T2_T3_T4_jPT5_SK_PNS1_23onesweep_lookback_stateET6_jjj ; -- Begin function _ZN7rocprim17ROCPRIM_304000_NS6detail25onesweep_iteration_kernelINS1_34wrapped_radix_sort_onesweep_configINS0_14default_configEhN2at4cuda3cub6detail10OpaqueTypeILi8EEEEELb1EPhSC_PSA_SD_mNS0_19identity_decomposerEEEvT1_T2_T3_T4_jPT5_SK_PNS1_23onesweep_lookback_stateET6_jjj
	.globl	_ZN7rocprim17ROCPRIM_304000_NS6detail25onesweep_iteration_kernelINS1_34wrapped_radix_sort_onesweep_configINS0_14default_configEhN2at4cuda3cub6detail10OpaqueTypeILi8EEEEELb1EPhSC_PSA_SD_mNS0_19identity_decomposerEEEvT1_T2_T3_T4_jPT5_SK_PNS1_23onesweep_lookback_stateET6_jjj
	.p2align	8
	.type	_ZN7rocprim17ROCPRIM_304000_NS6detail25onesweep_iteration_kernelINS1_34wrapped_radix_sort_onesweep_configINS0_14default_configEhN2at4cuda3cub6detail10OpaqueTypeILi8EEEEELb1EPhSC_PSA_SD_mNS0_19identity_decomposerEEEvT1_T2_T3_T4_jPT5_SK_PNS1_23onesweep_lookback_stateET6_jjj,@function
_ZN7rocprim17ROCPRIM_304000_NS6detail25onesweep_iteration_kernelINS1_34wrapped_radix_sort_onesweep_configINS0_14default_configEhN2at4cuda3cub6detail10OpaqueTypeILi8EEEEELb1EPhSC_PSA_SD_mNS0_19identity_decomposerEEEvT1_T2_T3_T4_jPT5_SK_PNS1_23onesweep_lookback_stateET6_jjj: ; @_ZN7rocprim17ROCPRIM_304000_NS6detail25onesweep_iteration_kernelINS1_34wrapped_radix_sort_onesweep_configINS0_14default_configEhN2at4cuda3cub6detail10OpaqueTypeILi8EEEEELb1EPhSC_PSA_SD_mNS0_19identity_decomposerEEEvT1_T2_T3_T4_jPT5_SK_PNS1_23onesweep_lookback_stateET6_jjj
; %bb.0:
	s_clause 0x3
	s_load_b128 s[60:63], s[0:1], 0x44
	s_load_b256 s[48:55], s[0:1], 0x0
	s_load_b128 s[56:59], s[0:1], 0x28
	s_load_b64 s[66:67], s[0:1], 0x38
	v_and_b32_e32 v1, 0x3ff, v0
	v_mbcnt_lo_u32_b32 v51, -1, 0
	s_waitcnt lgkmcnt(0)
	s_mov_b32 s63, s15
	s_mul_i32 s64, s15, 0x1600
	s_cmp_ge_u32 s15, s62
	s_cbranch_scc0 .LBB15_218
; %bb.1:
	s_load_b32 s2, s[0:1], 0x20
	v_dual_mov_b32 v12, 0 :: v_dual_and_b32 v11, 0xe0, v1
	s_mul_i32 s47, s62, 0xffffea00
	v_mov_b32_e32 v13, 0
	s_mov_b32 s65, 0
	s_delay_alu instid0(VALU_DEP_2) | instskip(NEXT) | instid1(VALU_DEP_1)
	v_mul_u32_u24_e32 v10, 22, v11
	v_or_b32_e32 v14, v51, v10
	s_waitcnt lgkmcnt(0)
	s_add_i32 s47, s47, s2
	s_add_u32 s2, s48, s64
	s_addc_u32 s3, s49, 0
	v_add_co_u32 v2, s2, s2, v51
	s_delay_alu instid0(VALU_DEP_1) | instskip(SKIP_1) | instid1(VALU_DEP_3)
	v_add_co_ci_u32_e64 v3, null, s3, 0, s2
	v_cmp_gt_u32_e32 vcc_lo, s47, v14
	v_add_co_u32 v2, s2, v2, v10
	s_delay_alu instid0(VALU_DEP_1)
	v_add_co_ci_u32_e64 v3, s2, 0, v3, s2
	s_and_saveexec_b32 s2, vcc_lo
	s_cbranch_execz .LBB15_3
; %bb.2:
	global_load_u8 v12, v[2:3], off
.LBB15_3:
	s_or_b32 exec_lo, exec_lo, s2
	v_add_nc_u32_e32 v4, 32, v14
	s_delay_alu instid0(VALU_DEP_1) | instskip(NEXT) | instid1(VALU_DEP_1)
	v_cmp_gt_u32_e64 s2, s47, v4
	s_and_saveexec_b32 s3, s2
	s_cbranch_execz .LBB15_5
; %bb.4:
	global_load_u8 v13, v[2:3], off offset:32
.LBB15_5:
	s_or_b32 exec_lo, exec_lo, s3
	v_dual_mov_b32 v21, 0 :: v_dual_add_nc_u32 v4, 64, v14
	v_mov_b32_e32 v17, 0
	s_delay_alu instid0(VALU_DEP_2) | instskip(NEXT) | instid1(VALU_DEP_1)
	v_cmp_gt_u32_e64 s3, s47, v4
	s_and_saveexec_b32 s4, s3
	s_cbranch_execz .LBB15_7
; %bb.6:
	global_load_u8 v17, v[2:3], off offset:64
.LBB15_7:
	s_or_b32 exec_lo, exec_lo, s4
	v_add_nc_u32_e32 v4, 0x60, v14
	s_delay_alu instid0(VALU_DEP_1) | instskip(NEXT) | instid1(VALU_DEP_1)
	v_cmp_gt_u32_e64 s4, s47, v4
	s_and_saveexec_b32 s5, s4
	s_cbranch_execz .LBB15_9
; %bb.8:
	global_load_u8 v21, v[2:3], off offset:96
.LBB15_9:
	s_or_b32 exec_lo, exec_lo, s5
	v_dual_mov_b32 v29, 0 :: v_dual_add_nc_u32 v4, 0x80, v14
	v_mov_b32_e32 v25, 0
	s_delay_alu instid0(VALU_DEP_2) | instskip(NEXT) | instid1(VALU_DEP_1)
	v_cmp_gt_u32_e64 s5, s47, v4
	s_and_saveexec_b32 s6, s5
	s_cbranch_execz .LBB15_11
; %bb.10:
	global_load_u8 v25, v[2:3], off offset:128
.LBB15_11:
	;; [unrolled: 19-line block ×5, first 2 shown]
	s_or_b32 exec_lo, exec_lo, s12
	v_add_nc_u32_e32 v4, 0x160, v14
	s_delay_alu instid0(VALU_DEP_1) | instskip(NEXT) | instid1(VALU_DEP_1)
	v_cmp_gt_u32_e64 s12, s47, v4
	s_and_saveexec_b32 s13, s12
	s_cbranch_execz .LBB15_25
; %bb.24:
	global_load_u8 v58, v[2:3], off offset:352
.LBB15_25:
	s_or_b32 exec_lo, exec_lo, s13
	v_add_nc_u32_e32 v4, 0x180, v14
	v_mov_b32_e32 v50, 0
	v_mov_b32_e32 v56, 0
	s_delay_alu instid0(VALU_DEP_3) | instskip(NEXT) | instid1(VALU_DEP_1)
	v_cmp_gt_u32_e64 s13, s47, v4
	s_and_saveexec_b32 s14, s13
	s_cbranch_execz .LBB15_27
; %bb.26:
	global_load_u8 v56, v[2:3], off offset:384
.LBB15_27:
	s_or_b32 exec_lo, exec_lo, s14
	v_add_nc_u32_e32 v4, 0x1a0, v14
	s_delay_alu instid0(VALU_DEP_1) | instskip(NEXT) | instid1(VALU_DEP_1)
	v_cmp_gt_u32_e64 s14, s47, v4
	s_and_saveexec_b32 s16, s14
	s_cbranch_execz .LBB15_29
; %bb.28:
	global_load_u8 v50, v[2:3], off offset:416
.LBB15_29:
	s_or_b32 exec_lo, exec_lo, s16
	v_dual_mov_b32 v41, 0 :: v_dual_add_nc_u32 v4, 0x1c0, v14
	v_mov_b32_e32 v46, 0
	s_delay_alu instid0(VALU_DEP_2) | instskip(NEXT) | instid1(VALU_DEP_1)
	v_cmp_gt_u32_e64 s16, s47, v4
	s_and_saveexec_b32 s17, s16
	s_cbranch_execz .LBB15_31
; %bb.30:
	global_load_u8 v46, v[2:3], off offset:448
.LBB15_31:
	s_or_b32 exec_lo, exec_lo, s17
	v_add_nc_u32_e32 v4, 0x1e0, v14
	s_delay_alu instid0(VALU_DEP_1) | instskip(NEXT) | instid1(VALU_DEP_1)
	v_cmp_gt_u32_e64 s18, s47, v4
	s_and_saveexec_b32 s17, s18
	s_cbranch_execz .LBB15_33
; %bb.32:
	global_load_u8 v41, v[2:3], off offset:480
.LBB15_33:
	s_or_b32 exec_lo, exec_lo, s17
	v_dual_mov_b32 v9, 0 :: v_dual_add_nc_u32 v4, 0x200, v14
	v_mov_b32_e32 v8, 0
	s_delay_alu instid0(VALU_DEP_2) | instskip(NEXT) | instid1(VALU_DEP_1)
	;; [unrolled: 19-line block ×3, first 2 shown]
	v_cmp_gt_u32_e64 s22, s47, v4
	s_and_saveexec_b32 s17, s22
	s_cbranch_execz .LBB15_39
; %bb.38:
	global_load_u8 v7, v[2:3], off offset:576
.LBB15_39:
	s_or_b32 exec_lo, exec_lo, s17
	v_add_nc_u32_e32 v4, 0x260, v14
	s_delay_alu instid0(VALU_DEP_1) | instskip(NEXT) | instid1(VALU_DEP_1)
	v_cmp_gt_u32_e64 s19, s47, v4
	s_and_saveexec_b32 s17, s19
	s_cbranch_execz .LBB15_41
; %bb.40:
	global_load_u8 v6, v[2:3], off offset:608
.LBB15_41:
	s_or_b32 exec_lo, exec_lo, s17
	v_dual_mov_b32 v4, 0 :: v_dual_add_nc_u32 v5, 0x280, v14
	s_delay_alu instid0(VALU_DEP_1) | instskip(SKIP_1) | instid1(VALU_DEP_2)
	v_cmp_gt_u32_e64 s20, s47, v5
	v_mov_b32_e32 v5, 0
	s_and_saveexec_b32 s17, s20
	s_cbranch_execz .LBB15_43
; %bb.42:
	global_load_u8 v5, v[2:3], off offset:640
.LBB15_43:
	s_or_b32 exec_lo, exec_lo, s17
	v_add_nc_u32_e32 v14, 0x2a0, v14
	s_delay_alu instid0(VALU_DEP_1) | instskip(NEXT) | instid1(VALU_DEP_1)
	v_cmp_gt_u32_e64 s17, s47, v14
	s_and_saveexec_b32 s24, s17
	s_cbranch_execz .LBB15_45
; %bb.44:
	global_load_u8 v4, v[2:3], off offset:672
.LBB15_45:
	s_or_b32 exec_lo, exec_lo, s24
	s_clause 0x1
	s_load_b32 s24, s[0:1], 0x5c
	s_load_b32 s62, s[0:1], 0x50
	s_add_u32 s25, s0, 0x50
	s_addc_u32 s26, s1, 0
	v_mov_b32_e32 v16, 0
	s_waitcnt vmcnt(0)
	v_xor_b32_e32 v12, -1, v12
	s_delay_alu instid0(VALU_DEP_1) | instskip(NEXT) | instid1(VALU_DEP_1)
	v_and_b32_e32 v2, 0xff, v12
	v_lshrrev_b32_e32 v2, s60, v2
	s_waitcnt lgkmcnt(0)
	s_lshr_b32 s27, s24, 16
	s_cmp_lt_u32 s15, s62
	s_cselect_b32 s24, 12, 18
	s_delay_alu instid0(SALU_CYCLE_1) | instskip(SKIP_3) | instid1(SALU_CYCLE_1)
	s_add_u32 s24, s25, s24
	s_addc_u32 s25, s26, 0
	global_load_u16 v14, v16, s[24:25]
	s_lshl_b32 s24, -1, s61
	s_not_b32 s68, s24
	s_delay_alu instid0(SALU_CYCLE_1) | instskip(SKIP_1) | instid1(VALU_DEP_2)
	v_and_b32_e32 v18, s68, v2
	v_bfe_u32 v2, v0, 10, 10
	v_and_b32_e32 v3, 1, v18
	v_lshlrev_b32_e32 v15, 30, v18
	v_lshlrev_b32_e32 v19, 29, v18
	;; [unrolled: 1-line block ×4, first 2 shown]
	v_add_co_u32 v3, s24, v3, -1
	s_delay_alu instid0(VALU_DEP_1)
	v_cndmask_b32_e64 v22, 0, 1, s24
	v_not_b32_e32 v27, v15
	v_cmp_gt_i32_e64 s25, 0, v15
	v_not_b32_e32 v15, v19
	v_lshlrev_b32_e32 v24, 26, v18
	v_cmp_ne_u32_e64 s24, 0, v22
	v_ashrrev_i32_e32 v27, 31, v27
	v_lshlrev_b32_e32 v26, 25, v18
	v_ashrrev_i32_e32 v15, 31, v15
	v_lshlrev_b32_e32 v22, 24, v18
	v_xor_b32_e32 v3, s24, v3
	v_cmp_gt_i32_e64 s24, 0, v19
	v_not_b32_e32 v19, v20
	v_xor_b32_e32 v27, s25, v27
	v_cmp_gt_i32_e64 s25, 0, v20
	v_and_b32_e32 v3, exec_lo, v3
	v_not_b32_e32 v20, v23
	v_ashrrev_i32_e32 v19, 31, v19
	v_xor_b32_e32 v15, s24, v15
	v_cmp_gt_i32_e64 s24, 0, v23
	v_and_b32_e32 v3, v3, v27
	v_not_b32_e32 v23, v24
	v_ashrrev_i32_e32 v20, 31, v20
	v_xor_b32_e32 v19, s25, v19
	v_cmp_gt_i32_e64 s25, 0, v24
	v_and_b32_e32 v3, v3, v15
	;; [unrolled: 5-line block ×4, first 2 shown]
	v_bfe_u32 v20, v0, 20, 10
	v_ashrrev_i32_e32 v19, 31, v19
	v_xor_b32_e32 v15, s24, v15
	v_mul_u32_u24_e32 v22, 9, v1
	v_and_b32_e32 v3, v3, v23
	v_mad_u32_u24 v20, v20, s27, v2
	v_xor_b32_e32 v19, s25, v19
	s_delay_alu instid0(VALU_DEP_3)
	v_and_b32_e32 v23, v3, v15
	v_lshlrev_b32_e32 v15, 2, v22
	ds_store_2addr_b32 v15, v16, v16 offset0:8 offset1:9
	ds_store_2addr_b32 v15, v16, v16 offset0:10 offset1:11
	ds_store_2addr_b32 v15, v16, v16 offset0:12 offset1:13
	ds_store_2addr_b32 v15, v16, v16 offset0:14 offset1:15
	ds_store_b32 v15, v16 offset:64
	v_mul_u32_u24_e32 v16, 9, v18
	s_waitcnt vmcnt(0) lgkmcnt(0)
	s_barrier
	buffer_gl0_inv
	; wave barrier
	v_mad_u64_u32 v[2:3], null, v20, v14, v[1:2]
	v_and_b32_e32 v3, v23, v19
	s_delay_alu instid0(VALU_DEP_1) | instskip(NEXT) | instid1(VALU_DEP_3)
	v_mbcnt_lo_u32_b32 v14, v3, 0
	v_lshrrev_b32_e32 v2, 5, v2
	v_cmp_ne_u32_e64 s25, 0, v3
	s_delay_alu instid0(VALU_DEP_3) | instskip(NEXT) | instid1(VALU_DEP_3)
	v_cmp_eq_u32_e64 s24, 0, v14
	v_add_lshl_u32 v16, v2, v16, 2
	s_delay_alu instid0(VALU_DEP_2) | instskip(NEXT) | instid1(SALU_CYCLE_1)
	s_and_b32 s25, s25, s24
	s_and_saveexec_b32 s24, s25
	s_cbranch_execz .LBB15_47
; %bb.46:
	v_bcnt_u32_b32 v3, v3, 0
	ds_store_b32 v16, v3 offset:32
.LBB15_47:
	s_or_b32 exec_lo, exec_lo, s24
	v_xor_b32_e32 v13, -1, v13
	; wave barrier
	s_delay_alu instid0(VALU_DEP_1) | instskip(NEXT) | instid1(VALU_DEP_1)
	v_and_b32_e32 v3, 0xff, v13
	v_lshrrev_b32_e32 v3, s60, v3
	s_delay_alu instid0(VALU_DEP_1) | instskip(NEXT) | instid1(VALU_DEP_1)
	v_and_b32_e32 v3, s68, v3
	v_and_b32_e32 v18, 1, v3
	v_lshlrev_b32_e32 v19, 30, v3
	v_lshlrev_b32_e32 v20, 29, v3
	;; [unrolled: 1-line block ×4, first 2 shown]
	v_add_co_u32 v18, s24, v18, -1
	s_delay_alu instid0(VALU_DEP_1)
	v_cndmask_b32_e64 v23, 0, 1, s24
	v_not_b32_e32 v28, v19
	v_cmp_gt_i32_e64 s25, 0, v19
	v_not_b32_e32 v19, v20
	v_lshlrev_b32_e32 v26, 26, v3
	v_cmp_ne_u32_e64 s24, 0, v23
	v_ashrrev_i32_e32 v28, 31, v28
	v_lshlrev_b32_e32 v27, 25, v3
	v_ashrrev_i32_e32 v19, 31, v19
	v_lshlrev_b32_e32 v23, 24, v3
	v_xor_b32_e32 v18, s24, v18
	v_cmp_gt_i32_e64 s24, 0, v20
	v_not_b32_e32 v20, v22
	v_xor_b32_e32 v28, s25, v28
	v_cmp_gt_i32_e64 s25, 0, v22
	v_and_b32_e32 v18, exec_lo, v18
	v_not_b32_e32 v22, v24
	v_ashrrev_i32_e32 v20, 31, v20
	v_xor_b32_e32 v19, s24, v19
	v_cmp_gt_i32_e64 s24, 0, v24
	v_and_b32_e32 v18, v18, v28
	v_not_b32_e32 v24, v26
	v_ashrrev_i32_e32 v22, 31, v22
	v_xor_b32_e32 v20, s25, v20
	v_cmp_gt_i32_e64 s25, 0, v26
	v_and_b32_e32 v18, v18, v19
	;; [unrolled: 5-line block ×3, first 2 shown]
	v_not_b32_e32 v20, v23
	v_ashrrev_i32_e32 v19, 31, v19
	v_xor_b32_e32 v24, s25, v24
	v_mul_u32_u24_e32 v3, 9, v3
	v_and_b32_e32 v18, v18, v22
	v_cmp_gt_i32_e64 s25, 0, v23
	v_ashrrev_i32_e32 v22, 31, v20
	v_xor_b32_e32 v19, s24, v19
	v_add_lshl_u32 v20, v2, v3, 2
	v_and_b32_e32 v18, v18, v24
	s_delay_alu instid0(VALU_DEP_4) | instskip(NEXT) | instid1(VALU_DEP_2)
	v_xor_b32_e32 v3, s25, v22
	v_and_b32_e32 v19, v18, v19
	ds_load_b32 v18, v20 offset:32
	; wave barrier
	v_and_b32_e32 v3, v19, v3
	s_delay_alu instid0(VALU_DEP_1) | instskip(SKIP_1) | instid1(VALU_DEP_2)
	v_mbcnt_lo_u32_b32 v19, v3, 0
	v_cmp_ne_u32_e64 s25, 0, v3
	v_cmp_eq_u32_e64 s24, 0, v19
	s_delay_alu instid0(VALU_DEP_1) | instskip(NEXT) | instid1(SALU_CYCLE_1)
	s_and_b32 s25, s25, s24
	s_and_saveexec_b32 s24, s25
	s_cbranch_execz .LBB15_49
; %bb.48:
	s_waitcnt lgkmcnt(0)
	v_bcnt_u32_b32 v3, v3, v18
	ds_store_b32 v20, v3 offset:32
.LBB15_49:
	s_or_b32 exec_lo, exec_lo, s24
	v_xor_b32_e32 v17, -1, v17
	; wave barrier
	s_delay_alu instid0(VALU_DEP_1) | instskip(NEXT) | instid1(VALU_DEP_1)
	v_and_b32_e32 v3, 0xff, v17
	v_lshrrev_b32_e32 v3, s60, v3
	s_delay_alu instid0(VALU_DEP_1) | instskip(NEXT) | instid1(VALU_DEP_1)
	v_and_b32_e32 v3, s68, v3
	v_and_b32_e32 v22, 1, v3
	v_lshlrev_b32_e32 v23, 30, v3
	v_lshlrev_b32_e32 v24, 29, v3
	;; [unrolled: 1-line block ×4, first 2 shown]
	v_add_co_u32 v22, s24, v22, -1
	s_delay_alu instid0(VALU_DEP_1)
	v_cndmask_b32_e64 v27, 0, 1, s24
	v_not_b32_e32 v32, v23
	v_cmp_gt_i32_e64 s25, 0, v23
	v_not_b32_e32 v23, v24
	v_lshlrev_b32_e32 v30, 26, v3
	v_cmp_ne_u32_e64 s24, 0, v27
	v_ashrrev_i32_e32 v32, 31, v32
	v_lshlrev_b32_e32 v31, 25, v3
	v_ashrrev_i32_e32 v23, 31, v23
	v_lshlrev_b32_e32 v27, 24, v3
	v_xor_b32_e32 v22, s24, v22
	v_cmp_gt_i32_e64 s24, 0, v24
	v_not_b32_e32 v24, v26
	v_xor_b32_e32 v32, s25, v32
	v_cmp_gt_i32_e64 s25, 0, v26
	v_and_b32_e32 v22, exec_lo, v22
	v_not_b32_e32 v26, v28
	v_ashrrev_i32_e32 v24, 31, v24
	v_xor_b32_e32 v23, s24, v23
	v_cmp_gt_i32_e64 s24, 0, v28
	v_and_b32_e32 v22, v22, v32
	v_not_b32_e32 v28, v30
	v_ashrrev_i32_e32 v26, 31, v26
	v_xor_b32_e32 v24, s25, v24
	v_cmp_gt_i32_e64 s25, 0, v30
	v_and_b32_e32 v22, v22, v23
	;; [unrolled: 5-line block ×3, first 2 shown]
	v_not_b32_e32 v24, v27
	v_ashrrev_i32_e32 v23, 31, v23
	v_xor_b32_e32 v28, s25, v28
	v_mul_u32_u24_e32 v3, 9, v3
	v_and_b32_e32 v22, v22, v26
	v_cmp_gt_i32_e64 s25, 0, v27
	v_ashrrev_i32_e32 v26, 31, v24
	v_xor_b32_e32 v23, s24, v23
	v_add_lshl_u32 v24, v2, v3, 2
	v_and_b32_e32 v22, v22, v28
	s_delay_alu instid0(VALU_DEP_4) | instskip(NEXT) | instid1(VALU_DEP_2)
	v_xor_b32_e32 v3, s25, v26
	v_and_b32_e32 v23, v22, v23
	ds_load_b32 v22, v24 offset:32
	; wave barrier
	v_and_b32_e32 v3, v23, v3
	s_delay_alu instid0(VALU_DEP_1) | instskip(SKIP_1) | instid1(VALU_DEP_2)
	v_mbcnt_lo_u32_b32 v23, v3, 0
	v_cmp_ne_u32_e64 s25, 0, v3
	v_cmp_eq_u32_e64 s24, 0, v23
	s_delay_alu instid0(VALU_DEP_1) | instskip(NEXT) | instid1(SALU_CYCLE_1)
	s_and_b32 s25, s25, s24
	s_and_saveexec_b32 s24, s25
	s_cbranch_execz .LBB15_51
; %bb.50:
	s_waitcnt lgkmcnt(0)
	v_bcnt_u32_b32 v3, v3, v22
	ds_store_b32 v24, v3 offset:32
.LBB15_51:
	s_or_b32 exec_lo, exec_lo, s24
	v_xor_b32_e32 v21, -1, v21
	; wave barrier
	s_delay_alu instid0(VALU_DEP_1) | instskip(NEXT) | instid1(VALU_DEP_1)
	v_and_b32_e32 v3, 0xff, v21
	v_lshrrev_b32_e32 v3, s60, v3
	s_delay_alu instid0(VALU_DEP_1) | instskip(NEXT) | instid1(VALU_DEP_1)
	v_and_b32_e32 v3, s68, v3
	v_and_b32_e32 v26, 1, v3
	v_lshlrev_b32_e32 v27, 30, v3
	v_lshlrev_b32_e32 v28, 29, v3
	;; [unrolled: 1-line block ×4, first 2 shown]
	v_add_co_u32 v26, s24, v26, -1
	s_delay_alu instid0(VALU_DEP_1)
	v_cndmask_b32_e64 v31, 0, 1, s24
	v_not_b32_e32 v36, v27
	v_cmp_gt_i32_e64 s25, 0, v27
	v_not_b32_e32 v27, v28
	v_lshlrev_b32_e32 v34, 26, v3
	v_cmp_ne_u32_e64 s24, 0, v31
	v_ashrrev_i32_e32 v36, 31, v36
	v_lshlrev_b32_e32 v35, 25, v3
	v_ashrrev_i32_e32 v27, 31, v27
	v_lshlrev_b32_e32 v31, 24, v3
	v_xor_b32_e32 v26, s24, v26
	v_cmp_gt_i32_e64 s24, 0, v28
	v_not_b32_e32 v28, v30
	v_xor_b32_e32 v36, s25, v36
	v_cmp_gt_i32_e64 s25, 0, v30
	v_and_b32_e32 v26, exec_lo, v26
	v_not_b32_e32 v30, v32
	v_ashrrev_i32_e32 v28, 31, v28
	v_xor_b32_e32 v27, s24, v27
	v_cmp_gt_i32_e64 s24, 0, v32
	v_and_b32_e32 v26, v26, v36
	v_not_b32_e32 v32, v34
	v_ashrrev_i32_e32 v30, 31, v30
	v_xor_b32_e32 v28, s25, v28
	v_cmp_gt_i32_e64 s25, 0, v34
	v_and_b32_e32 v26, v26, v27
	;; [unrolled: 5-line block ×3, first 2 shown]
	v_not_b32_e32 v28, v31
	v_ashrrev_i32_e32 v27, 31, v27
	v_xor_b32_e32 v32, s25, v32
	v_mul_u32_u24_e32 v3, 9, v3
	v_and_b32_e32 v26, v26, v30
	v_cmp_gt_i32_e64 s25, 0, v31
	v_ashrrev_i32_e32 v30, 31, v28
	v_xor_b32_e32 v27, s24, v27
	v_add_lshl_u32 v28, v2, v3, 2
	v_and_b32_e32 v26, v26, v32
	s_delay_alu instid0(VALU_DEP_4) | instskip(NEXT) | instid1(VALU_DEP_2)
	v_xor_b32_e32 v3, s25, v30
	v_and_b32_e32 v27, v26, v27
	ds_load_b32 v26, v28 offset:32
	; wave barrier
	v_and_b32_e32 v3, v27, v3
	s_delay_alu instid0(VALU_DEP_1) | instskip(SKIP_1) | instid1(VALU_DEP_2)
	v_mbcnt_lo_u32_b32 v27, v3, 0
	v_cmp_ne_u32_e64 s25, 0, v3
	v_cmp_eq_u32_e64 s24, 0, v27
	s_delay_alu instid0(VALU_DEP_1) | instskip(NEXT) | instid1(SALU_CYCLE_1)
	s_and_b32 s25, s25, s24
	s_and_saveexec_b32 s24, s25
	s_cbranch_execz .LBB15_53
; %bb.52:
	s_waitcnt lgkmcnt(0)
	v_bcnt_u32_b32 v3, v3, v26
	ds_store_b32 v28, v3 offset:32
.LBB15_53:
	s_or_b32 exec_lo, exec_lo, s24
	v_xor_b32_e32 v25, -1, v25
	; wave barrier
	s_delay_alu instid0(VALU_DEP_1) | instskip(NEXT) | instid1(VALU_DEP_1)
	v_and_b32_e32 v3, 0xff, v25
	v_lshrrev_b32_e32 v3, s60, v3
	s_delay_alu instid0(VALU_DEP_1) | instskip(NEXT) | instid1(VALU_DEP_1)
	v_and_b32_e32 v3, s68, v3
	v_and_b32_e32 v30, 1, v3
	v_lshlrev_b32_e32 v31, 30, v3
	v_lshlrev_b32_e32 v32, 29, v3
	;; [unrolled: 1-line block ×4, first 2 shown]
	v_add_co_u32 v30, s24, v30, -1
	s_delay_alu instid0(VALU_DEP_1)
	v_cndmask_b32_e64 v35, 0, 1, s24
	v_not_b32_e32 v40, v31
	v_cmp_gt_i32_e64 s25, 0, v31
	v_not_b32_e32 v31, v32
	v_lshlrev_b32_e32 v38, 26, v3
	v_cmp_ne_u32_e64 s24, 0, v35
	v_ashrrev_i32_e32 v40, 31, v40
	v_lshlrev_b32_e32 v39, 25, v3
	v_ashrrev_i32_e32 v31, 31, v31
	v_lshlrev_b32_e32 v35, 24, v3
	v_xor_b32_e32 v30, s24, v30
	v_cmp_gt_i32_e64 s24, 0, v32
	v_not_b32_e32 v32, v34
	v_xor_b32_e32 v40, s25, v40
	v_cmp_gt_i32_e64 s25, 0, v34
	v_and_b32_e32 v30, exec_lo, v30
	v_not_b32_e32 v34, v36
	v_ashrrev_i32_e32 v32, 31, v32
	v_xor_b32_e32 v31, s24, v31
	v_cmp_gt_i32_e64 s24, 0, v36
	v_and_b32_e32 v30, v30, v40
	v_not_b32_e32 v36, v38
	v_ashrrev_i32_e32 v34, 31, v34
	v_xor_b32_e32 v32, s25, v32
	v_cmp_gt_i32_e64 s25, 0, v38
	v_and_b32_e32 v30, v30, v31
	;; [unrolled: 5-line block ×3, first 2 shown]
	v_not_b32_e32 v32, v35
	v_ashrrev_i32_e32 v31, 31, v31
	v_xor_b32_e32 v36, s25, v36
	v_mul_u32_u24_e32 v3, 9, v3
	v_and_b32_e32 v30, v30, v34
	v_cmp_gt_i32_e64 s25, 0, v35
	v_ashrrev_i32_e32 v34, 31, v32
	v_xor_b32_e32 v31, s24, v31
	v_add_lshl_u32 v32, v2, v3, 2
	v_and_b32_e32 v30, v30, v36
	s_delay_alu instid0(VALU_DEP_4) | instskip(NEXT) | instid1(VALU_DEP_2)
	v_xor_b32_e32 v3, s25, v34
	v_and_b32_e32 v31, v30, v31
	ds_load_b32 v30, v32 offset:32
	; wave barrier
	v_and_b32_e32 v3, v31, v3
	s_delay_alu instid0(VALU_DEP_1) | instskip(SKIP_1) | instid1(VALU_DEP_2)
	v_mbcnt_lo_u32_b32 v31, v3, 0
	v_cmp_ne_u32_e64 s25, 0, v3
	v_cmp_eq_u32_e64 s24, 0, v31
	s_delay_alu instid0(VALU_DEP_1) | instskip(NEXT) | instid1(SALU_CYCLE_1)
	s_and_b32 s25, s25, s24
	s_and_saveexec_b32 s24, s25
	s_cbranch_execz .LBB15_55
; %bb.54:
	s_waitcnt lgkmcnt(0)
	v_bcnt_u32_b32 v3, v3, v30
	ds_store_b32 v32, v3 offset:32
.LBB15_55:
	s_or_b32 exec_lo, exec_lo, s24
	v_xor_b32_e32 v29, -1, v29
	; wave barrier
	s_delay_alu instid0(VALU_DEP_1) | instskip(NEXT) | instid1(VALU_DEP_1)
	v_and_b32_e32 v3, 0xff, v29
	v_lshrrev_b32_e32 v3, s60, v3
	s_delay_alu instid0(VALU_DEP_1) | instskip(NEXT) | instid1(VALU_DEP_1)
	v_and_b32_e32 v3, s68, v3
	v_and_b32_e32 v34, 1, v3
	v_lshlrev_b32_e32 v35, 30, v3
	v_lshlrev_b32_e32 v36, 29, v3
	;; [unrolled: 1-line block ×4, first 2 shown]
	v_add_co_u32 v34, s24, v34, -1
	s_delay_alu instid0(VALU_DEP_1)
	v_cndmask_b32_e64 v39, 0, 1, s24
	v_not_b32_e32 v45, v35
	v_cmp_gt_i32_e64 s25, 0, v35
	v_not_b32_e32 v35, v36
	v_lshlrev_b32_e32 v43, 26, v3
	v_cmp_ne_u32_e64 s24, 0, v39
	v_ashrrev_i32_e32 v45, 31, v45
	v_lshlrev_b32_e32 v44, 25, v3
	v_ashrrev_i32_e32 v35, 31, v35
	v_lshlrev_b32_e32 v39, 24, v3
	v_xor_b32_e32 v34, s24, v34
	v_cmp_gt_i32_e64 s24, 0, v36
	v_not_b32_e32 v36, v38
	v_xor_b32_e32 v45, s25, v45
	v_cmp_gt_i32_e64 s25, 0, v38
	v_and_b32_e32 v34, exec_lo, v34
	v_not_b32_e32 v38, v40
	v_ashrrev_i32_e32 v36, 31, v36
	v_xor_b32_e32 v35, s24, v35
	v_cmp_gt_i32_e64 s24, 0, v40
	v_and_b32_e32 v34, v34, v45
	v_not_b32_e32 v40, v43
	v_ashrrev_i32_e32 v38, 31, v38
	v_xor_b32_e32 v36, s25, v36
	v_cmp_gt_i32_e64 s25, 0, v43
	v_and_b32_e32 v34, v34, v35
	;; [unrolled: 5-line block ×3, first 2 shown]
	v_not_b32_e32 v36, v39
	v_ashrrev_i32_e32 v35, 31, v35
	v_xor_b32_e32 v40, s25, v40
	v_mul_u32_u24_e32 v3, 9, v3
	v_and_b32_e32 v34, v34, v38
	v_cmp_gt_i32_e64 s25, 0, v39
	v_ashrrev_i32_e32 v38, 31, v36
	v_xor_b32_e32 v35, s24, v35
	v_add_lshl_u32 v36, v2, v3, 2
	v_and_b32_e32 v34, v34, v40
	s_delay_alu instid0(VALU_DEP_4) | instskip(NEXT) | instid1(VALU_DEP_2)
	v_xor_b32_e32 v3, s25, v38
	v_and_b32_e32 v35, v34, v35
	ds_load_b32 v34, v36 offset:32
	; wave barrier
	v_and_b32_e32 v3, v35, v3
	s_delay_alu instid0(VALU_DEP_1) | instskip(SKIP_1) | instid1(VALU_DEP_2)
	v_mbcnt_lo_u32_b32 v35, v3, 0
	v_cmp_ne_u32_e64 s25, 0, v3
	v_cmp_eq_u32_e64 s24, 0, v35
	s_delay_alu instid0(VALU_DEP_1) | instskip(NEXT) | instid1(SALU_CYCLE_1)
	s_and_b32 s25, s25, s24
	s_and_saveexec_b32 s24, s25
	s_cbranch_execz .LBB15_57
; %bb.56:
	s_waitcnt lgkmcnt(0)
	v_bcnt_u32_b32 v3, v3, v34
	ds_store_b32 v36, v3 offset:32
.LBB15_57:
	s_or_b32 exec_lo, exec_lo, s24
	v_xor_b32_e32 v33, -1, v33
	; wave barrier
	s_delay_alu instid0(VALU_DEP_1) | instskip(NEXT) | instid1(VALU_DEP_1)
	v_and_b32_e32 v3, 0xff, v33
	v_lshrrev_b32_e32 v3, s60, v3
	s_delay_alu instid0(VALU_DEP_1) | instskip(NEXT) | instid1(VALU_DEP_1)
	v_and_b32_e32 v3, s68, v3
	v_and_b32_e32 v38, 1, v3
	v_lshlrev_b32_e32 v39, 30, v3
	v_lshlrev_b32_e32 v40, 29, v3
	;; [unrolled: 1-line block ×4, first 2 shown]
	v_add_co_u32 v38, s24, v38, -1
	s_delay_alu instid0(VALU_DEP_1)
	v_cndmask_b32_e64 v44, 0, 1, s24
	v_not_b32_e32 v52, v39
	v_cmp_gt_i32_e64 s25, 0, v39
	v_not_b32_e32 v39, v40
	v_lshlrev_b32_e32 v48, 26, v3
	v_cmp_ne_u32_e64 s24, 0, v44
	v_ashrrev_i32_e32 v52, 31, v52
	v_lshlrev_b32_e32 v49, 25, v3
	v_ashrrev_i32_e32 v39, 31, v39
	v_lshlrev_b32_e32 v44, 24, v3
	v_xor_b32_e32 v38, s24, v38
	v_cmp_gt_i32_e64 s24, 0, v40
	v_not_b32_e32 v40, v43
	v_xor_b32_e32 v52, s25, v52
	v_cmp_gt_i32_e64 s25, 0, v43
	v_and_b32_e32 v38, exec_lo, v38
	v_not_b32_e32 v43, v45
	v_ashrrev_i32_e32 v40, 31, v40
	v_xor_b32_e32 v39, s24, v39
	v_cmp_gt_i32_e64 s24, 0, v45
	v_and_b32_e32 v38, v38, v52
	v_not_b32_e32 v45, v48
	v_ashrrev_i32_e32 v43, 31, v43
	v_xor_b32_e32 v40, s25, v40
	v_cmp_gt_i32_e64 s25, 0, v48
	v_and_b32_e32 v38, v38, v39
	;; [unrolled: 5-line block ×3, first 2 shown]
	v_not_b32_e32 v40, v44
	v_ashrrev_i32_e32 v39, 31, v39
	v_xor_b32_e32 v45, s25, v45
	v_mul_u32_u24_e32 v3, 9, v3
	v_and_b32_e32 v38, v38, v43
	v_cmp_gt_i32_e64 s25, 0, v44
	v_ashrrev_i32_e32 v43, 31, v40
	v_xor_b32_e32 v39, s24, v39
	v_add_lshl_u32 v40, v2, v3, 2
	v_and_b32_e32 v38, v38, v45
	s_delay_alu instid0(VALU_DEP_4) | instskip(NEXT) | instid1(VALU_DEP_2)
	v_xor_b32_e32 v3, s25, v43
	v_and_b32_e32 v39, v38, v39
	ds_load_b32 v38, v40 offset:32
	; wave barrier
	v_and_b32_e32 v3, v39, v3
	s_delay_alu instid0(VALU_DEP_1) | instskip(SKIP_1) | instid1(VALU_DEP_2)
	v_mbcnt_lo_u32_b32 v39, v3, 0
	v_cmp_ne_u32_e64 s25, 0, v3
	v_cmp_eq_u32_e64 s24, 0, v39
	s_delay_alu instid0(VALU_DEP_1) | instskip(NEXT) | instid1(SALU_CYCLE_1)
	s_and_b32 s25, s25, s24
	s_and_saveexec_b32 s24, s25
	s_cbranch_execz .LBB15_59
; %bb.58:
	s_waitcnt lgkmcnt(0)
	v_bcnt_u32_b32 v3, v3, v38
	ds_store_b32 v40, v3 offset:32
.LBB15_59:
	s_or_b32 exec_lo, exec_lo, s24
	v_xor_b32_e32 v37, -1, v37
	; wave barrier
	s_delay_alu instid0(VALU_DEP_1) | instskip(NEXT) | instid1(VALU_DEP_1)
	v_and_b32_e32 v3, 0xff, v37
	v_lshrrev_b32_e32 v3, s60, v3
	s_delay_alu instid0(VALU_DEP_1) | instskip(NEXT) | instid1(VALU_DEP_1)
	v_and_b32_e32 v3, s68, v3
	v_and_b32_e32 v43, 1, v3
	v_lshlrev_b32_e32 v44, 30, v3
	v_lshlrev_b32_e32 v45, 29, v3
	;; [unrolled: 1-line block ×4, first 2 shown]
	v_add_co_u32 v43, s24, v43, -1
	s_delay_alu instid0(VALU_DEP_1)
	v_cndmask_b32_e64 v49, 0, 1, s24
	v_not_b32_e32 v57, v44
	v_cmp_gt_i32_e64 s25, 0, v44
	v_not_b32_e32 v44, v45
	v_lshlrev_b32_e32 v54, 26, v3
	v_cmp_ne_u32_e64 s24, 0, v49
	v_ashrrev_i32_e32 v57, 31, v57
	v_lshlrev_b32_e32 v55, 25, v3
	v_ashrrev_i32_e32 v44, 31, v44
	v_lshlrev_b32_e32 v49, 24, v3
	v_xor_b32_e32 v43, s24, v43
	v_cmp_gt_i32_e64 s24, 0, v45
	v_not_b32_e32 v45, v48
	v_xor_b32_e32 v57, s25, v57
	v_cmp_gt_i32_e64 s25, 0, v48
	v_and_b32_e32 v43, exec_lo, v43
	v_not_b32_e32 v48, v52
	v_ashrrev_i32_e32 v45, 31, v45
	v_xor_b32_e32 v44, s24, v44
	v_cmp_gt_i32_e64 s24, 0, v52
	v_and_b32_e32 v43, v43, v57
	v_not_b32_e32 v52, v54
	v_ashrrev_i32_e32 v48, 31, v48
	v_xor_b32_e32 v45, s25, v45
	v_cmp_gt_i32_e64 s25, 0, v54
	v_and_b32_e32 v43, v43, v44
	;; [unrolled: 5-line block ×3, first 2 shown]
	v_not_b32_e32 v45, v49
	v_ashrrev_i32_e32 v44, 31, v44
	v_xor_b32_e32 v52, s25, v52
	v_mul_u32_u24_e32 v3, 9, v3
	v_and_b32_e32 v43, v43, v48
	v_cmp_gt_i32_e64 s25, 0, v49
	v_ashrrev_i32_e32 v48, 31, v45
	v_xor_b32_e32 v44, s24, v44
	v_add_lshl_u32 v45, v2, v3, 2
	v_and_b32_e32 v43, v43, v52
	s_delay_alu instid0(VALU_DEP_4) | instskip(NEXT) | instid1(VALU_DEP_2)
	v_xor_b32_e32 v3, s25, v48
	v_and_b32_e32 v44, v43, v44
	ds_load_b32 v43, v45 offset:32
	; wave barrier
	v_and_b32_e32 v3, v44, v3
	s_delay_alu instid0(VALU_DEP_1) | instskip(SKIP_1) | instid1(VALU_DEP_2)
	v_mbcnt_lo_u32_b32 v44, v3, 0
	v_cmp_ne_u32_e64 s25, 0, v3
	v_cmp_eq_u32_e64 s24, 0, v44
	s_delay_alu instid0(VALU_DEP_1) | instskip(NEXT) | instid1(SALU_CYCLE_1)
	s_and_b32 s25, s25, s24
	s_and_saveexec_b32 s24, s25
	s_cbranch_execz .LBB15_61
; %bb.60:
	s_waitcnt lgkmcnt(0)
	v_bcnt_u32_b32 v3, v3, v43
	ds_store_b32 v45, v3 offset:32
.LBB15_61:
	s_or_b32 exec_lo, exec_lo, s24
	v_xor_b32_e32 v42, -1, v42
	; wave barrier
	s_delay_alu instid0(VALU_DEP_1) | instskip(NEXT) | instid1(VALU_DEP_1)
	v_and_b32_e32 v3, 0xff, v42
	v_lshrrev_b32_e32 v3, s60, v3
	s_delay_alu instid0(VALU_DEP_1) | instskip(NEXT) | instid1(VALU_DEP_1)
	v_and_b32_e32 v3, s68, v3
	v_and_b32_e32 v48, 1, v3
	v_lshlrev_b32_e32 v49, 30, v3
	v_lshlrev_b32_e32 v52, 29, v3
	;; [unrolled: 1-line block ×4, first 2 shown]
	v_add_co_u32 v48, s24, v48, -1
	s_delay_alu instid0(VALU_DEP_1)
	v_cndmask_b32_e64 v55, 0, 1, s24
	v_not_b32_e32 v61, v49
	v_cmp_gt_i32_e64 s25, 0, v49
	v_not_b32_e32 v49, v52
	v_lshlrev_b32_e32 v59, 26, v3
	v_cmp_ne_u32_e64 s24, 0, v55
	v_ashrrev_i32_e32 v61, 31, v61
	v_lshlrev_b32_e32 v60, 25, v3
	v_ashrrev_i32_e32 v49, 31, v49
	v_lshlrev_b32_e32 v55, 24, v3
	v_xor_b32_e32 v48, s24, v48
	v_cmp_gt_i32_e64 s24, 0, v52
	v_not_b32_e32 v52, v54
	v_xor_b32_e32 v61, s25, v61
	v_cmp_gt_i32_e64 s25, 0, v54
	v_and_b32_e32 v48, exec_lo, v48
	v_not_b32_e32 v54, v57
	v_ashrrev_i32_e32 v52, 31, v52
	v_xor_b32_e32 v49, s24, v49
	v_cmp_gt_i32_e64 s24, 0, v57
	v_and_b32_e32 v48, v48, v61
	v_not_b32_e32 v57, v59
	v_ashrrev_i32_e32 v54, 31, v54
	v_xor_b32_e32 v52, s25, v52
	v_cmp_gt_i32_e64 s25, 0, v59
	v_and_b32_e32 v48, v48, v49
	;; [unrolled: 5-line block ×3, first 2 shown]
	v_not_b32_e32 v52, v55
	v_ashrrev_i32_e32 v49, 31, v49
	v_xor_b32_e32 v57, s25, v57
	v_mul_u32_u24_e32 v3, 9, v3
	v_and_b32_e32 v48, v48, v54
	v_cmp_gt_i32_e64 s25, 0, v55
	v_ashrrev_i32_e32 v54, 31, v52
	v_xor_b32_e32 v49, s24, v49
	v_add_lshl_u32 v52, v2, v3, 2
	v_and_b32_e32 v48, v48, v57
	s_delay_alu instid0(VALU_DEP_4) | instskip(NEXT) | instid1(VALU_DEP_2)
	v_xor_b32_e32 v3, s25, v54
	v_and_b32_e32 v49, v48, v49
	ds_load_b32 v48, v52 offset:32
	; wave barrier
	v_and_b32_e32 v3, v49, v3
	s_delay_alu instid0(VALU_DEP_1) | instskip(SKIP_1) | instid1(VALU_DEP_2)
	v_mbcnt_lo_u32_b32 v49, v3, 0
	v_cmp_ne_u32_e64 s25, 0, v3
	v_cmp_eq_u32_e64 s24, 0, v49
	s_delay_alu instid0(VALU_DEP_1) | instskip(NEXT) | instid1(SALU_CYCLE_1)
	s_and_b32 s25, s25, s24
	s_and_saveexec_b32 s24, s25
	s_cbranch_execz .LBB15_63
; %bb.62:
	s_waitcnt lgkmcnt(0)
	v_bcnt_u32_b32 v3, v3, v48
	ds_store_b32 v52, v3 offset:32
.LBB15_63:
	s_or_b32 exec_lo, exec_lo, s24
	v_xor_b32_e32 v47, -1, v47
	; wave barrier
	s_delay_alu instid0(VALU_DEP_1) | instskip(NEXT) | instid1(VALU_DEP_1)
	v_and_b32_e32 v3, 0xff, v47
	v_lshrrev_b32_e32 v3, s60, v3
	s_delay_alu instid0(VALU_DEP_1) | instskip(NEXT) | instid1(VALU_DEP_1)
	v_and_b32_e32 v3, s68, v3
	v_and_b32_e32 v54, 1, v3
	v_lshlrev_b32_e32 v55, 30, v3
	v_lshlrev_b32_e32 v57, 29, v3
	v_lshlrev_b32_e32 v59, 28, v3
	v_lshlrev_b32_e32 v61, 27, v3
	v_add_co_u32 v54, s24, v54, -1
	s_delay_alu instid0(VALU_DEP_1)
	v_cndmask_b32_e64 v60, 0, 1, s24
	v_not_b32_e32 v64, v55
	v_cmp_gt_i32_e64 s25, 0, v55
	v_not_b32_e32 v55, v57
	v_lshlrev_b32_e32 v62, 26, v3
	v_cmp_ne_u32_e64 s24, 0, v60
	v_ashrrev_i32_e32 v64, 31, v64
	v_lshlrev_b32_e32 v63, 25, v3
	v_ashrrev_i32_e32 v55, 31, v55
	v_lshlrev_b32_e32 v60, 24, v3
	v_xor_b32_e32 v54, s24, v54
	v_cmp_gt_i32_e64 s24, 0, v57
	v_not_b32_e32 v57, v59
	v_xor_b32_e32 v64, s25, v64
	v_cmp_gt_i32_e64 s25, 0, v59
	v_and_b32_e32 v54, exec_lo, v54
	v_not_b32_e32 v59, v61
	v_ashrrev_i32_e32 v57, 31, v57
	v_xor_b32_e32 v55, s24, v55
	v_cmp_gt_i32_e64 s24, 0, v61
	v_and_b32_e32 v54, v54, v64
	v_not_b32_e32 v61, v62
	v_ashrrev_i32_e32 v59, 31, v59
	v_xor_b32_e32 v57, s25, v57
	v_cmp_gt_i32_e64 s25, 0, v62
	v_and_b32_e32 v54, v54, v55
	;; [unrolled: 5-line block ×3, first 2 shown]
	v_not_b32_e32 v57, v60
	v_ashrrev_i32_e32 v55, 31, v55
	v_xor_b32_e32 v61, s25, v61
	v_mul_u32_u24_e32 v3, 9, v3
	v_and_b32_e32 v54, v54, v59
	v_cmp_gt_i32_e64 s25, 0, v60
	v_ashrrev_i32_e32 v59, 31, v57
	v_xor_b32_e32 v55, s24, v55
	v_add_lshl_u32 v57, v2, v3, 2
	v_and_b32_e32 v54, v54, v61
	s_delay_alu instid0(VALU_DEP_4) | instskip(NEXT) | instid1(VALU_DEP_2)
	v_xor_b32_e32 v3, s25, v59
	v_and_b32_e32 v55, v54, v55
	ds_load_b32 v54, v57 offset:32
	; wave barrier
	v_and_b32_e32 v3, v55, v3
	s_delay_alu instid0(VALU_DEP_1) | instskip(SKIP_1) | instid1(VALU_DEP_2)
	v_mbcnt_lo_u32_b32 v55, v3, 0
	v_cmp_ne_u32_e64 s25, 0, v3
	v_cmp_eq_u32_e64 s24, 0, v55
	s_delay_alu instid0(VALU_DEP_1) | instskip(NEXT) | instid1(SALU_CYCLE_1)
	s_and_b32 s25, s25, s24
	s_and_saveexec_b32 s24, s25
	s_cbranch_execz .LBB15_65
; %bb.64:
	s_waitcnt lgkmcnt(0)
	v_bcnt_u32_b32 v3, v3, v54
	ds_store_b32 v57, v3 offset:32
.LBB15_65:
	s_or_b32 exec_lo, exec_lo, s24
	v_xor_b32_e32 v53, -1, v53
	; wave barrier
	s_delay_alu instid0(VALU_DEP_1) | instskip(NEXT) | instid1(VALU_DEP_1)
	v_and_b32_e32 v3, 0xff, v53
	v_lshrrev_b32_e32 v3, s60, v3
	s_delay_alu instid0(VALU_DEP_1) | instskip(NEXT) | instid1(VALU_DEP_1)
	v_and_b32_e32 v3, s68, v3
	v_and_b32_e32 v59, 1, v3
	v_lshlrev_b32_e32 v60, 30, v3
	v_lshlrev_b32_e32 v61, 29, v3
	;; [unrolled: 1-line block ×4, first 2 shown]
	v_add_co_u32 v59, s24, v59, -1
	s_delay_alu instid0(VALU_DEP_1)
	v_cndmask_b32_e64 v63, 0, 1, s24
	v_not_b32_e32 v67, v60
	v_cmp_gt_i32_e64 s25, 0, v60
	v_not_b32_e32 v60, v61
	v_lshlrev_b32_e32 v65, 26, v3
	v_cmp_ne_u32_e64 s24, 0, v63
	v_ashrrev_i32_e32 v67, 31, v67
	v_lshlrev_b32_e32 v66, 25, v3
	v_ashrrev_i32_e32 v60, 31, v60
	v_lshlrev_b32_e32 v63, 24, v3
	v_xor_b32_e32 v59, s24, v59
	v_cmp_gt_i32_e64 s24, 0, v61
	v_not_b32_e32 v61, v62
	v_xor_b32_e32 v67, s25, v67
	v_cmp_gt_i32_e64 s25, 0, v62
	v_and_b32_e32 v59, exec_lo, v59
	v_not_b32_e32 v62, v64
	v_ashrrev_i32_e32 v61, 31, v61
	v_xor_b32_e32 v60, s24, v60
	v_cmp_gt_i32_e64 s24, 0, v64
	v_and_b32_e32 v59, v59, v67
	v_not_b32_e32 v64, v65
	v_ashrrev_i32_e32 v62, 31, v62
	v_xor_b32_e32 v61, s25, v61
	v_cmp_gt_i32_e64 s25, 0, v65
	v_and_b32_e32 v59, v59, v60
	;; [unrolled: 5-line block ×3, first 2 shown]
	v_not_b32_e32 v61, v63
	v_ashrrev_i32_e32 v60, 31, v60
	v_xor_b32_e32 v64, s25, v64
	v_mul_u32_u24_e32 v3, 9, v3
	v_and_b32_e32 v59, v59, v62
	v_cmp_gt_i32_e64 s25, 0, v63
	v_ashrrev_i32_e32 v62, 31, v61
	v_xor_b32_e32 v60, s24, v60
	v_add_lshl_u32 v61, v2, v3, 2
	v_and_b32_e32 v59, v59, v64
	s_delay_alu instid0(VALU_DEP_4) | instskip(NEXT) | instid1(VALU_DEP_2)
	v_xor_b32_e32 v3, s25, v62
	v_and_b32_e32 v60, v59, v60
	ds_load_b32 v59, v61 offset:32
	; wave barrier
	v_and_b32_e32 v3, v60, v3
	s_delay_alu instid0(VALU_DEP_1) | instskip(SKIP_1) | instid1(VALU_DEP_2)
	v_mbcnt_lo_u32_b32 v60, v3, 0
	v_cmp_ne_u32_e64 s25, 0, v3
	v_cmp_eq_u32_e64 s24, 0, v60
	s_delay_alu instid0(VALU_DEP_1) | instskip(NEXT) | instid1(SALU_CYCLE_1)
	s_and_b32 s25, s25, s24
	s_and_saveexec_b32 s24, s25
	s_cbranch_execz .LBB15_67
; %bb.66:
	s_waitcnt lgkmcnt(0)
	v_bcnt_u32_b32 v3, v3, v59
	ds_store_b32 v61, v3 offset:32
.LBB15_67:
	s_or_b32 exec_lo, exec_lo, s24
	v_xor_b32_e32 v58, -1, v58
	; wave barrier
	s_delay_alu instid0(VALU_DEP_1) | instskip(NEXT) | instid1(VALU_DEP_1)
	v_and_b32_e32 v3, 0xff, v58
	v_lshrrev_b32_e32 v3, s60, v3
	s_delay_alu instid0(VALU_DEP_1) | instskip(NEXT) | instid1(VALU_DEP_1)
	v_and_b32_e32 v3, s68, v3
	v_and_b32_e32 v62, 1, v3
	v_lshlrev_b32_e32 v63, 30, v3
	v_lshlrev_b32_e32 v64, 29, v3
	;; [unrolled: 1-line block ×4, first 2 shown]
	v_add_co_u32 v62, s24, v62, -1
	s_delay_alu instid0(VALU_DEP_1)
	v_cndmask_b32_e64 v66, 0, 1, s24
	v_not_b32_e32 v70, v63
	v_cmp_gt_i32_e64 s25, 0, v63
	v_not_b32_e32 v63, v64
	v_lshlrev_b32_e32 v68, 26, v3
	v_cmp_ne_u32_e64 s24, 0, v66
	v_ashrrev_i32_e32 v70, 31, v70
	v_lshlrev_b32_e32 v69, 25, v3
	v_ashrrev_i32_e32 v63, 31, v63
	v_lshlrev_b32_e32 v66, 24, v3
	v_xor_b32_e32 v62, s24, v62
	v_cmp_gt_i32_e64 s24, 0, v64
	v_not_b32_e32 v64, v65
	v_xor_b32_e32 v70, s25, v70
	v_cmp_gt_i32_e64 s25, 0, v65
	v_and_b32_e32 v62, exec_lo, v62
	v_not_b32_e32 v65, v67
	v_ashrrev_i32_e32 v64, 31, v64
	v_xor_b32_e32 v63, s24, v63
	v_cmp_gt_i32_e64 s24, 0, v67
	v_and_b32_e32 v62, v62, v70
	v_not_b32_e32 v67, v68
	v_ashrrev_i32_e32 v65, 31, v65
	v_xor_b32_e32 v64, s25, v64
	v_cmp_gt_i32_e64 s25, 0, v68
	v_and_b32_e32 v62, v62, v63
	v_not_b32_e32 v63, v69
	v_ashrrev_i32_e32 v67, 31, v67
	v_xor_b32_e32 v65, s24, v65
	v_cmp_gt_i32_e64 s24, 0, v69
	v_and_b32_e32 v62, v62, v64
	v_not_b32_e32 v64, v66
	v_ashrrev_i32_e32 v63, 31, v63
	v_xor_b32_e32 v67, s25, v67
	v_mul_u32_u24_e32 v3, 9, v3
	v_and_b32_e32 v62, v62, v65
	v_cmp_gt_i32_e64 s25, 0, v66
	v_ashrrev_i32_e32 v65, 31, v64
	v_xor_b32_e32 v63, s24, v63
	v_add_lshl_u32 v64, v2, v3, 2
	v_and_b32_e32 v62, v62, v67
	s_delay_alu instid0(VALU_DEP_4) | instskip(NEXT) | instid1(VALU_DEP_2)
	v_xor_b32_e32 v3, s25, v65
	v_and_b32_e32 v63, v62, v63
	ds_load_b32 v62, v64 offset:32
	; wave barrier
	v_and_b32_e32 v3, v63, v3
	s_delay_alu instid0(VALU_DEP_1) | instskip(SKIP_1) | instid1(VALU_DEP_2)
	v_mbcnt_lo_u32_b32 v63, v3, 0
	v_cmp_ne_u32_e64 s25, 0, v3
	v_cmp_eq_u32_e64 s24, 0, v63
	s_delay_alu instid0(VALU_DEP_1) | instskip(NEXT) | instid1(SALU_CYCLE_1)
	s_and_b32 s25, s25, s24
	s_and_saveexec_b32 s24, s25
	s_cbranch_execz .LBB15_69
; %bb.68:
	s_waitcnt lgkmcnt(0)
	v_bcnt_u32_b32 v3, v3, v62
	ds_store_b32 v64, v3 offset:32
.LBB15_69:
	s_or_b32 exec_lo, exec_lo, s24
	v_xor_b32_e32 v56, -1, v56
	; wave barrier
	s_delay_alu instid0(VALU_DEP_1) | instskip(NEXT) | instid1(VALU_DEP_1)
	v_and_b32_e32 v3, 0xff, v56
	v_lshrrev_b32_e32 v3, s60, v3
	s_delay_alu instid0(VALU_DEP_1) | instskip(NEXT) | instid1(VALU_DEP_1)
	v_and_b32_e32 v3, s68, v3
	v_and_b32_e32 v65, 1, v3
	v_lshlrev_b32_e32 v66, 30, v3
	v_lshlrev_b32_e32 v67, 29, v3
	;; [unrolled: 1-line block ×4, first 2 shown]
	v_add_co_u32 v65, s24, v65, -1
	s_delay_alu instid0(VALU_DEP_1)
	v_cndmask_b32_e64 v69, 0, 1, s24
	v_not_b32_e32 v73, v66
	v_cmp_gt_i32_e64 s25, 0, v66
	v_not_b32_e32 v66, v67
	v_lshlrev_b32_e32 v71, 26, v3
	v_cmp_ne_u32_e64 s24, 0, v69
	v_ashrrev_i32_e32 v73, 31, v73
	v_lshlrev_b32_e32 v72, 25, v3
	v_ashrrev_i32_e32 v66, 31, v66
	v_lshlrev_b32_e32 v69, 24, v3
	v_xor_b32_e32 v65, s24, v65
	v_cmp_gt_i32_e64 s24, 0, v67
	v_not_b32_e32 v67, v68
	v_xor_b32_e32 v73, s25, v73
	v_cmp_gt_i32_e64 s25, 0, v68
	v_and_b32_e32 v65, exec_lo, v65
	v_not_b32_e32 v68, v70
	v_ashrrev_i32_e32 v67, 31, v67
	v_xor_b32_e32 v66, s24, v66
	v_cmp_gt_i32_e64 s24, 0, v70
	v_and_b32_e32 v65, v65, v73
	v_not_b32_e32 v70, v71
	v_ashrrev_i32_e32 v68, 31, v68
	v_xor_b32_e32 v67, s25, v67
	v_cmp_gt_i32_e64 s25, 0, v71
	v_and_b32_e32 v65, v65, v66
	;; [unrolled: 5-line block ×3, first 2 shown]
	v_not_b32_e32 v67, v69
	v_ashrrev_i32_e32 v66, 31, v66
	v_xor_b32_e32 v70, s25, v70
	v_mul_u32_u24_e32 v3, 9, v3
	v_and_b32_e32 v65, v65, v68
	v_cmp_gt_i32_e64 s25, 0, v69
	v_ashrrev_i32_e32 v67, 31, v67
	v_xor_b32_e32 v68, s24, v66
	v_add_lshl_u32 v66, v2, v3, 2
	v_and_b32_e32 v65, v65, v70
	s_delay_alu instid0(VALU_DEP_4) | instskip(NEXT) | instid1(VALU_DEP_2)
	v_xor_b32_e32 v3, s25, v67
	v_and_b32_e32 v67, v65, v68
	ds_load_b32 v65, v66 offset:32
	; wave barrier
	v_and_b32_e32 v3, v67, v3
	s_delay_alu instid0(VALU_DEP_1) | instskip(SKIP_1) | instid1(VALU_DEP_2)
	v_mbcnt_lo_u32_b32 v78, v3, 0
	v_cmp_ne_u32_e64 s25, 0, v3
	v_cmp_eq_u32_e64 s24, 0, v78
	s_delay_alu instid0(VALU_DEP_1) | instskip(NEXT) | instid1(SALU_CYCLE_1)
	s_and_b32 s25, s25, s24
	s_and_saveexec_b32 s24, s25
	s_cbranch_execz .LBB15_71
; %bb.70:
	s_waitcnt lgkmcnt(0)
	v_bcnt_u32_b32 v3, v3, v65
	ds_store_b32 v66, v3 offset:32
.LBB15_71:
	s_or_b32 exec_lo, exec_lo, s24
	v_xor_b32_e32 v50, -1, v50
	; wave barrier
	s_delay_alu instid0(VALU_DEP_1) | instskip(NEXT) | instid1(VALU_DEP_1)
	v_and_b32_e32 v3, 0xff, v50
	v_lshrrev_b32_e32 v3, s60, v3
	s_delay_alu instid0(VALU_DEP_1) | instskip(NEXT) | instid1(VALU_DEP_1)
	v_and_b32_e32 v3, s68, v3
	v_and_b32_e32 v67, 1, v3
	v_lshlrev_b32_e32 v68, 30, v3
	v_lshlrev_b32_e32 v69, 29, v3
	;; [unrolled: 1-line block ×4, first 2 shown]
	v_add_co_u32 v67, s24, v67, -1
	s_delay_alu instid0(VALU_DEP_1)
	v_cndmask_b32_e64 v71, 0, 1, s24
	v_not_b32_e32 v75, v68
	v_cmp_gt_i32_e64 s25, 0, v68
	v_not_b32_e32 v68, v69
	v_lshlrev_b32_e32 v73, 26, v3
	v_cmp_ne_u32_e64 s24, 0, v71
	v_ashrrev_i32_e32 v75, 31, v75
	v_lshlrev_b32_e32 v74, 25, v3
	v_ashrrev_i32_e32 v68, 31, v68
	v_lshlrev_b32_e32 v71, 24, v3
	v_xor_b32_e32 v67, s24, v67
	v_cmp_gt_i32_e64 s24, 0, v69
	v_not_b32_e32 v69, v70
	v_xor_b32_e32 v75, s25, v75
	v_cmp_gt_i32_e64 s25, 0, v70
	v_and_b32_e32 v67, exec_lo, v67
	v_not_b32_e32 v70, v72
	v_ashrrev_i32_e32 v69, 31, v69
	v_xor_b32_e32 v68, s24, v68
	v_cmp_gt_i32_e64 s24, 0, v72
	v_and_b32_e32 v67, v67, v75
	v_not_b32_e32 v72, v73
	v_ashrrev_i32_e32 v70, 31, v70
	v_xor_b32_e32 v69, s25, v69
	v_cmp_gt_i32_e64 s25, 0, v73
	v_and_b32_e32 v67, v67, v68
	;; [unrolled: 5-line block ×3, first 2 shown]
	v_not_b32_e32 v69, v71
	v_ashrrev_i32_e32 v68, 31, v68
	v_xor_b32_e32 v72, s25, v72
	v_mul_u32_u24_e32 v3, 9, v3
	v_and_b32_e32 v67, v67, v70
	v_cmp_gt_i32_e64 s25, 0, v71
	v_ashrrev_i32_e32 v69, 31, v69
	v_xor_b32_e32 v68, s24, v68
	s_delay_alu instid0(VALU_DEP_4) | instskip(SKIP_1) | instid1(VALU_DEP_4)
	v_and_b32_e32 v70, v67, v72
	v_add_lshl_u32 v67, v2, v3, 2
	v_xor_b32_e32 v3, s25, v69
	s_delay_alu instid0(VALU_DEP_3) | instskip(SKIP_2) | instid1(VALU_DEP_1)
	v_and_b32_e32 v68, v70, v68
	ds_load_b32 v79, v67 offset:32
	; wave barrier
	v_and_b32_e32 v3, v68, v3
	v_mbcnt_lo_u32_b32 v80, v3, 0
	v_cmp_ne_u32_e64 s25, 0, v3
	s_delay_alu instid0(VALU_DEP_2) | instskip(NEXT) | instid1(VALU_DEP_1)
	v_cmp_eq_u32_e64 s24, 0, v80
	s_and_b32 s25, s25, s24
	s_delay_alu instid0(SALU_CYCLE_1)
	s_and_saveexec_b32 s24, s25
	s_cbranch_execz .LBB15_73
; %bb.72:
	s_waitcnt lgkmcnt(0)
	v_bcnt_u32_b32 v3, v3, v79
	ds_store_b32 v67, v3 offset:32
.LBB15_73:
	s_or_b32 exec_lo, exec_lo, s24
	v_xor_b32_e32 v46, -1, v46
	; wave barrier
	s_delay_alu instid0(VALU_DEP_1) | instskip(NEXT) | instid1(VALU_DEP_1)
	v_and_b32_e32 v3, 0xff, v46
	v_lshrrev_b32_e32 v3, s60, v3
	s_delay_alu instid0(VALU_DEP_1) | instskip(NEXT) | instid1(VALU_DEP_1)
	v_and_b32_e32 v3, s68, v3
	v_and_b32_e32 v68, 1, v3
	v_lshlrev_b32_e32 v69, 30, v3
	v_lshlrev_b32_e32 v70, 29, v3
	;; [unrolled: 1-line block ×4, first 2 shown]
	v_add_co_u32 v68, s24, v68, -1
	s_delay_alu instid0(VALU_DEP_1)
	v_cndmask_b32_e64 v72, 0, 1, s24
	v_not_b32_e32 v76, v69
	v_cmp_gt_i32_e64 s25, 0, v69
	v_not_b32_e32 v69, v70
	v_lshlrev_b32_e32 v74, 26, v3
	v_cmp_ne_u32_e64 s24, 0, v72
	v_ashrrev_i32_e32 v76, 31, v76
	v_lshlrev_b32_e32 v75, 25, v3
	v_ashrrev_i32_e32 v69, 31, v69
	v_lshlrev_b32_e32 v72, 24, v3
	v_xor_b32_e32 v68, s24, v68
	v_cmp_gt_i32_e64 s24, 0, v70
	v_not_b32_e32 v70, v71
	v_xor_b32_e32 v76, s25, v76
	v_cmp_gt_i32_e64 s25, 0, v71
	v_and_b32_e32 v68, exec_lo, v68
	v_not_b32_e32 v71, v73
	v_ashrrev_i32_e32 v70, 31, v70
	v_xor_b32_e32 v69, s24, v69
	v_cmp_gt_i32_e64 s24, 0, v73
	v_and_b32_e32 v68, v68, v76
	v_not_b32_e32 v73, v74
	v_ashrrev_i32_e32 v71, 31, v71
	v_xor_b32_e32 v70, s25, v70
	v_cmp_gt_i32_e64 s25, 0, v74
	v_and_b32_e32 v68, v68, v69
	;; [unrolled: 5-line block ×3, first 2 shown]
	v_not_b32_e32 v70, v72
	v_ashrrev_i32_e32 v69, 31, v69
	v_xor_b32_e32 v73, s25, v73
	v_mul_u32_u24_e32 v3, 9, v3
	v_and_b32_e32 v68, v68, v71
	v_cmp_gt_i32_e64 s25, 0, v72
	v_ashrrev_i32_e32 v70, 31, v70
	v_xor_b32_e32 v69, s24, v69
	s_delay_alu instid0(VALU_DEP_4) | instskip(SKIP_1) | instid1(VALU_DEP_4)
	v_and_b32_e32 v71, v68, v73
	v_add_lshl_u32 v68, v2, v3, 2
	v_xor_b32_e32 v3, s25, v70
	s_delay_alu instid0(VALU_DEP_3) | instskip(SKIP_2) | instid1(VALU_DEP_1)
	v_and_b32_e32 v69, v71, v69
	ds_load_b32 v81, v68 offset:32
	; wave barrier
	v_and_b32_e32 v3, v69, v3
	v_mbcnt_lo_u32_b32 v82, v3, 0
	v_cmp_ne_u32_e64 s25, 0, v3
	s_delay_alu instid0(VALU_DEP_2) | instskip(NEXT) | instid1(VALU_DEP_1)
	v_cmp_eq_u32_e64 s24, 0, v82
	s_and_b32 s25, s25, s24
	s_delay_alu instid0(SALU_CYCLE_1)
	s_and_saveexec_b32 s24, s25
	s_cbranch_execz .LBB15_75
; %bb.74:
	s_waitcnt lgkmcnt(0)
	v_bcnt_u32_b32 v3, v3, v81
	ds_store_b32 v68, v3 offset:32
.LBB15_75:
	s_or_b32 exec_lo, exec_lo, s24
	v_xor_b32_e32 v41, -1, v41
	; wave barrier
	s_delay_alu instid0(VALU_DEP_1) | instskip(NEXT) | instid1(VALU_DEP_1)
	v_and_b32_e32 v3, 0xff, v41
	v_lshrrev_b32_e32 v3, s60, v3
	s_delay_alu instid0(VALU_DEP_1) | instskip(NEXT) | instid1(VALU_DEP_1)
	v_and_b32_e32 v3, s68, v3
	v_and_b32_e32 v69, 1, v3
	v_lshlrev_b32_e32 v70, 30, v3
	v_lshlrev_b32_e32 v71, 29, v3
	;; [unrolled: 1-line block ×4, first 2 shown]
	v_add_co_u32 v69, s24, v69, -1
	s_delay_alu instid0(VALU_DEP_1)
	v_cndmask_b32_e64 v73, 0, 1, s24
	v_not_b32_e32 v77, v70
	v_cmp_gt_i32_e64 s25, 0, v70
	v_not_b32_e32 v70, v71
	v_lshlrev_b32_e32 v75, 26, v3
	v_cmp_ne_u32_e64 s24, 0, v73
	v_ashrrev_i32_e32 v77, 31, v77
	v_lshlrev_b32_e32 v76, 25, v3
	v_ashrrev_i32_e32 v70, 31, v70
	v_lshlrev_b32_e32 v73, 24, v3
	v_xor_b32_e32 v69, s24, v69
	v_cmp_gt_i32_e64 s24, 0, v71
	v_not_b32_e32 v71, v72
	v_xor_b32_e32 v77, s25, v77
	v_cmp_gt_i32_e64 s25, 0, v72
	v_and_b32_e32 v69, exec_lo, v69
	v_not_b32_e32 v72, v74
	v_ashrrev_i32_e32 v71, 31, v71
	v_xor_b32_e32 v70, s24, v70
	v_cmp_gt_i32_e64 s24, 0, v74
	v_and_b32_e32 v69, v69, v77
	v_not_b32_e32 v74, v75
	v_ashrrev_i32_e32 v72, 31, v72
	v_xor_b32_e32 v71, s25, v71
	v_cmp_gt_i32_e64 s25, 0, v75
	v_and_b32_e32 v69, v69, v70
	v_not_b32_e32 v70, v76
	v_ashrrev_i32_e32 v74, 31, v74
	v_xor_b32_e32 v72, s24, v72
	v_cmp_gt_i32_e64 s24, 0, v76
	v_and_b32_e32 v69, v69, v71
	v_not_b32_e32 v71, v73
	v_ashrrev_i32_e32 v70, 31, v70
	v_xor_b32_e32 v74, s25, v74
	v_mul_u32_u24_e32 v3, 9, v3
	v_and_b32_e32 v69, v69, v72
	v_cmp_gt_i32_e64 s25, 0, v73
	v_ashrrev_i32_e32 v71, 31, v71
	v_xor_b32_e32 v70, s24, v70
	s_delay_alu instid0(VALU_DEP_4) | instskip(SKIP_1) | instid1(VALU_DEP_4)
	v_and_b32_e32 v72, v69, v74
	v_add_lshl_u32 v69, v2, v3, 2
	v_xor_b32_e32 v3, s25, v71
	s_delay_alu instid0(VALU_DEP_3) | instskip(SKIP_2) | instid1(VALU_DEP_1)
	v_and_b32_e32 v70, v72, v70
	ds_load_b32 v84, v69 offset:32
	; wave barrier
	v_and_b32_e32 v3, v70, v3
	v_mbcnt_lo_u32_b32 v85, v3, 0
	v_cmp_ne_u32_e64 s25, 0, v3
	s_delay_alu instid0(VALU_DEP_2) | instskip(NEXT) | instid1(VALU_DEP_1)
	v_cmp_eq_u32_e64 s24, 0, v85
	s_and_b32 s25, s25, s24
	s_delay_alu instid0(SALU_CYCLE_1)
	s_and_saveexec_b32 s24, s25
	s_cbranch_execz .LBB15_77
; %bb.76:
	s_waitcnt lgkmcnt(0)
	v_bcnt_u32_b32 v3, v3, v84
	ds_store_b32 v69, v3 offset:32
.LBB15_77:
	s_or_b32 exec_lo, exec_lo, s24
	v_xor_b32_e32 v83, -1, v9
	; wave barrier
	s_delay_alu instid0(VALU_DEP_1) | instskip(NEXT) | instid1(VALU_DEP_1)
	v_and_b32_e32 v3, 0xff, v83
	v_lshrrev_b32_e32 v3, s60, v3
	s_delay_alu instid0(VALU_DEP_1) | instskip(NEXT) | instid1(VALU_DEP_1)
	v_and_b32_e32 v3, s68, v3
	v_and_b32_e32 v9, 1, v3
	v_lshlrev_b32_e32 v70, 30, v3
	v_lshlrev_b32_e32 v71, 29, v3
	;; [unrolled: 1-line block ×4, first 2 shown]
	v_add_co_u32 v9, s24, v9, -1
	s_delay_alu instid0(VALU_DEP_1)
	v_cndmask_b32_e64 v73, 0, 1, s24
	v_not_b32_e32 v77, v70
	v_cmp_gt_i32_e64 s25, 0, v70
	v_not_b32_e32 v70, v71
	v_lshlrev_b32_e32 v75, 26, v3
	v_cmp_ne_u32_e64 s24, 0, v73
	v_ashrrev_i32_e32 v77, 31, v77
	v_lshlrev_b32_e32 v76, 25, v3
	v_ashrrev_i32_e32 v70, 31, v70
	v_lshlrev_b32_e32 v73, 24, v3
	v_xor_b32_e32 v9, s24, v9
	v_cmp_gt_i32_e64 s24, 0, v71
	v_not_b32_e32 v71, v72
	v_xor_b32_e32 v77, s25, v77
	v_cmp_gt_i32_e64 s25, 0, v72
	v_and_b32_e32 v9, exec_lo, v9
	v_not_b32_e32 v72, v74
	v_ashrrev_i32_e32 v71, 31, v71
	v_xor_b32_e32 v70, s24, v70
	v_cmp_gt_i32_e64 s24, 0, v74
	v_and_b32_e32 v9, v9, v77
	v_not_b32_e32 v74, v75
	v_ashrrev_i32_e32 v72, 31, v72
	v_xor_b32_e32 v71, s25, v71
	v_cmp_gt_i32_e64 s25, 0, v75
	v_and_b32_e32 v9, v9, v70
	;; [unrolled: 5-line block ×3, first 2 shown]
	v_not_b32_e32 v71, v73
	v_ashrrev_i32_e32 v70, 31, v70
	v_xor_b32_e32 v74, s25, v74
	v_mul_u32_u24_e32 v3, 9, v3
	v_and_b32_e32 v9, v9, v72
	v_cmp_gt_i32_e64 s25, 0, v73
	v_ashrrev_i32_e32 v71, 31, v71
	v_xor_b32_e32 v72, s24, v70
	v_add_lshl_u32 v70, v2, v3, 2
	v_and_b32_e32 v9, v9, v74
	s_delay_alu instid0(VALU_DEP_4) | instskip(SKIP_2) | instid1(VALU_DEP_1)
	v_xor_b32_e32 v3, s25, v71
	ds_load_b32 v87, v70 offset:32
	v_and_b32_e32 v9, v9, v72
	; wave barrier
	v_and_b32_e32 v3, v9, v3
	s_delay_alu instid0(VALU_DEP_1) | instskip(SKIP_1) | instid1(VALU_DEP_2)
	v_mbcnt_lo_u32_b32 v88, v3, 0
	v_cmp_ne_u32_e64 s25, 0, v3
	v_cmp_eq_u32_e64 s24, 0, v88
	s_delay_alu instid0(VALU_DEP_1) | instskip(NEXT) | instid1(SALU_CYCLE_1)
	s_and_b32 s25, s25, s24
	s_and_saveexec_b32 s24, s25
	s_cbranch_execz .LBB15_79
; %bb.78:
	s_waitcnt lgkmcnt(0)
	v_bcnt_u32_b32 v3, v3, v87
	ds_store_b32 v70, v3 offset:32
.LBB15_79:
	s_or_b32 exec_lo, exec_lo, s24
	v_xor_b32_e32 v86, -1, v8
	; wave barrier
	s_delay_alu instid0(VALU_DEP_1) | instskip(NEXT) | instid1(VALU_DEP_1)
	v_and_b32_e32 v3, 0xff, v86
	v_lshrrev_b32_e32 v3, s60, v3
	s_delay_alu instid0(VALU_DEP_1) | instskip(NEXT) | instid1(VALU_DEP_1)
	v_and_b32_e32 v3, s68, v3
	v_and_b32_e32 v8, 1, v3
	v_lshlrev_b32_e32 v9, 30, v3
	v_lshlrev_b32_e32 v71, 29, v3
	;; [unrolled: 1-line block ×4, first 2 shown]
	v_add_co_u32 v8, s24, v8, -1
	s_delay_alu instid0(VALU_DEP_1)
	v_cndmask_b32_e64 v73, 0, 1, s24
	v_not_b32_e32 v77, v9
	v_cmp_gt_i32_e64 s25, 0, v9
	v_not_b32_e32 v9, v71
	v_lshlrev_b32_e32 v75, 26, v3
	v_cmp_ne_u32_e64 s24, 0, v73
	v_ashrrev_i32_e32 v77, 31, v77
	v_lshlrev_b32_e32 v76, 25, v3
	v_ashrrev_i32_e32 v9, 31, v9
	v_lshlrev_b32_e32 v73, 24, v3
	v_xor_b32_e32 v8, s24, v8
	v_cmp_gt_i32_e64 s24, 0, v71
	v_not_b32_e32 v71, v72
	v_xor_b32_e32 v77, s25, v77
	v_cmp_gt_i32_e64 s25, 0, v72
	v_and_b32_e32 v8, exec_lo, v8
	v_not_b32_e32 v72, v74
	v_ashrrev_i32_e32 v71, 31, v71
	v_xor_b32_e32 v9, s24, v9
	v_cmp_gt_i32_e64 s24, 0, v74
	v_and_b32_e32 v8, v8, v77
	v_not_b32_e32 v74, v75
	v_ashrrev_i32_e32 v72, 31, v72
	v_xor_b32_e32 v71, s25, v71
	v_cmp_gt_i32_e64 s25, 0, v75
	v_and_b32_e32 v8, v8, v9
	;; [unrolled: 5-line block ×3, first 2 shown]
	v_not_b32_e32 v71, v73
	v_ashrrev_i32_e32 v9, 31, v9
	v_xor_b32_e32 v74, s25, v74
	v_mul_u32_u24_e32 v3, 9, v3
	v_and_b32_e32 v8, v8, v72
	v_cmp_gt_i32_e64 s25, 0, v73
	v_ashrrev_i32_e32 v72, 31, v71
	v_xor_b32_e32 v9, s24, v9
	v_add_lshl_u32 v71, v2, v3, 2
	v_and_b32_e32 v8, v8, v74
	s_delay_alu instid0(VALU_DEP_4) | instskip(SKIP_2) | instid1(VALU_DEP_1)
	v_xor_b32_e32 v3, s25, v72
	ds_load_b32 v90, v71 offset:32
	v_and_b32_e32 v8, v8, v9
	; wave barrier
	v_and_b32_e32 v3, v8, v3
	s_delay_alu instid0(VALU_DEP_1) | instskip(SKIP_1) | instid1(VALU_DEP_2)
	v_mbcnt_lo_u32_b32 v91, v3, 0
	v_cmp_ne_u32_e64 s25, 0, v3
	v_cmp_eq_u32_e64 s24, 0, v91
	s_delay_alu instid0(VALU_DEP_1) | instskip(NEXT) | instid1(SALU_CYCLE_1)
	s_and_b32 s25, s25, s24
	s_and_saveexec_b32 s24, s25
	s_cbranch_execz .LBB15_81
; %bb.80:
	s_waitcnt lgkmcnt(0)
	v_bcnt_u32_b32 v3, v3, v90
	ds_store_b32 v71, v3 offset:32
.LBB15_81:
	s_or_b32 exec_lo, exec_lo, s24
	v_xor_b32_e32 v89, -1, v7
	; wave barrier
	s_delay_alu instid0(VALU_DEP_1) | instskip(NEXT) | instid1(VALU_DEP_1)
	v_and_b32_e32 v3, 0xff, v89
	v_lshrrev_b32_e32 v3, s60, v3
	s_delay_alu instid0(VALU_DEP_1) | instskip(NEXT) | instid1(VALU_DEP_1)
	v_and_b32_e32 v3, s68, v3
	v_and_b32_e32 v7, 1, v3
	v_lshlrev_b32_e32 v8, 30, v3
	v_lshlrev_b32_e32 v9, 29, v3
	;; [unrolled: 1-line block ×4, first 2 shown]
	v_add_co_u32 v7, s24, v7, -1
	s_delay_alu instid0(VALU_DEP_1)
	v_cndmask_b32_e64 v73, 0, 1, s24
	v_not_b32_e32 v77, v8
	v_cmp_gt_i32_e64 s25, 0, v8
	v_not_b32_e32 v8, v9
	v_lshlrev_b32_e32 v75, 26, v3
	v_cmp_ne_u32_e64 s24, 0, v73
	v_ashrrev_i32_e32 v77, 31, v77
	v_lshlrev_b32_e32 v76, 25, v3
	v_ashrrev_i32_e32 v8, 31, v8
	v_lshlrev_b32_e32 v73, 24, v3
	v_xor_b32_e32 v7, s24, v7
	v_cmp_gt_i32_e64 s24, 0, v9
	v_not_b32_e32 v9, v72
	v_xor_b32_e32 v77, s25, v77
	v_cmp_gt_i32_e64 s25, 0, v72
	v_and_b32_e32 v7, exec_lo, v7
	v_not_b32_e32 v72, v74
	v_ashrrev_i32_e32 v9, 31, v9
	v_xor_b32_e32 v8, s24, v8
	v_cmp_gt_i32_e64 s24, 0, v74
	v_and_b32_e32 v7, v7, v77
	v_not_b32_e32 v74, v75
	v_ashrrev_i32_e32 v72, 31, v72
	v_xor_b32_e32 v9, s25, v9
	v_cmp_gt_i32_e64 s25, 0, v75
	v_and_b32_e32 v7, v7, v8
	;; [unrolled: 5-line block ×3, first 2 shown]
	v_not_b32_e32 v9, v73
	v_ashrrev_i32_e32 v8, 31, v8
	v_xor_b32_e32 v74, s25, v74
	v_mul_u32_u24_e32 v3, 9, v3
	v_and_b32_e32 v7, v7, v72
	v_cmp_gt_i32_e64 s25, 0, v73
	v_ashrrev_i32_e32 v9, 31, v9
	v_xor_b32_e32 v8, s24, v8
	v_add_lshl_u32 v72, v2, v3, 2
	v_and_b32_e32 v7, v7, v74
	s_delay_alu instid0(VALU_DEP_4) | instskip(SKIP_2) | instid1(VALU_DEP_1)
	v_xor_b32_e32 v3, s25, v9
	ds_load_b32 v93, v72 offset:32
	v_and_b32_e32 v7, v7, v8
	; wave barrier
	v_and_b32_e32 v3, v7, v3
	s_delay_alu instid0(VALU_DEP_1) | instskip(SKIP_1) | instid1(VALU_DEP_2)
	v_mbcnt_lo_u32_b32 v94, v3, 0
	v_cmp_ne_u32_e64 s25, 0, v3
	v_cmp_eq_u32_e64 s24, 0, v94
	s_delay_alu instid0(VALU_DEP_1) | instskip(NEXT) | instid1(SALU_CYCLE_1)
	s_and_b32 s25, s25, s24
	s_and_saveexec_b32 s24, s25
	s_cbranch_execz .LBB15_83
; %bb.82:
	s_waitcnt lgkmcnt(0)
	v_bcnt_u32_b32 v3, v3, v93
	ds_store_b32 v72, v3 offset:32
.LBB15_83:
	s_or_b32 exec_lo, exec_lo, s24
	v_xor_b32_e32 v92, -1, v6
	; wave barrier
	s_delay_alu instid0(VALU_DEP_1) | instskip(NEXT) | instid1(VALU_DEP_1)
	v_and_b32_e32 v3, 0xff, v92
	v_lshrrev_b32_e32 v3, s60, v3
	s_delay_alu instid0(VALU_DEP_1) | instskip(NEXT) | instid1(VALU_DEP_1)
	v_and_b32_e32 v3, s68, v3
	v_and_b32_e32 v6, 1, v3
	v_lshlrev_b32_e32 v7, 30, v3
	v_lshlrev_b32_e32 v8, 29, v3
	;; [unrolled: 1-line block ×4, first 2 shown]
	v_add_co_u32 v6, s24, v6, -1
	s_delay_alu instid0(VALU_DEP_1)
	v_cndmask_b32_e64 v73, 0, 1, s24
	v_not_b32_e32 v77, v7
	v_cmp_gt_i32_e64 s25, 0, v7
	v_not_b32_e32 v7, v8
	v_lshlrev_b32_e32 v75, 26, v3
	v_cmp_ne_u32_e64 s24, 0, v73
	v_ashrrev_i32_e32 v77, 31, v77
	v_lshlrev_b32_e32 v76, 25, v3
	v_ashrrev_i32_e32 v7, 31, v7
	v_lshlrev_b32_e32 v73, 24, v3
	v_xor_b32_e32 v6, s24, v6
	v_cmp_gt_i32_e64 s24, 0, v8
	v_not_b32_e32 v8, v9
	v_xor_b32_e32 v77, s25, v77
	v_cmp_gt_i32_e64 s25, 0, v9
	v_and_b32_e32 v6, exec_lo, v6
	v_not_b32_e32 v9, v74
	v_ashrrev_i32_e32 v8, 31, v8
	v_xor_b32_e32 v7, s24, v7
	v_cmp_gt_i32_e64 s24, 0, v74
	v_and_b32_e32 v6, v6, v77
	v_not_b32_e32 v74, v75
	v_ashrrev_i32_e32 v9, 31, v9
	v_xor_b32_e32 v8, s25, v8
	v_cmp_gt_i32_e64 s25, 0, v75
	v_and_b32_e32 v6, v6, v7
	;; [unrolled: 5-line block ×3, first 2 shown]
	v_not_b32_e32 v8, v73
	v_ashrrev_i32_e32 v7, 31, v7
	v_xor_b32_e32 v74, s25, v74
	v_mul_u32_u24_e32 v3, 9, v3
	v_and_b32_e32 v6, v6, v9
	v_cmp_gt_i32_e64 s25, 0, v73
	v_ashrrev_i32_e32 v8, 31, v8
	v_xor_b32_e32 v7, s24, v7
	v_add_lshl_u32 v73, v2, v3, 2
	v_and_b32_e32 v6, v6, v74
	s_delay_alu instid0(VALU_DEP_4) | instskip(SKIP_2) | instid1(VALU_DEP_1)
	v_xor_b32_e32 v3, s25, v8
	ds_load_b32 v96, v73 offset:32
	v_and_b32_e32 v6, v6, v7
	; wave barrier
	v_and_b32_e32 v3, v6, v3
	s_delay_alu instid0(VALU_DEP_1) | instskip(SKIP_1) | instid1(VALU_DEP_2)
	v_mbcnt_lo_u32_b32 v97, v3, 0
	v_cmp_ne_u32_e64 s25, 0, v3
	v_cmp_eq_u32_e64 s24, 0, v97
	s_delay_alu instid0(VALU_DEP_1) | instskip(NEXT) | instid1(SALU_CYCLE_1)
	s_and_b32 s25, s25, s24
	s_and_saveexec_b32 s24, s25
	s_cbranch_execz .LBB15_85
; %bb.84:
	s_waitcnt lgkmcnt(0)
	v_bcnt_u32_b32 v3, v3, v96
	ds_store_b32 v73, v3 offset:32
.LBB15_85:
	s_or_b32 exec_lo, exec_lo, s24
	v_xor_b32_e32 v95, -1, v5
	; wave barrier
	s_delay_alu instid0(VALU_DEP_1) | instskip(NEXT) | instid1(VALU_DEP_1)
	v_and_b32_e32 v3, 0xff, v95
	v_lshrrev_b32_e32 v3, s60, v3
	s_delay_alu instid0(VALU_DEP_1) | instskip(NEXT) | instid1(VALU_DEP_1)
	v_and_b32_e32 v3, s68, v3
	v_and_b32_e32 v5, 1, v3
	v_lshlrev_b32_e32 v6, 30, v3
	v_lshlrev_b32_e32 v7, 29, v3
	;; [unrolled: 1-line block ×4, first 2 shown]
	v_add_co_u32 v5, s24, v5, -1
	s_delay_alu instid0(VALU_DEP_1)
	v_cndmask_b32_e64 v9, 0, 1, s24
	v_not_b32_e32 v77, v6
	v_cmp_gt_i32_e64 s25, 0, v6
	v_not_b32_e32 v6, v7
	v_lshlrev_b32_e32 v75, 26, v3
	v_cmp_ne_u32_e64 s24, 0, v9
	v_ashrrev_i32_e32 v77, 31, v77
	v_lshlrev_b32_e32 v76, 25, v3
	v_ashrrev_i32_e32 v6, 31, v6
	v_lshlrev_b32_e32 v9, 24, v3
	v_xor_b32_e32 v5, s24, v5
	v_cmp_gt_i32_e64 s24, 0, v7
	v_not_b32_e32 v7, v8
	v_xor_b32_e32 v77, s25, v77
	v_cmp_gt_i32_e64 s25, 0, v8
	v_and_b32_e32 v5, exec_lo, v5
	v_not_b32_e32 v8, v74
	v_ashrrev_i32_e32 v7, 31, v7
	v_xor_b32_e32 v6, s24, v6
	v_cmp_gt_i32_e64 s24, 0, v74
	v_and_b32_e32 v5, v5, v77
	v_not_b32_e32 v74, v75
	v_ashrrev_i32_e32 v8, 31, v8
	v_xor_b32_e32 v7, s25, v7
	v_cmp_gt_i32_e64 s25, 0, v75
	v_and_b32_e32 v5, v5, v6
	;; [unrolled: 5-line block ×3, first 2 shown]
	v_not_b32_e32 v7, v9
	v_ashrrev_i32_e32 v6, 31, v6
	v_xor_b32_e32 v74, s25, v74
	v_mul_u32_u24_e32 v3, 9, v3
	v_and_b32_e32 v5, v5, v8
	v_cmp_gt_i32_e64 s25, 0, v9
	v_ashrrev_i32_e32 v7, 31, v7
	v_xor_b32_e32 v6, s24, v6
	s_delay_alu instid0(VALU_DEP_4) | instskip(SKIP_1) | instid1(VALU_DEP_4)
	v_and_b32_e32 v5, v5, v74
	v_add_lshl_u32 v74, v2, v3, 2
	v_xor_b32_e32 v3, s25, v7
	s_delay_alu instid0(VALU_DEP_3) | instskip(SKIP_2) | instid1(VALU_DEP_1)
	v_and_b32_e32 v5, v5, v6
	ds_load_b32 v99, v74 offset:32
	; wave barrier
	v_and_b32_e32 v3, v5, v3
	v_mbcnt_lo_u32_b32 v100, v3, 0
	v_cmp_ne_u32_e64 s25, 0, v3
	s_delay_alu instid0(VALU_DEP_2) | instskip(NEXT) | instid1(VALU_DEP_1)
	v_cmp_eq_u32_e64 s24, 0, v100
	s_and_b32 s25, s25, s24
	s_delay_alu instid0(SALU_CYCLE_1)
	s_and_saveexec_b32 s24, s25
	s_cbranch_execz .LBB15_87
; %bb.86:
	s_waitcnt lgkmcnt(0)
	v_bcnt_u32_b32 v3, v3, v99
	ds_store_b32 v74, v3 offset:32
.LBB15_87:
	s_or_b32 exec_lo, exec_lo, s24
	v_xor_b32_e32 v98, -1, v4
	; wave barrier
	s_delay_alu instid0(VALU_DEP_1) | instskip(NEXT) | instid1(VALU_DEP_1)
	v_and_b32_e32 v3, 0xff, v98
	v_lshrrev_b32_e32 v3, s60, v3
	s_delay_alu instid0(VALU_DEP_1) | instskip(NEXT) | instid1(VALU_DEP_1)
	v_and_b32_e32 v3, s68, v3
	v_and_b32_e32 v4, 1, v3
	v_lshlrev_b32_e32 v5, 30, v3
	v_lshlrev_b32_e32 v6, 29, v3
	;; [unrolled: 1-line block ×4, first 2 shown]
	v_add_co_u32 v4, s24, v4, -1
	s_delay_alu instid0(VALU_DEP_1)
	v_cndmask_b32_e64 v8, 0, 1, s24
	v_not_b32_e32 v77, v5
	v_cmp_gt_i32_e64 s25, 0, v5
	v_not_b32_e32 v5, v6
	v_lshlrev_b32_e32 v75, 26, v3
	v_cmp_ne_u32_e64 s24, 0, v8
	v_ashrrev_i32_e32 v77, 31, v77
	v_lshlrev_b32_e32 v76, 25, v3
	v_ashrrev_i32_e32 v5, 31, v5
	v_lshlrev_b32_e32 v8, 24, v3
	v_xor_b32_e32 v4, s24, v4
	v_cmp_gt_i32_e64 s24, 0, v6
	v_not_b32_e32 v6, v7
	v_xor_b32_e32 v77, s25, v77
	v_cmp_gt_i32_e64 s25, 0, v7
	v_and_b32_e32 v4, exec_lo, v4
	v_not_b32_e32 v7, v9
	v_ashrrev_i32_e32 v6, 31, v6
	v_xor_b32_e32 v5, s24, v5
	v_cmp_gt_i32_e64 s24, 0, v9
	v_and_b32_e32 v4, v4, v77
	v_not_b32_e32 v9, v75
	v_ashrrev_i32_e32 v7, 31, v7
	v_xor_b32_e32 v6, s25, v6
	v_cmp_gt_i32_e64 s25, 0, v75
	v_and_b32_e32 v4, v4, v5
	v_not_b32_e32 v5, v76
	v_ashrrev_i32_e32 v9, 31, v9
	v_xor_b32_e32 v7, s24, v7
	v_cmp_gt_i32_e64 s24, 0, v76
	v_and_b32_e32 v4, v4, v6
	v_not_b32_e32 v6, v8
	v_ashrrev_i32_e32 v5, 31, v5
	v_xor_b32_e32 v9, s25, v9
	v_mul_u32_u24_e32 v3, 9, v3
	v_and_b32_e32 v4, v4, v7
	v_cmp_gt_i32_e64 s25, 0, v8
	v_ashrrev_i32_e32 v6, 31, v6
	v_xor_b32_e32 v5, s24, v5
	v_add_lshl_u32 v75, v2, v3, 2
	v_and_b32_e32 v4, v4, v9
	v_add_nc_u32_e32 v76, 32, v15
	v_xor_b32_e32 v2, s25, v6
	ds_load_b32 v101, v75 offset:32
	v_and_b32_e32 v3, v4, v5
	; wave barrier
	s_delay_alu instid0(VALU_DEP_1) | instskip(NEXT) | instid1(VALU_DEP_1)
	v_and_b32_e32 v2, v3, v2
	v_mbcnt_lo_u32_b32 v102, v2, 0
	v_cmp_ne_u32_e64 s25, 0, v2
	s_delay_alu instid0(VALU_DEP_2) | instskip(NEXT) | instid1(VALU_DEP_1)
	v_cmp_eq_u32_e64 s24, 0, v102
	s_and_b32 s25, s25, s24
	s_delay_alu instid0(SALU_CYCLE_1)
	s_and_saveexec_b32 s24, s25
	s_cbranch_execz .LBB15_89
; %bb.88:
	s_waitcnt lgkmcnt(0)
	v_bcnt_u32_b32 v2, v2, v101
	ds_store_b32 v75, v2 offset:32
.LBB15_89:
	s_or_b32 exec_lo, exec_lo, s24
	; wave barrier
	s_waitcnt lgkmcnt(0)
	s_barrier
	buffer_gl0_inv
	ds_load_2addr_b32 v[8:9], v15 offset0:8 offset1:9
	ds_load_2addr_b32 v[6:7], v76 offset0:2 offset1:3
	;; [unrolled: 1-line block ×4, first 2 shown]
	ds_load_b32 v77, v76 offset:32
	v_min_u32_e32 v11, 0xe0, v11
	s_mov_b32 s25, exec_lo
	s_delay_alu instid0(VALU_DEP_1) | instskip(SKIP_3) | instid1(VALU_DEP_1)
	v_or_b32_e32 v105, 31, v11
	s_waitcnt lgkmcnt(3)
	v_add3_u32 v103, v9, v8, v6
	s_waitcnt lgkmcnt(2)
	v_add3_u32 v103, v103, v7, v4
	s_waitcnt lgkmcnt(1)
	s_delay_alu instid0(VALU_DEP_1) | instskip(SKIP_1) | instid1(VALU_DEP_1)
	v_add3_u32 v103, v103, v5, v2
	s_waitcnt lgkmcnt(0)
	v_add3_u32 v77, v103, v3, v77
	v_and_b32_e32 v103, 15, v51
	s_delay_alu instid0(VALU_DEP_2) | instskip(NEXT) | instid1(VALU_DEP_2)
	v_mov_b32_dpp v104, v77 row_shr:1 row_mask:0xf bank_mask:0xf
	v_cmp_ne_u32_e64 s24, 0, v103
	s_delay_alu instid0(VALU_DEP_1) | instskip(SKIP_1) | instid1(VALU_DEP_2)
	v_cndmask_b32_e64 v104, 0, v104, s24
	v_cmp_lt_u32_e64 s24, 1, v103
	v_add_nc_u32_e32 v77, v104, v77
	s_delay_alu instid0(VALU_DEP_1) | instskip(NEXT) | instid1(VALU_DEP_1)
	v_mov_b32_dpp v104, v77 row_shr:2 row_mask:0xf bank_mask:0xf
	v_cndmask_b32_e64 v104, 0, v104, s24
	v_cmp_lt_u32_e64 s24, 3, v103
	s_delay_alu instid0(VALU_DEP_2) | instskip(NEXT) | instid1(VALU_DEP_1)
	v_add_nc_u32_e32 v77, v77, v104
	v_mov_b32_dpp v104, v77 row_shr:4 row_mask:0xf bank_mask:0xf
	s_delay_alu instid0(VALU_DEP_1) | instskip(SKIP_1) | instid1(VALU_DEP_2)
	v_cndmask_b32_e64 v104, 0, v104, s24
	v_cmp_lt_u32_e64 s24, 7, v103
	v_add_nc_u32_e32 v77, v77, v104
	s_delay_alu instid0(VALU_DEP_1) | instskip(NEXT) | instid1(VALU_DEP_1)
	v_mov_b32_dpp v104, v77 row_shr:8 row_mask:0xf bank_mask:0xf
	v_cndmask_b32_e64 v103, 0, v104, s24
	v_bfe_i32 v104, v51, 4, 1
	s_delay_alu instid0(VALU_DEP_2) | instskip(SKIP_4) | instid1(VALU_DEP_2)
	v_add_nc_u32_e32 v103, v77, v103
	ds_swizzle_b32 v77, v103 offset:swizzle(BROADCAST,32,15)
	s_waitcnt lgkmcnt(0)
	v_and_b32_e32 v104, v104, v77
	v_lshrrev_b32_e32 v77, 5, v1
	v_add_nc_u32_e32 v11, v103, v104
	v_cmpx_eq_u32_e64 v105, v1
	s_cbranch_execz .LBB15_91
; %bb.90:
	s_delay_alu instid0(VALU_DEP_3)
	v_lshlrev_b32_e32 v103, 2, v77
	ds_store_b32 v103, v11
.LBB15_91:
	s_or_b32 exec_lo, exec_lo, s25
	s_delay_alu instid0(SALU_CYCLE_1)
	s_mov_b32 s25, exec_lo
	s_waitcnt lgkmcnt(0)
	s_barrier
	buffer_gl0_inv
	v_cmpx_gt_u32_e32 8, v1
	s_cbranch_execz .LBB15_93
; %bb.92:
	v_lshlrev_b32_e32 v103, 2, v1
	v_and_b32_e32 v105, 7, v51
	ds_load_b32 v104, v103
	v_cmp_ne_u32_e64 s24, 0, v105
	s_waitcnt lgkmcnt(0)
	v_mov_b32_dpp v106, v104 row_shr:1 row_mask:0xf bank_mask:0xf
	s_delay_alu instid0(VALU_DEP_1) | instskip(SKIP_1) | instid1(VALU_DEP_2)
	v_cndmask_b32_e64 v106, 0, v106, s24
	v_cmp_lt_u32_e64 s24, 1, v105
	v_add_nc_u32_e32 v104, v106, v104
	s_delay_alu instid0(VALU_DEP_1) | instskip(NEXT) | instid1(VALU_DEP_1)
	v_mov_b32_dpp v106, v104 row_shr:2 row_mask:0xf bank_mask:0xf
	v_cndmask_b32_e64 v106, 0, v106, s24
	v_cmp_lt_u32_e64 s24, 3, v105
	s_delay_alu instid0(VALU_DEP_2) | instskip(NEXT) | instid1(VALU_DEP_1)
	v_add_nc_u32_e32 v104, v104, v106
	v_mov_b32_dpp v106, v104 row_shr:4 row_mask:0xf bank_mask:0xf
	s_delay_alu instid0(VALU_DEP_1) | instskip(NEXT) | instid1(VALU_DEP_1)
	v_cndmask_b32_e64 v105, 0, v106, s24
	v_add_nc_u32_e32 v104, v104, v105
	ds_store_b32 v103, v104
.LBB15_93:
	s_or_b32 exec_lo, exec_lo, s25
	v_mov_b32_e32 v103, 0
	s_mov_b32 s25, exec_lo
	s_waitcnt lgkmcnt(0)
	s_barrier
	buffer_gl0_inv
	v_cmpx_lt_u32_e32 31, v1
	s_cbranch_execz .LBB15_95
; %bb.94:
	v_lshl_add_u32 v77, v77, 2, -4
	ds_load_b32 v103, v77
.LBB15_95:
	s_or_b32 exec_lo, exec_lo, s25
	v_add_nc_u32_e32 v77, -1, v51
	s_waitcnt lgkmcnt(0)
	v_add_nc_u32_e32 v11, v103, v11
	s_mov_b32 s25, 0
	s_mov_b32 s26, exec_lo
	v_cmp_gt_i32_e64 s24, 0, v77
	s_delay_alu instid0(VALU_DEP_1) | instskip(SKIP_1) | instid1(VALU_DEP_2)
	v_cndmask_b32_e64 v77, v77, v51, s24
	v_cmp_eq_u32_e64 s24, 0, v51
	v_lshlrev_b32_e32 v77, 2, v77
	ds_bpermute_b32 v11, v77, v11
	s_waitcnt lgkmcnt(0)
	v_cndmask_b32_e64 v11, v11, v103, s24
	v_cmp_ne_u32_e64 s24, 0, v1
	s_delay_alu instid0(VALU_DEP_1) | instskip(NEXT) | instid1(VALU_DEP_1)
	v_cndmask_b32_e64 v11, 0, v11, s24
	v_add_nc_u32_e32 v8, v11, v8
	s_delay_alu instid0(VALU_DEP_1) | instskip(NEXT) | instid1(VALU_DEP_1)
	v_add_nc_u32_e32 v9, v8, v9
	v_add_nc_u32_e32 v6, v9, v6
	s_delay_alu instid0(VALU_DEP_1) | instskip(NEXT) | instid1(VALU_DEP_1)
	v_add_nc_u32_e32 v7, v6, v7
	;; [unrolled: 3-line block ×3, first 2 shown]
	v_add_nc_u32_e32 v2, v5, v2
	s_delay_alu instid0(VALU_DEP_1)
	v_add_nc_u32_e32 v3, v2, v3
	ds_store_2addr_b32 v15, v11, v8 offset0:8 offset1:9
	ds_store_2addr_b32 v76, v9, v6 offset0:2 offset1:3
	;; [unrolled: 1-line block ×4, first 2 shown]
	ds_store_b32 v76, v3 offset:32
	v_mov_b32_e32 v2, 0x1600
	s_waitcnt lgkmcnt(0)
	s_barrier
	buffer_gl0_inv
	ds_load_b32 v4, v20 offset:32
	ds_load_b32 v5, v24 offset:32
	;; [unrolled: 1-line block ×23, first 2 shown]
	v_add_nc_u32_e32 v15, 1, v1
	s_delay_alu instid0(VALU_DEP_1)
	v_cmpx_ne_u32_e32 0x100, v15
	s_cbranch_execz .LBB15_97
; %bb.96:
	v_mul_u32_u24_e32 v2, 9, v15
	s_delay_alu instid0(VALU_DEP_1)
	v_lshlrev_b32_e32 v2, 2, v2
	ds_load_b32 v2, v2 offset:32
.LBB15_97:
	s_or_b32 exec_lo, exec_lo, s26
	s_waitcnt lgkmcnt(22)
	v_add3_u32 v76, v19, v18, v4
	s_waitcnt lgkmcnt(21)
	v_add3_u32 v75, v23, v22, v5
	v_lshl_add_u32 v4, s15, 8, v1
	v_mov_b32_e32 v5, 0
	s_waitcnt lgkmcnt(20)
	v_add3_u32 v74, v27, v26, v6
	s_waitcnt lgkmcnt(19)
	v_add3_u32 v73, v31, v30, v7
	s_waitcnt lgkmcnt(12)
	v_add3_u32 v66, v63, v62, v32
	s_waitcnt lgkmcnt(8)
	v_add3_u32 v62, v85, v84, v52
	v_lshlrev_b64 v[6:7], 2, v[4:5]
	s_waitcnt lgkmcnt(0)
	v_sub_nc_u32_e32 v52, v2, v3
	v_dual_mov_b32 v2, 0 :: v_dual_add_nc_u32 v77, v16, v14
	v_add3_u32 v72, v35, v34, v8
	v_add3_u32 v71, v39, v38, v9
	v_add_co_u32 v6, s24, s66, v6
	v_add3_u32 v70, v44, v43, v11
	v_add3_u32 v69, v49, v48, v20
	;; [unrolled: 1-line block ×13, first 2 shown]
	v_add_co_ci_u32_e64 v7, s24, s67, v7, s24
	v_or_b32_e32 v4, 2.0, v52
	s_mov_b32 s26, s63
	s_barrier
	buffer_gl0_inv
	ds_store_b8 v77, v12 offset:2048
	ds_store_b8 v76, v13 offset:2048
	;; [unrolled: 1-line block ×22, first 2 shown]
	s_waitcnt lgkmcnt(0)
	s_barrier
	buffer_gl0_inv
	global_store_b32 v[6:7], v4, off
                                        ; implicit-def: $sgpr24
	s_branch .LBB15_99
	.p2align	6
.LBB15_98:                              ;   in Loop: Header=BB15_99 Depth=1
	s_or_b32 exec_lo, exec_lo, s27
	v_and_b32_e32 v8, 0x3fffffff, v11
	v_cmp_eq_u32_e64 s24, 0x80000000, v4
	s_delay_alu instid0(VALU_DEP_2) | instskip(NEXT) | instid1(VALU_DEP_2)
	v_add_nc_u32_e32 v2, v8, v2
	s_and_b32 s27, exec_lo, s24
	s_delay_alu instid0(SALU_CYCLE_1) | instskip(NEXT) | instid1(SALU_CYCLE_1)
	s_or_b32 s25, s27, s25
	s_and_not1_b32 exec_lo, exec_lo, s25
	s_cbranch_execz .LBB15_105
.LBB15_99:                              ; =>This Loop Header: Depth=1
                                        ;     Child Loop BB15_102 Depth 2
	s_or_b32 s24, s24, exec_lo
	s_cmp_eq_u32 s26, 0
	s_cbranch_scc1 .LBB15_104
; %bb.100:                              ;   in Loop: Header=BB15_99 Depth=1
	s_add_i32 s26, s26, -1
	s_mov_b32 s27, exec_lo
	v_lshl_add_u32 v4, s26, 8, v1
	s_delay_alu instid0(VALU_DEP_1) | instskip(NEXT) | instid1(VALU_DEP_1)
	v_lshlrev_b64 v[8:9], 2, v[4:5]
	v_add_co_u32 v8, s24, s66, v8
	s_delay_alu instid0(VALU_DEP_1) | instskip(SKIP_3) | instid1(VALU_DEP_1)
	v_add_co_ci_u32_e64 v9, s24, s67, v9, s24
	global_load_b32 v11, v[8:9], off glc
	s_waitcnt vmcnt(0)
	v_and_b32_e32 v4, -2.0, v11
	v_cmpx_eq_u32_e32 0, v4
	s_cbranch_execz .LBB15_98
; %bb.101:                              ;   in Loop: Header=BB15_99 Depth=1
	s_mov_b32 s28, 0
.LBB15_102:                             ;   Parent Loop BB15_99 Depth=1
                                        ; =>  This Inner Loop Header: Depth=2
	global_load_b32 v11, v[8:9], off glc
	s_waitcnt vmcnt(0)
	v_and_b32_e32 v4, -2.0, v11
	s_delay_alu instid0(VALU_DEP_1) | instskip(NEXT) | instid1(VALU_DEP_1)
	v_cmp_ne_u32_e64 s24, 0, v4
	s_or_b32 s28, s24, s28
	s_delay_alu instid0(SALU_CYCLE_1)
	s_and_not1_b32 exec_lo, exec_lo, s28
	s_cbranch_execnz .LBB15_102
; %bb.103:                              ;   in Loop: Header=BB15_99 Depth=1
	s_or_b32 exec_lo, exec_lo, s28
	s_branch .LBB15_98
.LBB15_104:                             ;   in Loop: Header=BB15_99 Depth=1
                                        ; implicit-def: $sgpr26
	s_and_b32 s27, exec_lo, s24
	s_delay_alu instid0(SALU_CYCLE_1) | instskip(NEXT) | instid1(SALU_CYCLE_1)
	s_or_b32 s25, s27, s25
	s_and_not1_b32 exec_lo, exec_lo, s25
	s_cbranch_execnz .LBB15_99
.LBB15_105:
	s_or_b32 exec_lo, exec_lo, s25
	v_add_nc_u32_e32 v4, v2, v52
	v_lshlrev_b32_e32 v53, 3, v1
	s_delay_alu instid0(VALU_DEP_2)
	v_or_b32_e32 v4, 0x80000000, v4
	global_store_b32 v[6:7], v4, off
	v_sub_co_u32 v6, s24, v2, v3
	v_mov_b32_e32 v2, 0
	global_load_b64 v[4:5], v53, s[56:57]
	v_sub_co_ci_u32_e64 v7, null, 0, 0, s24
	s_waitcnt vmcnt(0)
	v_add_co_u32 v6, s24, v6, v4
	s_delay_alu instid0(VALU_DEP_1)
	v_add_co_ci_u32_e64 v7, s24, v7, v5, s24
	v_cmp_gt_u32_e64 s24, s47, v1
	v_mov_b32_e32 v4, v2
	ds_store_b64 v53, v[6:7]
	s_waitcnt lgkmcnt(0)
	s_waitcnt_vscnt null, 0x0
	s_barrier
	buffer_gl0_inv
	s_and_saveexec_b32 s26, s24
	s_cbranch_execz .LBB15_107
; %bb.106:
	ds_load_u8 v7, v1 offset:2048
	s_waitcnt lgkmcnt(0)
	v_and_b32_e32 v5, 0xff, v7
	v_xor_b32_e32 v7, -1, v7
	s_delay_alu instid0(VALU_DEP_2) | instskip(NEXT) | instid1(VALU_DEP_1)
	v_lshrrev_b32_e32 v5, s60, v5
	v_and_b32_e32 v5, s68, v5
	s_delay_alu instid0(VALU_DEP_1) | instskip(SKIP_3) | instid1(VALU_DEP_1)
	v_lshlrev_b32_e32 v5, 3, v5
	ds_load_b64 v[5:6], v5
	s_waitcnt lgkmcnt(0)
	v_add_co_u32 v5, s25, s50, v5
	v_add_co_ci_u32_e64 v6, s25, s51, v6, s25
	s_delay_alu instid0(VALU_DEP_2) | instskip(NEXT) | instid1(VALU_DEP_1)
	v_add_co_u32 v5, s25, v5, v1
	v_add_co_ci_u32_e64 v6, s25, 0, v6, s25
	global_store_b8 v[5:6], v7, off
.LBB15_107:
	s_or_b32 exec_lo, exec_lo, s26
	v_add_nc_u32_e32 v5, 0x100, v1
	s_delay_alu instid0(VALU_DEP_1) | instskip(NEXT) | instid1(VALU_DEP_1)
	v_cmp_gt_u32_e64 s25, s47, v5
	s_and_saveexec_b32 s27, s25
	s_cbranch_execz .LBB15_109
; %bb.108:
	ds_load_u8 v7, v1 offset:2304
	s_waitcnt lgkmcnt(0)
	v_and_b32_e32 v5, 0xff, v7
	v_xor_b32_e32 v7, -1, v7
	s_delay_alu instid0(VALU_DEP_2) | instskip(NEXT) | instid1(VALU_DEP_1)
	v_lshrrev_b32_e32 v5, s60, v5
	v_and_b32_e32 v5, s68, v5
	s_delay_alu instid0(VALU_DEP_1) | instskip(SKIP_3) | instid1(VALU_DEP_1)
	v_lshlrev_b32_e32 v5, 3, v5
	ds_load_b64 v[5:6], v5
	s_waitcnt lgkmcnt(0)
	v_add_co_u32 v5, s26, s50, v5
	v_add_co_ci_u32_e64 v6, s26, s51, v6, s26
	s_delay_alu instid0(VALU_DEP_2) | instskip(NEXT) | instid1(VALU_DEP_1)
	v_add_co_u32 v5, s26, v5, v1
	v_add_co_ci_u32_e64 v6, s26, 0, v6, s26
	global_store_b8 v[5:6], v7, off offset:256
.LBB15_109:
	s_or_b32 exec_lo, exec_lo, s27
	v_add_nc_u32_e32 v56, 0x200, v1
	s_delay_alu instid0(VALU_DEP_1) | instskip(NEXT) | instid1(VALU_DEP_1)
	v_cmp_gt_u32_e64 s26, s47, v56
	s_and_saveexec_b32 s28, s26
	s_cbranch_execz .LBB15_111
; %bb.110:
	ds_load_u8 v7, v1 offset:2560
	s_waitcnt lgkmcnt(0)
	v_and_b32_e32 v5, 0xff, v7
	v_xor_b32_e32 v7, -1, v7
	s_delay_alu instid0(VALU_DEP_2) | instskip(NEXT) | instid1(VALU_DEP_1)
	v_lshrrev_b32_e32 v5, s60, v5
	v_and_b32_e32 v5, s68, v5
	s_delay_alu instid0(VALU_DEP_1) | instskip(SKIP_3) | instid1(VALU_DEP_1)
	v_lshlrev_b32_e32 v5, 3, v5
	ds_load_b64 v[5:6], v5
	s_waitcnt lgkmcnt(0)
	v_add_co_u32 v5, s27, s50, v5
	v_add_co_ci_u32_e64 v6, s27, s51, v6, s27
	s_delay_alu instid0(VALU_DEP_2) | instskip(NEXT) | instid1(VALU_DEP_1)
	v_add_co_u32 v5, s27, v5, v1
	v_add_co_ci_u32_e64 v6, s27, 0, v6, s27
	global_store_b8 v[5:6], v7, off offset:512
.LBB15_111:
	;; [unrolled: 25-line block ×3, first 2 shown]
	s_or_b32 exec_lo, exec_lo, s29
	v_or_b32_e32 v78, 0x400, v1
	s_delay_alu instid0(VALU_DEP_1) | instskip(NEXT) | instid1(VALU_DEP_1)
	v_cmp_gt_u32_e64 s28, s47, v78
	s_and_saveexec_b32 s30, s28
	s_cbranch_execz .LBB15_115
; %bb.114:
	ds_load_u8 v7, v1 offset:3072
	s_waitcnt lgkmcnt(0)
	v_and_b32_e32 v5, 0xff, v7
	v_xor_b32_e32 v7, -1, v7
	s_delay_alu instid0(VALU_DEP_2) | instskip(NEXT) | instid1(VALU_DEP_1)
	v_lshrrev_b32_e32 v5, s60, v5
	v_and_b32_e32 v5, s68, v5
	s_delay_alu instid0(VALU_DEP_1) | instskip(SKIP_3) | instid1(VALU_DEP_1)
	v_lshlrev_b32_e32 v5, 3, v5
	ds_load_b64 v[5:6], v5
	s_waitcnt lgkmcnt(0)
	v_add_co_u32 v5, s29, s50, v5
	v_add_co_ci_u32_e64 v6, s29, s51, v6, s29
	s_delay_alu instid0(VALU_DEP_2) | instskip(NEXT) | instid1(VALU_DEP_1)
	v_add_co_u32 v5, s29, v5, v1
	v_add_co_ci_u32_e64 v6, s29, 0, v6, s29
	global_store_b8 v[5:6], v7, off offset:1024
.LBB15_115:
	s_or_b32 exec_lo, exec_lo, s30
	v_add_nc_u32_e32 v79, 0x500, v1
	s_delay_alu instid0(VALU_DEP_1) | instskip(NEXT) | instid1(VALU_DEP_1)
	v_cmp_gt_u32_e64 s29, s47, v79
	s_and_saveexec_b32 s31, s29
	s_cbranch_execz .LBB15_117
; %bb.116:
	ds_load_u8 v7, v1 offset:3328
	s_waitcnt lgkmcnt(0)
	v_and_b32_e32 v5, 0xff, v7
	v_xor_b32_e32 v7, -1, v7
	s_delay_alu instid0(VALU_DEP_2) | instskip(NEXT) | instid1(VALU_DEP_1)
	v_lshrrev_b32_e32 v5, s60, v5
	v_and_b32_e32 v5, s68, v5
	s_delay_alu instid0(VALU_DEP_1) | instskip(SKIP_3) | instid1(VALU_DEP_1)
	v_lshlrev_b32_e32 v5, 3, v5
	ds_load_b64 v[5:6], v5
	s_waitcnt lgkmcnt(0)
	v_add_co_u32 v5, s30, s50, v5
	v_add_co_ci_u32_e64 v6, s30, s51, v6, s30
	s_delay_alu instid0(VALU_DEP_2) | instskip(NEXT) | instid1(VALU_DEP_1)
	v_add_co_u32 v5, s30, v5, v1
	v_add_co_ci_u32_e64 v6, s30, 0, v6, s30
	global_store_b8 v[5:6], v7, off offset:1280
.LBB15_117:
	s_or_b32 exec_lo, exec_lo, s31
	v_add_nc_u32_e32 v80, 0x600, v1
	;; [unrolled: 25-line block ×3, first 2 shown]
	s_delay_alu instid0(VALU_DEP_1) | instskip(NEXT) | instid1(VALU_DEP_1)
	v_cmp_gt_u32_e64 s31, s47, v81
	s_and_saveexec_b32 s34, s31
	s_cbranch_execz .LBB15_121
; %bb.120:
	ds_load_u8 v7, v1 offset:3840
	s_waitcnt lgkmcnt(0)
	v_and_b32_e32 v5, 0xff, v7
	v_xor_b32_e32 v7, -1, v7
	s_delay_alu instid0(VALU_DEP_2) | instskip(NEXT) | instid1(VALU_DEP_1)
	v_lshrrev_b32_e32 v5, s60, v5
	v_and_b32_e32 v5, s68, v5
	s_delay_alu instid0(VALU_DEP_1) | instskip(SKIP_3) | instid1(VALU_DEP_1)
	v_lshlrev_b32_e32 v5, 3, v5
	ds_load_b64 v[5:6], v5
	s_waitcnt lgkmcnt(0)
	v_add_co_u32 v5, s33, s50, v5
	v_add_co_ci_u32_e64 v6, s33, s51, v6, s33
	s_delay_alu instid0(VALU_DEP_2) | instskip(NEXT) | instid1(VALU_DEP_1)
	v_add_co_u32 v5, s33, v5, v1
	v_add_co_ci_u32_e64 v6, s33, 0, v6, s33
	global_store_b8 v[5:6], v7, off offset:1792
.LBB15_121:
	s_or_b32 exec_lo, exec_lo, s34
	v_or_b32_e32 v82, 0x800, v1
	s_delay_alu instid0(VALU_DEP_1) | instskip(NEXT) | instid1(VALU_DEP_1)
	v_cmp_gt_u32_e64 s33, s47, v82
	s_and_saveexec_b32 s35, s33
	s_cbranch_execz .LBB15_123
; %bb.122:
	ds_load_u8 v7, v1 offset:4096
	s_waitcnt lgkmcnt(0)
	v_and_b32_e32 v5, 0xff, v7
	v_xor_b32_e32 v7, -1, v7
	s_delay_alu instid0(VALU_DEP_2) | instskip(NEXT) | instid1(VALU_DEP_1)
	v_lshrrev_b32_e32 v5, s60, v5
	v_and_b32_e32 v5, s68, v5
	s_delay_alu instid0(VALU_DEP_1) | instskip(SKIP_3) | instid1(VALU_DEP_1)
	v_lshlrev_b32_e32 v5, 3, v5
	ds_load_b64 v[5:6], v5
	s_waitcnt lgkmcnt(0)
	v_add_co_u32 v5, s34, s50, v5
	v_add_co_ci_u32_e64 v6, s34, s51, v6, s34
	s_delay_alu instid0(VALU_DEP_2) | instskip(NEXT) | instid1(VALU_DEP_1)
	v_add_co_u32 v5, s34, v5, v1
	v_add_co_ci_u32_e64 v6, s34, 0, v6, s34
	global_store_b8 v[5:6], v7, off offset:2048
.LBB15_123:
	s_or_b32 exec_lo, exec_lo, s35
	v_add_nc_u32_e32 v83, 0x900, v1
	s_delay_alu instid0(VALU_DEP_1) | instskip(NEXT) | instid1(VALU_DEP_1)
	v_cmp_gt_u32_e64 s34, s47, v83
	s_and_saveexec_b32 s36, s34
	s_cbranch_execz .LBB15_125
; %bb.124:
	ds_load_u8 v7, v1 offset:4352
	s_waitcnt lgkmcnt(0)
	v_and_b32_e32 v5, 0xff, v7
	v_xor_b32_e32 v7, -1, v7
	s_delay_alu instid0(VALU_DEP_2) | instskip(NEXT) | instid1(VALU_DEP_1)
	v_lshrrev_b32_e32 v5, s60, v5
	v_and_b32_e32 v5, s68, v5
	s_delay_alu instid0(VALU_DEP_1) | instskip(SKIP_3) | instid1(VALU_DEP_1)
	v_lshlrev_b32_e32 v5, 3, v5
	ds_load_b64 v[5:6], v5
	s_waitcnt lgkmcnt(0)
	v_add_co_u32 v5, s35, s50, v5
	v_add_co_ci_u32_e64 v6, s35, s51, v6, s35
	s_delay_alu instid0(VALU_DEP_2) | instskip(NEXT) | instid1(VALU_DEP_1)
	v_add_co_u32 v5, s35, v5, v1
	v_add_co_ci_u32_e64 v6, s35, 0, v6, s35
	global_store_b8 v[5:6], v7, off offset:2304
.LBB15_125:
	s_or_b32 exec_lo, exec_lo, s36
	v_add_nc_u32_e32 v84, 0xa00, v1
	;; [unrolled: 25-line block ×3, first 2 shown]
	s_delay_alu instid0(VALU_DEP_1) | instskip(NEXT) | instid1(VALU_DEP_1)
	v_cmp_gt_u32_e64 s36, s47, v85
	s_and_saveexec_b32 s38, s36
	s_cbranch_execz .LBB15_129
; %bb.128:
	ds_load_u8 v7, v1 offset:4864
	s_waitcnt lgkmcnt(0)
	v_and_b32_e32 v5, 0xff, v7
	v_xor_b32_e32 v7, -1, v7
	s_delay_alu instid0(VALU_DEP_2) | instskip(NEXT) | instid1(VALU_DEP_1)
	v_lshrrev_b32_e32 v5, s60, v5
	v_and_b32_e32 v5, s68, v5
	s_delay_alu instid0(VALU_DEP_1) | instskip(SKIP_3) | instid1(VALU_DEP_1)
	v_lshlrev_b32_e32 v5, 3, v5
	ds_load_b64 v[5:6], v5
	s_waitcnt lgkmcnt(0)
	v_add_co_u32 v5, s37, s50, v5
	v_add_co_ci_u32_e64 v6, s37, s51, v6, s37
	s_delay_alu instid0(VALU_DEP_2) | instskip(NEXT) | instid1(VALU_DEP_1)
	v_add_co_u32 v5, s37, v5, v1
	v_add_co_ci_u32_e64 v6, s37, 0, v6, s37
	global_store_b8 v[5:6], v7, off offset:2816
.LBB15_129:
	s_or_b32 exec_lo, exec_lo, s38
	v_or_b32_e32 v86, 0xc00, v1
	s_delay_alu instid0(VALU_DEP_1) | instskip(NEXT) | instid1(VALU_DEP_1)
	v_cmp_gt_u32_e64 s37, s47, v86
	s_and_saveexec_b32 s39, s37
	s_cbranch_execz .LBB15_131
; %bb.130:
	ds_load_u8 v7, v1 offset:5120
	s_waitcnt lgkmcnt(0)
	v_and_b32_e32 v5, 0xff, v7
	v_xor_b32_e32 v7, -1, v7
	s_delay_alu instid0(VALU_DEP_2) | instskip(NEXT) | instid1(VALU_DEP_1)
	v_lshrrev_b32_e32 v5, s60, v5
	v_and_b32_e32 v5, s68, v5
	s_delay_alu instid0(VALU_DEP_1) | instskip(SKIP_3) | instid1(VALU_DEP_1)
	v_lshlrev_b32_e32 v5, 3, v5
	ds_load_b64 v[5:6], v5
	s_waitcnt lgkmcnt(0)
	v_add_co_u32 v5, s38, s50, v5
	v_add_co_ci_u32_e64 v6, s38, s51, v6, s38
	s_delay_alu instid0(VALU_DEP_2) | instskip(NEXT) | instid1(VALU_DEP_1)
	v_add_co_u32 v5, s38, v5, v1
	v_add_co_ci_u32_e64 v6, s38, 0, v6, s38
	global_store_b8 v[5:6], v7, off offset:3072
.LBB15_131:
	s_or_b32 exec_lo, exec_lo, s39
	v_add_nc_u32_e32 v87, 0xd00, v1
	s_delay_alu instid0(VALU_DEP_1) | instskip(NEXT) | instid1(VALU_DEP_1)
	v_cmp_gt_u32_e64 s38, s47, v87
	s_and_saveexec_b32 s40, s38
	s_cbranch_execz .LBB15_133
; %bb.132:
	ds_load_u8 v7, v1 offset:5376
	s_waitcnt lgkmcnt(0)
	v_and_b32_e32 v5, 0xff, v7
	v_xor_b32_e32 v7, -1, v7
	s_delay_alu instid0(VALU_DEP_2) | instskip(NEXT) | instid1(VALU_DEP_1)
	v_lshrrev_b32_e32 v5, s60, v5
	v_and_b32_e32 v5, s68, v5
	s_delay_alu instid0(VALU_DEP_1) | instskip(SKIP_3) | instid1(VALU_DEP_1)
	v_lshlrev_b32_e32 v5, 3, v5
	ds_load_b64 v[5:6], v5
	s_waitcnt lgkmcnt(0)
	v_add_co_u32 v5, s39, s50, v5
	v_add_co_ci_u32_e64 v6, s39, s51, v6, s39
	s_delay_alu instid0(VALU_DEP_2) | instskip(NEXT) | instid1(VALU_DEP_1)
	v_add_co_u32 v5, s39, v5, v1
	v_add_co_ci_u32_e64 v6, s39, 0, v6, s39
	global_store_b8 v[5:6], v7, off offset:3328
.LBB15_133:
	s_or_b32 exec_lo, exec_lo, s40
	v_add_nc_u32_e32 v88, 0xe00, v1
	;; [unrolled: 25-line block ×3, first 2 shown]
	s_delay_alu instid0(VALU_DEP_1) | instskip(NEXT) | instid1(VALU_DEP_1)
	v_cmp_gt_u32_e64 s40, s47, v89
	s_and_saveexec_b32 s42, s40
	s_cbranch_execz .LBB15_137
; %bb.136:
	ds_load_u8 v7, v1 offset:5888
	s_waitcnt lgkmcnt(0)
	v_and_b32_e32 v5, 0xff, v7
	v_xor_b32_e32 v7, -1, v7
	s_delay_alu instid0(VALU_DEP_2) | instskip(NEXT) | instid1(VALU_DEP_1)
	v_lshrrev_b32_e32 v5, s60, v5
	v_and_b32_e32 v5, s68, v5
	s_delay_alu instid0(VALU_DEP_1) | instskip(SKIP_3) | instid1(VALU_DEP_1)
	v_lshlrev_b32_e32 v5, 3, v5
	ds_load_b64 v[5:6], v5
	s_waitcnt lgkmcnt(0)
	v_add_co_u32 v5, s41, s50, v5
	v_add_co_ci_u32_e64 v6, s41, s51, v6, s41
	s_delay_alu instid0(VALU_DEP_2) | instskip(NEXT) | instid1(VALU_DEP_1)
	v_add_co_u32 v5, s41, v5, v1
	v_add_co_ci_u32_e64 v6, s41, 0, v6, s41
	global_store_b8 v[5:6], v7, off offset:3840
.LBB15_137:
	s_or_b32 exec_lo, exec_lo, s42
	v_or_b32_e32 v90, 0x1000, v1
	s_delay_alu instid0(VALU_DEP_1) | instskip(NEXT) | instid1(VALU_DEP_1)
	v_cmp_gt_u32_e64 s41, s47, v90
	s_and_saveexec_b32 s43, s41
	s_cbranch_execz .LBB15_139
; %bb.138:
	ds_load_u8 v7, v1 offset:6144
	s_waitcnt lgkmcnt(0)
	v_and_b32_e32 v5, 0xff, v7
	v_xor_b32_e32 v7, -1, v7
	s_delay_alu instid0(VALU_DEP_2) | instskip(NEXT) | instid1(VALU_DEP_1)
	v_lshrrev_b32_e32 v5, s60, v5
	v_and_b32_e32 v5, s68, v5
	s_delay_alu instid0(VALU_DEP_1) | instskip(SKIP_3) | instid1(VALU_DEP_1)
	v_lshlrev_b32_e32 v5, 3, v5
	ds_load_b64 v[5:6], v5
	s_waitcnt lgkmcnt(0)
	v_add_co_u32 v5, s42, s50, v5
	v_add_co_ci_u32_e64 v6, s42, s51, v6, s42
	s_delay_alu instid0(VALU_DEP_2) | instskip(NEXT) | instid1(VALU_DEP_1)
	v_add_co_u32 v5, s42, v5, v90
	v_add_co_ci_u32_e64 v6, s42, 0, v6, s42
	global_store_b8 v[5:6], v7, off
.LBB15_139:
	s_or_b32 exec_lo, exec_lo, s43
	v_add_nc_u32_e32 v91, 0x1100, v1
	s_delay_alu instid0(VALU_DEP_1) | instskip(NEXT) | instid1(VALU_DEP_1)
	v_cmp_gt_u32_e64 s42, s47, v91
	s_and_saveexec_b32 s44, s42
	s_cbranch_execz .LBB15_141
; %bb.140:
	ds_load_u8 v7, v1 offset:6400
	s_waitcnt lgkmcnt(0)
	v_and_b32_e32 v5, 0xff, v7
	v_xor_b32_e32 v7, -1, v7
	s_delay_alu instid0(VALU_DEP_2) | instskip(NEXT) | instid1(VALU_DEP_1)
	v_lshrrev_b32_e32 v5, s60, v5
	v_and_b32_e32 v5, s68, v5
	s_delay_alu instid0(VALU_DEP_1) | instskip(SKIP_3) | instid1(VALU_DEP_1)
	v_lshlrev_b32_e32 v5, 3, v5
	ds_load_b64 v[5:6], v5
	s_waitcnt lgkmcnt(0)
	v_add_co_u32 v5, s43, s50, v5
	v_add_co_ci_u32_e64 v6, s43, s51, v6, s43
	s_delay_alu instid0(VALU_DEP_2) | instskip(NEXT) | instid1(VALU_DEP_1)
	v_add_co_u32 v5, s43, v5, v91
	v_add_co_ci_u32_e64 v6, s43, 0, v6, s43
	global_store_b8 v[5:6], v7, off
.LBB15_141:
	s_or_b32 exec_lo, exec_lo, s44
	v_add_nc_u32_e32 v92, 0x1200, v1
	;; [unrolled: 25-line block ×3, first 2 shown]
	s_delay_alu instid0(VALU_DEP_1) | instskip(NEXT) | instid1(VALU_DEP_1)
	v_cmp_gt_u32_e64 s44, s47, v93
	s_and_saveexec_b32 s46, s44
	s_cbranch_execz .LBB15_145
; %bb.144:
	ds_load_u8 v7, v1 offset:6912
	s_waitcnt lgkmcnt(0)
	v_and_b32_e32 v5, 0xff, v7
	v_xor_b32_e32 v7, -1, v7
	s_delay_alu instid0(VALU_DEP_2) | instskip(NEXT) | instid1(VALU_DEP_1)
	v_lshrrev_b32_e32 v5, s60, v5
	v_and_b32_e32 v5, s68, v5
	s_delay_alu instid0(VALU_DEP_1) | instskip(SKIP_3) | instid1(VALU_DEP_1)
	v_lshlrev_b32_e32 v5, 3, v5
	ds_load_b64 v[5:6], v5
	s_waitcnt lgkmcnt(0)
	v_add_co_u32 v5, s45, s50, v5
	v_add_co_ci_u32_e64 v6, s45, s51, v6, s45
	s_delay_alu instid0(VALU_DEP_2) | instskip(NEXT) | instid1(VALU_DEP_1)
	v_add_co_u32 v5, s45, v5, v93
	v_add_co_ci_u32_e64 v6, s45, 0, v6, s45
	global_store_b8 v[5:6], v7, off
.LBB15_145:
	s_or_b32 exec_lo, exec_lo, s46
	v_or_b32_e32 v94, 0x1400, v1
	s_delay_alu instid0(VALU_DEP_1) | instskip(NEXT) | instid1(VALU_DEP_1)
	v_cmp_gt_u32_e64 s45, s47, v94
	s_and_saveexec_b32 s69, s45
	s_cbranch_execz .LBB15_147
; %bb.146:
	ds_load_u8 v7, v1 offset:7168
	s_waitcnt lgkmcnt(0)
	v_and_b32_e32 v5, 0xff, v7
	v_xor_b32_e32 v7, -1, v7
	s_delay_alu instid0(VALU_DEP_2) | instskip(NEXT) | instid1(VALU_DEP_1)
	v_lshrrev_b32_e32 v5, s60, v5
	v_and_b32_e32 v5, s68, v5
	s_delay_alu instid0(VALU_DEP_1) | instskip(SKIP_3) | instid1(VALU_DEP_1)
	v_lshlrev_b32_e32 v5, 3, v5
	ds_load_b64 v[5:6], v5
	s_waitcnt lgkmcnt(0)
	v_add_co_u32 v5, s46, s50, v5
	v_add_co_ci_u32_e64 v6, s46, s51, v6, s46
	s_delay_alu instid0(VALU_DEP_2) | instskip(NEXT) | instid1(VALU_DEP_1)
	v_add_co_u32 v5, s46, v5, v94
	v_add_co_ci_u32_e64 v6, s46, 0, v6, s46
	global_store_b8 v[5:6], v7, off
.LBB15_147:
	s_or_b32 exec_lo, exec_lo, s69
	v_add_nc_u32_e32 v95, 0x1500, v1
	s_delay_alu instid0(VALU_DEP_1) | instskip(NEXT) | instid1(VALU_DEP_1)
	v_cmp_gt_u32_e64 s46, s47, v95
	s_and_saveexec_b32 s69, s46
	s_cbranch_execz .LBB15_149
; %bb.148:
	ds_load_u8 v7, v1 offset:7424
	s_waitcnt lgkmcnt(0)
	v_and_b32_e32 v5, 0xff, v7
	v_xor_b32_e32 v7, -1, v7
	s_delay_alu instid0(VALU_DEP_2) | instskip(NEXT) | instid1(VALU_DEP_1)
	v_lshrrev_b32_e32 v5, s60, v5
	v_and_b32_e32 v5, s68, v5
	s_delay_alu instid0(VALU_DEP_1) | instskip(SKIP_3) | instid1(VALU_DEP_1)
	v_lshlrev_b32_e32 v5, 3, v5
	ds_load_b64 v[5:6], v5
	s_waitcnt lgkmcnt(0)
	v_add_co_u32 v5, s47, s50, v5
	v_add_co_ci_u32_e64 v6, s47, s51, v6, s47
	s_delay_alu instid0(VALU_DEP_2) | instskip(NEXT) | instid1(VALU_DEP_1)
	v_add_co_u32 v5, s47, v5, v95
	v_add_co_ci_u32_e64 v6, s47, 0, v6, s47
	global_store_b8 v[5:6], v7, off
.LBB15_149:
	s_or_b32 exec_lo, exec_lo, s69
	v_lshlrev_b32_e32 v5, 3, v51
	s_lshl_b64 s[70:71], s[64:65], 3
	v_lshlrev_b32_e32 v6, 3, v10
	s_add_u32 s47, s52, s70
	s_addc_u32 s65, s53, s71
	v_add_co_u32 v5, s47, s47, v5
	s_delay_alu instid0(VALU_DEP_1) | instskip(NEXT) | instid1(VALU_DEP_2)
	v_add_co_ci_u32_e64 v7, null, s65, 0, s47
	v_add_co_u32 v49, s47, v5, v6
	s_delay_alu instid0(VALU_DEP_1) | instskip(SKIP_1) | instid1(SALU_CYCLE_1)
	v_add_co_ci_u32_e64 v50, s47, 0, v7, s47
                                        ; implicit-def: $vgpr5_vgpr6
	s_and_saveexec_b32 s47, vcc_lo
	s_xor_b32 s47, exec_lo, s47
	s_cbranch_execnz .LBB15_283
; %bb.150:
	s_or_b32 exec_lo, exec_lo, s47
                                        ; implicit-def: $vgpr7_vgpr8
	s_and_saveexec_b32 s47, s2
	s_cbranch_execnz .LBB15_284
.LBB15_151:
	s_or_b32 exec_lo, exec_lo, s47
                                        ; implicit-def: $vgpr9_vgpr10
	s_and_saveexec_b32 s2, s3
	s_cbranch_execnz .LBB15_285
.LBB15_152:
	s_or_b32 exec_lo, exec_lo, s2
                                        ; implicit-def: $vgpr11_vgpr12
	s_and_saveexec_b32 s2, s4
	s_cbranch_execnz .LBB15_286
.LBB15_153:
	s_or_b32 exec_lo, exec_lo, s2
                                        ; implicit-def: $vgpr13_vgpr14
	s_and_saveexec_b32 s2, s5
	s_cbranch_execnz .LBB15_287
.LBB15_154:
	s_or_b32 exec_lo, exec_lo, s2
                                        ; implicit-def: $vgpr15_vgpr16
	s_and_saveexec_b32 s2, s6
	s_cbranch_execnz .LBB15_288
.LBB15_155:
	s_or_b32 exec_lo, exec_lo, s2
                                        ; implicit-def: $vgpr17_vgpr18
	s_and_saveexec_b32 s2, s7
	s_cbranch_execnz .LBB15_289
.LBB15_156:
	s_or_b32 exec_lo, exec_lo, s2
                                        ; implicit-def: $vgpr19_vgpr20
	s_and_saveexec_b32 s2, s8
	s_cbranch_execnz .LBB15_290
.LBB15_157:
	s_or_b32 exec_lo, exec_lo, s2
                                        ; implicit-def: $vgpr21_vgpr22
	s_and_saveexec_b32 s2, s9
	s_cbranch_execnz .LBB15_291
.LBB15_158:
	s_or_b32 exec_lo, exec_lo, s2
                                        ; implicit-def: $vgpr23_vgpr24
	s_and_saveexec_b32 s2, s10
	s_cbranch_execnz .LBB15_292
.LBB15_159:
	s_or_b32 exec_lo, exec_lo, s2
                                        ; implicit-def: $vgpr25_vgpr26
	s_and_saveexec_b32 s2, s11
	s_cbranch_execnz .LBB15_293
.LBB15_160:
	s_or_b32 exec_lo, exec_lo, s2
                                        ; implicit-def: $vgpr27_vgpr28
	s_and_saveexec_b32 s2, s12
	s_cbranch_execnz .LBB15_294
.LBB15_161:
	s_or_b32 exec_lo, exec_lo, s2
                                        ; implicit-def: $vgpr29_vgpr30
	s_and_saveexec_b32 s2, s13
	s_cbranch_execnz .LBB15_295
.LBB15_162:
	s_or_b32 exec_lo, exec_lo, s2
                                        ; implicit-def: $vgpr31_vgpr32
	s_and_saveexec_b32 s2, s14
	s_cbranch_execnz .LBB15_296
.LBB15_163:
	s_or_b32 exec_lo, exec_lo, s2
                                        ; implicit-def: $vgpr33_vgpr34
	s_and_saveexec_b32 s2, s16
	s_cbranch_execnz .LBB15_297
.LBB15_164:
	s_or_b32 exec_lo, exec_lo, s2
                                        ; implicit-def: $vgpr35_vgpr36
	s_and_saveexec_b32 s2, s18
	s_cbranch_execnz .LBB15_298
.LBB15_165:
	s_or_b32 exec_lo, exec_lo, s2
                                        ; implicit-def: $vgpr37_vgpr38
	s_and_saveexec_b32 s2, s23
	s_cbranch_execnz .LBB15_299
.LBB15_166:
	s_or_b32 exec_lo, exec_lo, s2
                                        ; implicit-def: $vgpr39_vgpr40
	s_and_saveexec_b32 s2, s21
	s_cbranch_execnz .LBB15_300
.LBB15_167:
	s_or_b32 exec_lo, exec_lo, s2
                                        ; implicit-def: $vgpr41_vgpr42
	s_and_saveexec_b32 s2, s22
	s_cbranch_execnz .LBB15_301
.LBB15_168:
	s_or_b32 exec_lo, exec_lo, s2
                                        ; implicit-def: $vgpr43_vgpr44
	s_and_saveexec_b32 s2, s19
	s_cbranch_execnz .LBB15_302
.LBB15_169:
	s_or_b32 exec_lo, exec_lo, s2
                                        ; implicit-def: $vgpr45_vgpr46
	s_and_saveexec_b32 s2, s20
	s_cbranch_execnz .LBB15_303
.LBB15_170:
	s_or_b32 exec_lo, exec_lo, s2
                                        ; implicit-def: $vgpr47_vgpr48
	s_and_saveexec_b32 s2, s17
	s_cbranch_execnz .LBB15_304
.LBB15_171:
	s_or_b32 exec_lo, exec_lo, s2
                                        ; implicit-def: $vgpr115
	s_and_saveexec_b32 s2, s24
	s_cbranch_execnz .LBB15_305
.LBB15_172:
	s_or_b32 exec_lo, exec_lo, s2
                                        ; implicit-def: $vgpr114
	s_and_saveexec_b32 s2, s25
	s_cbranch_execnz .LBB15_306
.LBB15_173:
	s_or_b32 exec_lo, exec_lo, s2
                                        ; implicit-def: $vgpr113
	s_and_saveexec_b32 s2, s26
	s_cbranch_execnz .LBB15_307
.LBB15_174:
	s_or_b32 exec_lo, exec_lo, s2
                                        ; implicit-def: $vgpr112
	s_and_saveexec_b32 s2, s27
	s_cbranch_execnz .LBB15_308
.LBB15_175:
	s_or_b32 exec_lo, exec_lo, s2
                                        ; implicit-def: $vgpr111
	s_and_saveexec_b32 s2, s28
	s_cbranch_execnz .LBB15_309
.LBB15_176:
	s_or_b32 exec_lo, exec_lo, s2
                                        ; implicit-def: $vgpr110
	s_and_saveexec_b32 s2, s29
	s_cbranch_execnz .LBB15_310
.LBB15_177:
	s_or_b32 exec_lo, exec_lo, s2
                                        ; implicit-def: $vgpr109
	s_and_saveexec_b32 s2, s30
	s_cbranch_execnz .LBB15_311
.LBB15_178:
	s_or_b32 exec_lo, exec_lo, s2
                                        ; implicit-def: $vgpr108
	s_and_saveexec_b32 s2, s31
	s_cbranch_execnz .LBB15_312
.LBB15_179:
	s_or_b32 exec_lo, exec_lo, s2
                                        ; implicit-def: $vgpr107
	s_and_saveexec_b32 s2, s33
	s_cbranch_execnz .LBB15_313
.LBB15_180:
	s_or_b32 exec_lo, exec_lo, s2
                                        ; implicit-def: $vgpr106
	s_and_saveexec_b32 s2, s34
	s_cbranch_execnz .LBB15_314
.LBB15_181:
	s_or_b32 exec_lo, exec_lo, s2
                                        ; implicit-def: $vgpr105
	s_and_saveexec_b32 s2, s35
	s_cbranch_execnz .LBB15_315
.LBB15_182:
	s_or_b32 exec_lo, exec_lo, s2
                                        ; implicit-def: $vgpr104
	s_and_saveexec_b32 s2, s36
	s_cbranch_execnz .LBB15_316
.LBB15_183:
	s_or_b32 exec_lo, exec_lo, s2
                                        ; implicit-def: $vgpr103
	s_and_saveexec_b32 s2, s37
	s_cbranch_execnz .LBB15_317
.LBB15_184:
	s_or_b32 exec_lo, exec_lo, s2
                                        ; implicit-def: $vgpr102
	s_and_saveexec_b32 s2, s38
	s_cbranch_execnz .LBB15_318
.LBB15_185:
	s_or_b32 exec_lo, exec_lo, s2
                                        ; implicit-def: $vgpr101
	s_and_saveexec_b32 s2, s39
	s_cbranch_execnz .LBB15_319
.LBB15_186:
	s_or_b32 exec_lo, exec_lo, s2
                                        ; implicit-def: $vgpr100
	s_and_saveexec_b32 s2, s40
	s_cbranch_execnz .LBB15_320
.LBB15_187:
	s_or_b32 exec_lo, exec_lo, s2
                                        ; implicit-def: $vgpr99
	s_and_saveexec_b32 s2, s41
	s_cbranch_execnz .LBB15_321
.LBB15_188:
	s_or_b32 exec_lo, exec_lo, s2
                                        ; implicit-def: $vgpr98
	s_and_saveexec_b32 s2, s42
	s_cbranch_execnz .LBB15_322
.LBB15_189:
	s_or_b32 exec_lo, exec_lo, s2
                                        ; implicit-def: $vgpr97
	s_and_saveexec_b32 s2, s43
	s_cbranch_execnz .LBB15_323
.LBB15_190:
	s_or_b32 exec_lo, exec_lo, s2
                                        ; implicit-def: $vgpr96
	s_and_saveexec_b32 s2, s44
	s_cbranch_execnz .LBB15_324
.LBB15_191:
	s_or_b32 exec_lo, exec_lo, s2
                                        ; implicit-def: $vgpr50
	s_and_saveexec_b32 s2, s45
	s_cbranch_execnz .LBB15_325
.LBB15_192:
	s_or_b32 exec_lo, exec_lo, s2
                                        ; implicit-def: $vgpr49
	s_and_saveexec_b32 s2, s46
	s_cbranch_execz .LBB15_194
.LBB15_193:
	ds_load_u8 v49, v1 offset:7424
	s_waitcnt lgkmcnt(0)
	v_lshrrev_b32_e32 v49, s60, v49
	s_delay_alu instid0(VALU_DEP_1)
	v_and_b32_e32 v49, s68, v49
.LBB15_194:
	s_or_b32 exec_lo, exec_lo, s2
	v_lshlrev_b32_e32 v77, 3, v77
	v_lshlrev_b32_e32 v76, 3, v76
	s_waitcnt vmcnt(0)
	s_waitcnt_vscnt null, 0x0
	s_barrier
	buffer_gl0_inv
	ds_store_b64 v77, v[5:6] offset:2048
	ds_store_b64 v76, v[7:8] offset:2048
	v_lshlrev_b32_e32 v5, 3, v75
	v_lshlrev_b32_e32 v6, 3, v74
	v_lshlrev_b32_e32 v7, 3, v73
	v_lshlrev_b32_e32 v8, 3, v72
	v_lshlrev_b32_e32 v71, 3, v71
	ds_store_b64 v5, v[9:10] offset:2048
	ds_store_b64 v6, v[11:12] offset:2048
	ds_store_b64 v7, v[13:14] offset:2048
	ds_store_b64 v8, v[15:16] offset:2048
	ds_store_b64 v71, v[17:18] offset:2048
	v_lshlrev_b32_e32 v5, 3, v70
	v_lshlrev_b32_e32 v6, 3, v69
	v_lshlrev_b32_e32 v7, 3, v68
	v_lshlrev_b32_e32 v8, 3, v67
	v_lshlrev_b32_e32 v9, 3, v66
	ds_store_b64 v5, v[19:20] offset:2048
	ds_store_b64 v6, v[21:22] offset:2048
	ds_store_b64 v7, v[23:24] offset:2048
	;; [unrolled: 10-line block ×4, first 2 shown]
	ds_store_b64 v8, v[45:46] offset:2048
	ds_store_b64 v9, v[47:48] offset:2048
	s_waitcnt lgkmcnt(0)
	s_barrier
	buffer_gl0_inv
	s_and_saveexec_b32 s2, s24
	s_cbranch_execnz .LBB15_326
; %bb.195:
	s_or_b32 exec_lo, exec_lo, s2
	s_and_saveexec_b32 s2, s25
	s_cbranch_execnz .LBB15_327
.LBB15_196:
	s_or_b32 exec_lo, exec_lo, s2
	s_and_saveexec_b32 s2, s26
	s_cbranch_execnz .LBB15_328
.LBB15_197:
	s_or_b32 exec_lo, exec_lo, s2
	s_and_saveexec_b32 s2, s27
	s_cbranch_execnz .LBB15_329
.LBB15_198:
	s_or_b32 exec_lo, exec_lo, s2
	s_and_saveexec_b32 s2, s28
	s_cbranch_execnz .LBB15_330
.LBB15_199:
	s_or_b32 exec_lo, exec_lo, s2
	s_and_saveexec_b32 s2, s29
	s_cbranch_execnz .LBB15_331
.LBB15_200:
	s_or_b32 exec_lo, exec_lo, s2
	s_and_saveexec_b32 s2, s30
	s_cbranch_execnz .LBB15_332
.LBB15_201:
	s_or_b32 exec_lo, exec_lo, s2
	s_and_saveexec_b32 s2, s31
	s_cbranch_execnz .LBB15_333
.LBB15_202:
	s_or_b32 exec_lo, exec_lo, s2
	s_and_saveexec_b32 s2, s33
	s_cbranch_execnz .LBB15_334
.LBB15_203:
	s_or_b32 exec_lo, exec_lo, s2
	s_and_saveexec_b32 s2, s34
	s_cbranch_execnz .LBB15_335
.LBB15_204:
	s_or_b32 exec_lo, exec_lo, s2
	s_and_saveexec_b32 s2, s35
	s_cbranch_execnz .LBB15_336
.LBB15_205:
	s_or_b32 exec_lo, exec_lo, s2
	s_and_saveexec_b32 s2, s36
	s_cbranch_execnz .LBB15_337
.LBB15_206:
	s_or_b32 exec_lo, exec_lo, s2
	s_and_saveexec_b32 s2, s37
	s_cbranch_execnz .LBB15_338
.LBB15_207:
	s_or_b32 exec_lo, exec_lo, s2
	s_and_saveexec_b32 s2, s38
	s_cbranch_execnz .LBB15_339
.LBB15_208:
	s_or_b32 exec_lo, exec_lo, s2
	s_and_saveexec_b32 s2, s39
	s_cbranch_execnz .LBB15_340
.LBB15_209:
	s_or_b32 exec_lo, exec_lo, s2
	s_and_saveexec_b32 s2, s40
	s_cbranch_execnz .LBB15_341
.LBB15_210:
	s_or_b32 exec_lo, exec_lo, s2
	s_and_saveexec_b32 s2, s41
	s_cbranch_execnz .LBB15_342
.LBB15_211:
	s_or_b32 exec_lo, exec_lo, s2
	s_and_saveexec_b32 s2, s42
	s_cbranch_execnz .LBB15_343
.LBB15_212:
	s_or_b32 exec_lo, exec_lo, s2
	s_and_saveexec_b32 s2, s43
	s_cbranch_execnz .LBB15_344
.LBB15_213:
	s_or_b32 exec_lo, exec_lo, s2
	s_and_saveexec_b32 s2, s44
	s_cbranch_execnz .LBB15_345
.LBB15_214:
	s_or_b32 exec_lo, exec_lo, s2
	s_and_saveexec_b32 s2, s45
	s_cbranch_execnz .LBB15_346
.LBB15_215:
	s_or_b32 exec_lo, exec_lo, s2
	s_and_saveexec_b32 s2, s46
	s_cbranch_execz .LBB15_217
.LBB15_216:
	v_lshlrev_b32_e32 v5, 3, v49
	v_lshlrev_b32_e32 v7, 3, v1
	;; [unrolled: 1-line block ×3, first 2 shown]
	ds_load_b64 v[5:6], v5
	ds_load_b64 v[7:8], v7 offset:45056
	s_waitcnt lgkmcnt(1)
	v_lshlrev_b64 v[5:6], 3, v[5:6]
	s_delay_alu instid0(VALU_DEP_1) | instskip(NEXT) | instid1(VALU_DEP_2)
	v_add_co_u32 v5, vcc_lo, s54, v5
	v_add_co_ci_u32_e32 v6, vcc_lo, s55, v6, vcc_lo
	s_delay_alu instid0(VALU_DEP_2) | instskip(NEXT) | instid1(VALU_DEP_2)
	v_add_co_u32 v5, vcc_lo, v5, v9
	v_add_co_ci_u32_e32 v6, vcc_lo, 0, v6, vcc_lo
	s_waitcnt lgkmcnt(0)
	global_store_b64 v[5:6], v[7:8], off
.LBB15_217:
	s_or_b32 exec_lo, exec_lo, s2
	s_add_i32 s62, s62, -1
	s_delay_alu instid0(SALU_CYCLE_1)
	s_cmp_eq_u32 s15, s62
	s_cselect_b32 s2, -1, 0
	s_branch .LBB15_280
.LBB15_218:
	s_mov_b32 s2, 0
                                        ; implicit-def: $vgpr53
                                        ; implicit-def: $vgpr3_vgpr4
                                        ; implicit-def: $vgpr52
	s_cbranch_execz .LBB15_280
; %bb.219:
	v_dual_mov_b32 v15, 0 :: v_dual_and_b32 v12, 0xe0, v1
	s_add_u32 s2, s48, s64
	s_addc_u32 s3, s49, 0
	v_add_co_u32 v2, s2, s2, v51
	s_delay_alu instid0(VALU_DEP_2) | instskip(SKIP_3) | instid1(VALU_DEP_4)
	v_mul_u32_u24_e32 v10, 22, v12
	v_add_co_ci_u32_e64 v3, null, s3, 0, s2
	v_bfe_u32 v14, v0, 10, 10
	v_bfe_u32 v0, v0, 20, 10
	v_add_co_u32 v2, vcc_lo, v2, v10
	s_delay_alu instid0(VALU_DEP_4)
	v_add_co_ci_u32_e32 v3, vcc_lo, 0, v3, vcc_lo
	s_mov_b32 s65, 0
	global_load_u8 v11, v[2:3], off
	s_clause 0x1
	s_load_b32 s3, s[0:1], 0x5c
	s_load_b32 s2, s[0:1], 0x50
	s_add_u32 s0, s0, 0x50
	s_addc_u32 s1, s1, 0
	s_waitcnt lgkmcnt(0)
	s_lshr_b32 s3, s3, 16
	s_cmp_lt_u32 s15, s2
	v_mad_u32_u24 v0, v0, s3, v14
	s_cselect_b32 s4, 12, 18
	s_delay_alu instid0(SALU_CYCLE_1)
	s_add_u32 s0, s0, s4
	s_addc_u32 s1, s1, 0
	global_load_u16 v13, v15, s[0:1]
	s_clause 0x14
	global_load_u8 v17, v[2:3], off offset:32
	global_load_u8 v16, v[2:3], off offset:64
	;; [unrolled: 1-line block ×21, first 2 shown]
	s_lshl_b32 s0, -1, s61
	s_delay_alu instid0(SALU_CYCLE_1) | instskip(SKIP_2) | instid1(VALU_DEP_1)
	s_not_b32 s1, s0
	s_waitcnt vmcnt(22)
	v_xor_b32_e32 v11, 0xff, v11
	v_lshrrev_b32_e32 v3, s60, v11
	s_delay_alu instid0(VALU_DEP_1) | instskip(NEXT) | instid1(VALU_DEP_1)
	v_and_b32_e32 v3, s1, v3
	v_and_b32_e32 v18, 1, v3
	v_lshlrev_b32_e32 v19, 30, v3
	v_lshlrev_b32_e32 v21, 29, v3
	;; [unrolled: 1-line block ×4, first 2 shown]
	v_add_co_u32 v18, s0, v18, -1
	s_delay_alu instid0(VALU_DEP_1)
	v_cndmask_b32_e64 v23, 0, 1, s0
	v_not_b32_e32 v29, v19
	v_cmp_gt_i32_e64 s0, 0, v19
	v_not_b32_e32 v19, v21
	v_lshlrev_b32_e32 v26, 26, v3
	v_cmp_ne_u32_e32 vcc_lo, 0, v23
	v_ashrrev_i32_e32 v29, 31, v29
	v_lshlrev_b32_e32 v27, 25, v3
	v_ashrrev_i32_e32 v19, 31, v19
	v_lshlrev_b32_e32 v23, 24, v3
	v_xor_b32_e32 v18, vcc_lo, v18
	v_cmp_gt_i32_e32 vcc_lo, 0, v21
	v_not_b32_e32 v21, v22
	v_xor_b32_e32 v29, s0, v29
	v_cmp_gt_i32_e64 s0, 0, v22
	v_and_b32_e32 v18, exec_lo, v18
	v_not_b32_e32 v22, v25
	v_ashrrev_i32_e32 v21, 31, v21
	v_xor_b32_e32 v19, vcc_lo, v19
	v_cmp_gt_i32_e32 vcc_lo, 0, v25
	v_and_b32_e32 v18, v18, v29
	v_not_b32_e32 v25, v26
	v_ashrrev_i32_e32 v22, 31, v22
	v_xor_b32_e32 v21, s0, v21
	v_cmp_gt_i32_e64 s0, 0, v26
	v_and_b32_e32 v18, v18, v19
	v_not_b32_e32 v19, v27
	v_ashrrev_i32_e32 v25, 31, v25
	v_xor_b32_e32 v22, vcc_lo, v22
	v_cmp_gt_i32_e32 vcc_lo, 0, v27
	v_and_b32_e32 v18, v18, v21
	v_not_b32_e32 v21, v23
	v_ashrrev_i32_e32 v19, 31, v19
	v_xor_b32_e32 v25, s0, v25
	v_cmp_gt_i32_e64 s0, 0, v23
	v_and_b32_e32 v18, v18, v22
	v_ashrrev_i32_e32 v21, 31, v21
	v_xor_b32_e32 v19, vcc_lo, v19
	v_mul_u32_u24_e32 v22, 9, v1
	s_delay_alu instid0(VALU_DEP_4) | instskip(NEXT) | instid1(VALU_DEP_4)
	v_and_b32_e32 v18, v18, v25
	v_xor_b32_e32 v21, s0, v21
	s_delay_alu instid0(VALU_DEP_3)
	v_lshlrev_b32_e32 v14, 2, v22
	ds_store_2addr_b32 v14, v15, v15 offset0:8 offset1:9
	ds_store_2addr_b32 v14, v15, v15 offset0:10 offset1:11
	;; [unrolled: 1-line block ×4, first 2 shown]
	v_and_b32_e32 v23, v18, v19
	s_waitcnt vmcnt(0)
	v_mad_u64_u32 v[18:19], null, v0, v13, v[1:2]
	ds_store_b32 v14, v15 offset:64
	v_mul_u32_u24_e32 v15, 9, v3
	v_and_b32_e32 v0, v23, v21
	s_waitcnt lgkmcnt(0)
	s_waitcnt_vscnt null, 0x0
	s_barrier
	buffer_gl0_inv
	v_lshrrev_b32_e32 v3, 5, v18
	v_mbcnt_lo_u32_b32 v13, v0, 0
	v_cmp_ne_u32_e64 s0, 0, v0
	; wave barrier
	s_delay_alu instid0(VALU_DEP_3) | instskip(NEXT) | instid1(VALU_DEP_3)
	v_add_lshl_u32 v15, v3, v15, 2
	v_cmp_eq_u32_e32 vcc_lo, 0, v13
	s_delay_alu instid0(VALU_DEP_3) | instskip(NEXT) | instid1(SALU_CYCLE_1)
	s_and_b32 s3, s0, vcc_lo
	s_and_saveexec_b32 s0, s3
	s_cbranch_execz .LBB15_221
; %bb.220:
	v_bcnt_u32_b32 v0, v0, 0
	ds_store_b32 v15, v0 offset:32
.LBB15_221:
	s_or_b32 exec_lo, exec_lo, s0
	v_xor_b32_e32 v0, -1, v17
	; wave barrier
	s_delay_alu instid0(VALU_DEP_1) | instskip(NEXT) | instid1(VALU_DEP_1)
	v_and_b32_e32 v17, 0xff, v0
	v_lshrrev_b32_e32 v17, s60, v17
	s_delay_alu instid0(VALU_DEP_1) | instskip(NEXT) | instid1(VALU_DEP_1)
	v_and_b32_e32 v17, s1, v17
	v_and_b32_e32 v18, 1, v17
	v_lshlrev_b32_e32 v19, 30, v17
	v_lshlrev_b32_e32 v21, 29, v17
	;; [unrolled: 1-line block ×4, first 2 shown]
	v_add_co_u32 v18, s0, v18, -1
	s_delay_alu instid0(VALU_DEP_1)
	v_cndmask_b32_e64 v23, 0, 1, s0
	v_not_b32_e32 v29, v19
	v_cmp_gt_i32_e64 s0, 0, v19
	v_not_b32_e32 v19, v21
	v_lshlrev_b32_e32 v26, 26, v17
	v_cmp_ne_u32_e32 vcc_lo, 0, v23
	v_ashrrev_i32_e32 v29, 31, v29
	v_lshlrev_b32_e32 v27, 25, v17
	v_ashrrev_i32_e32 v19, 31, v19
	v_lshlrev_b32_e32 v23, 24, v17
	v_xor_b32_e32 v18, vcc_lo, v18
	v_cmp_gt_i32_e32 vcc_lo, 0, v21
	v_not_b32_e32 v21, v22
	v_xor_b32_e32 v29, s0, v29
	v_cmp_gt_i32_e64 s0, 0, v22
	v_and_b32_e32 v18, exec_lo, v18
	v_not_b32_e32 v22, v25
	v_ashrrev_i32_e32 v21, 31, v21
	v_xor_b32_e32 v19, vcc_lo, v19
	v_cmp_gt_i32_e32 vcc_lo, 0, v25
	v_and_b32_e32 v18, v18, v29
	v_not_b32_e32 v25, v26
	v_ashrrev_i32_e32 v22, 31, v22
	v_xor_b32_e32 v21, s0, v21
	v_cmp_gt_i32_e64 s0, 0, v26
	v_and_b32_e32 v18, v18, v19
	v_not_b32_e32 v19, v27
	v_ashrrev_i32_e32 v25, 31, v25
	v_xor_b32_e32 v22, vcc_lo, v22
	v_cmp_gt_i32_e32 vcc_lo, 0, v27
	v_and_b32_e32 v18, v18, v21
	v_not_b32_e32 v21, v23
	v_ashrrev_i32_e32 v19, 31, v19
	v_xor_b32_e32 v25, s0, v25
	v_mul_u32_u24_e32 v17, 9, v17
	v_and_b32_e32 v18, v18, v22
	v_cmp_gt_i32_e64 s0, 0, v23
	v_ashrrev_i32_e32 v21, 31, v21
	v_xor_b32_e32 v22, vcc_lo, v19
	v_add_lshl_u32 v19, v3, v17, 2
	v_and_b32_e32 v18, v18, v25
	s_delay_alu instid0(VALU_DEP_4) | instskip(SKIP_2) | instid1(VALU_DEP_1)
	v_xor_b32_e32 v21, s0, v21
	ds_load_b32 v17, v19 offset:32
	v_and_b32_e32 v18, v18, v22
	; wave barrier
	v_and_b32_e32 v21, v18, v21
	s_delay_alu instid0(VALU_DEP_1) | instskip(SKIP_1) | instid1(VALU_DEP_2)
	v_mbcnt_lo_u32_b32 v18, v21, 0
	v_cmp_ne_u32_e64 s0, 0, v21
	v_cmp_eq_u32_e32 vcc_lo, 0, v18
	s_delay_alu instid0(VALU_DEP_2) | instskip(NEXT) | instid1(SALU_CYCLE_1)
	s_and_b32 s3, s0, vcc_lo
	s_and_saveexec_b32 s0, s3
	s_cbranch_execz .LBB15_223
; %bb.222:
	s_waitcnt lgkmcnt(0)
	v_bcnt_u32_b32 v21, v21, v17
	ds_store_b32 v19, v21 offset:32
.LBB15_223:
	s_or_b32 exec_lo, exec_lo, s0
	v_xor_b32_e32 v16, -1, v16
	; wave barrier
	s_delay_alu instid0(VALU_DEP_1) | instskip(NEXT) | instid1(VALU_DEP_1)
	v_and_b32_e32 v21, 0xff, v16
	v_lshrrev_b32_e32 v21, s60, v21
	s_delay_alu instid0(VALU_DEP_1) | instskip(NEXT) | instid1(VALU_DEP_1)
	v_and_b32_e32 v21, s1, v21
	v_and_b32_e32 v22, 1, v21
	v_lshlrev_b32_e32 v23, 30, v21
	v_lshlrev_b32_e32 v25, 29, v21
	;; [unrolled: 1-line block ×4, first 2 shown]
	v_add_co_u32 v22, s0, v22, -1
	s_delay_alu instid0(VALU_DEP_1)
	v_cndmask_b32_e64 v27, 0, 1, s0
	v_not_b32_e32 v33, v23
	v_cmp_gt_i32_e64 s0, 0, v23
	v_not_b32_e32 v23, v25
	v_lshlrev_b32_e32 v30, 26, v21
	v_cmp_ne_u32_e32 vcc_lo, 0, v27
	v_ashrrev_i32_e32 v33, 31, v33
	v_lshlrev_b32_e32 v31, 25, v21
	v_ashrrev_i32_e32 v23, 31, v23
	v_lshlrev_b32_e32 v27, 24, v21
	v_xor_b32_e32 v22, vcc_lo, v22
	v_cmp_gt_i32_e32 vcc_lo, 0, v25
	v_not_b32_e32 v25, v26
	v_xor_b32_e32 v33, s0, v33
	v_cmp_gt_i32_e64 s0, 0, v26
	v_and_b32_e32 v22, exec_lo, v22
	v_not_b32_e32 v26, v29
	v_ashrrev_i32_e32 v25, 31, v25
	v_xor_b32_e32 v23, vcc_lo, v23
	v_cmp_gt_i32_e32 vcc_lo, 0, v29
	v_and_b32_e32 v22, v22, v33
	v_not_b32_e32 v29, v30
	v_ashrrev_i32_e32 v26, 31, v26
	v_xor_b32_e32 v25, s0, v25
	v_cmp_gt_i32_e64 s0, 0, v30
	v_and_b32_e32 v22, v22, v23
	v_not_b32_e32 v23, v31
	v_ashrrev_i32_e32 v29, 31, v29
	v_xor_b32_e32 v26, vcc_lo, v26
	v_cmp_gt_i32_e32 vcc_lo, 0, v31
	v_and_b32_e32 v22, v22, v25
	v_not_b32_e32 v25, v27
	v_ashrrev_i32_e32 v23, 31, v23
	v_xor_b32_e32 v29, s0, v29
	v_mul_u32_u24_e32 v21, 9, v21
	v_and_b32_e32 v22, v22, v26
	v_cmp_gt_i32_e64 s0, 0, v27
	v_ashrrev_i32_e32 v25, 31, v25
	v_xor_b32_e32 v26, vcc_lo, v23
	v_add_lshl_u32 v23, v3, v21, 2
	v_and_b32_e32 v22, v22, v29
	s_delay_alu instid0(VALU_DEP_4) | instskip(SKIP_2) | instid1(VALU_DEP_1)
	v_xor_b32_e32 v25, s0, v25
	ds_load_b32 v21, v23 offset:32
	v_and_b32_e32 v22, v22, v26
	; wave barrier
	v_and_b32_e32 v25, v22, v25
	s_delay_alu instid0(VALU_DEP_1) | instskip(SKIP_1) | instid1(VALU_DEP_2)
	v_mbcnt_lo_u32_b32 v22, v25, 0
	v_cmp_ne_u32_e64 s0, 0, v25
	v_cmp_eq_u32_e32 vcc_lo, 0, v22
	s_delay_alu instid0(VALU_DEP_2) | instskip(NEXT) | instid1(SALU_CYCLE_1)
	s_and_b32 s3, s0, vcc_lo
	s_and_saveexec_b32 s0, s3
	s_cbranch_execz .LBB15_225
; %bb.224:
	s_waitcnt lgkmcnt(0)
	v_bcnt_u32_b32 v25, v25, v21
	ds_store_b32 v23, v25 offset:32
.LBB15_225:
	s_or_b32 exec_lo, exec_lo, s0
	v_xor_b32_e32 v20, -1, v20
	; wave barrier
	s_delay_alu instid0(VALU_DEP_1) | instskip(NEXT) | instid1(VALU_DEP_1)
	v_and_b32_e32 v25, 0xff, v20
	v_lshrrev_b32_e32 v25, s60, v25
	s_delay_alu instid0(VALU_DEP_1) | instskip(NEXT) | instid1(VALU_DEP_1)
	v_and_b32_e32 v25, s1, v25
	v_and_b32_e32 v26, 1, v25
	v_lshlrev_b32_e32 v27, 30, v25
	v_lshlrev_b32_e32 v29, 29, v25
	;; [unrolled: 1-line block ×4, first 2 shown]
	v_add_co_u32 v26, s0, v26, -1
	s_delay_alu instid0(VALU_DEP_1)
	v_cndmask_b32_e64 v31, 0, 1, s0
	v_not_b32_e32 v37, v27
	v_cmp_gt_i32_e64 s0, 0, v27
	v_not_b32_e32 v27, v29
	v_lshlrev_b32_e32 v34, 26, v25
	v_cmp_ne_u32_e32 vcc_lo, 0, v31
	v_ashrrev_i32_e32 v37, 31, v37
	v_lshlrev_b32_e32 v35, 25, v25
	v_ashrrev_i32_e32 v27, 31, v27
	v_lshlrev_b32_e32 v31, 24, v25
	v_xor_b32_e32 v26, vcc_lo, v26
	v_cmp_gt_i32_e32 vcc_lo, 0, v29
	v_not_b32_e32 v29, v30
	v_xor_b32_e32 v37, s0, v37
	v_cmp_gt_i32_e64 s0, 0, v30
	v_and_b32_e32 v26, exec_lo, v26
	v_not_b32_e32 v30, v33
	v_ashrrev_i32_e32 v29, 31, v29
	v_xor_b32_e32 v27, vcc_lo, v27
	v_cmp_gt_i32_e32 vcc_lo, 0, v33
	v_and_b32_e32 v26, v26, v37
	v_not_b32_e32 v33, v34
	v_ashrrev_i32_e32 v30, 31, v30
	v_xor_b32_e32 v29, s0, v29
	v_cmp_gt_i32_e64 s0, 0, v34
	v_and_b32_e32 v26, v26, v27
	v_not_b32_e32 v27, v35
	v_ashrrev_i32_e32 v33, 31, v33
	v_xor_b32_e32 v30, vcc_lo, v30
	v_cmp_gt_i32_e32 vcc_lo, 0, v35
	v_and_b32_e32 v26, v26, v29
	v_not_b32_e32 v29, v31
	v_ashrrev_i32_e32 v27, 31, v27
	v_xor_b32_e32 v33, s0, v33
	v_mul_u32_u24_e32 v25, 9, v25
	v_and_b32_e32 v26, v26, v30
	v_cmp_gt_i32_e64 s0, 0, v31
	v_ashrrev_i32_e32 v29, 31, v29
	v_xor_b32_e32 v30, vcc_lo, v27
	v_add_lshl_u32 v27, v3, v25, 2
	v_and_b32_e32 v26, v26, v33
	s_delay_alu instid0(VALU_DEP_4) | instskip(SKIP_2) | instid1(VALU_DEP_1)
	v_xor_b32_e32 v29, s0, v29
	ds_load_b32 v25, v27 offset:32
	v_and_b32_e32 v26, v26, v30
	; wave barrier
	v_and_b32_e32 v29, v26, v29
	s_delay_alu instid0(VALU_DEP_1) | instskip(SKIP_1) | instid1(VALU_DEP_2)
	v_mbcnt_lo_u32_b32 v26, v29, 0
	v_cmp_ne_u32_e64 s0, 0, v29
	v_cmp_eq_u32_e32 vcc_lo, 0, v26
	s_delay_alu instid0(VALU_DEP_2) | instskip(NEXT) | instid1(SALU_CYCLE_1)
	s_and_b32 s3, s0, vcc_lo
	s_and_saveexec_b32 s0, s3
	s_cbranch_execz .LBB15_227
; %bb.226:
	s_waitcnt lgkmcnt(0)
	v_bcnt_u32_b32 v29, v29, v25
	ds_store_b32 v27, v29 offset:32
.LBB15_227:
	s_or_b32 exec_lo, exec_lo, s0
	v_xor_b32_e32 v24, -1, v24
	; wave barrier
	s_delay_alu instid0(VALU_DEP_1) | instskip(NEXT) | instid1(VALU_DEP_1)
	v_and_b32_e32 v29, 0xff, v24
	v_lshrrev_b32_e32 v29, s60, v29
	s_delay_alu instid0(VALU_DEP_1) | instskip(NEXT) | instid1(VALU_DEP_1)
	v_and_b32_e32 v29, s1, v29
	v_and_b32_e32 v30, 1, v29
	v_lshlrev_b32_e32 v31, 30, v29
	v_lshlrev_b32_e32 v33, 29, v29
	;; [unrolled: 1-line block ×4, first 2 shown]
	v_add_co_u32 v30, s0, v30, -1
	s_delay_alu instid0(VALU_DEP_1)
	v_cndmask_b32_e64 v35, 0, 1, s0
	v_not_b32_e32 v41, v31
	v_cmp_gt_i32_e64 s0, 0, v31
	v_not_b32_e32 v31, v33
	v_lshlrev_b32_e32 v38, 26, v29
	v_cmp_ne_u32_e32 vcc_lo, 0, v35
	v_ashrrev_i32_e32 v41, 31, v41
	v_lshlrev_b32_e32 v39, 25, v29
	v_ashrrev_i32_e32 v31, 31, v31
	v_lshlrev_b32_e32 v35, 24, v29
	v_xor_b32_e32 v30, vcc_lo, v30
	v_cmp_gt_i32_e32 vcc_lo, 0, v33
	v_not_b32_e32 v33, v34
	v_xor_b32_e32 v41, s0, v41
	v_cmp_gt_i32_e64 s0, 0, v34
	v_and_b32_e32 v30, exec_lo, v30
	v_not_b32_e32 v34, v37
	v_ashrrev_i32_e32 v33, 31, v33
	v_xor_b32_e32 v31, vcc_lo, v31
	v_cmp_gt_i32_e32 vcc_lo, 0, v37
	v_and_b32_e32 v30, v30, v41
	v_not_b32_e32 v37, v38
	v_ashrrev_i32_e32 v34, 31, v34
	v_xor_b32_e32 v33, s0, v33
	v_cmp_gt_i32_e64 s0, 0, v38
	v_and_b32_e32 v30, v30, v31
	v_not_b32_e32 v31, v39
	v_ashrrev_i32_e32 v37, 31, v37
	v_xor_b32_e32 v34, vcc_lo, v34
	v_cmp_gt_i32_e32 vcc_lo, 0, v39
	v_and_b32_e32 v30, v30, v33
	v_not_b32_e32 v33, v35
	v_ashrrev_i32_e32 v31, 31, v31
	v_xor_b32_e32 v37, s0, v37
	v_mul_u32_u24_e32 v29, 9, v29
	v_and_b32_e32 v30, v30, v34
	v_cmp_gt_i32_e64 s0, 0, v35
	v_ashrrev_i32_e32 v33, 31, v33
	v_xor_b32_e32 v34, vcc_lo, v31
	v_add_lshl_u32 v31, v3, v29, 2
	v_and_b32_e32 v30, v30, v37
	s_delay_alu instid0(VALU_DEP_4) | instskip(SKIP_2) | instid1(VALU_DEP_1)
	v_xor_b32_e32 v33, s0, v33
	ds_load_b32 v29, v31 offset:32
	v_and_b32_e32 v30, v30, v34
	; wave barrier
	v_and_b32_e32 v33, v30, v33
	s_delay_alu instid0(VALU_DEP_1) | instskip(SKIP_1) | instid1(VALU_DEP_2)
	v_mbcnt_lo_u32_b32 v30, v33, 0
	v_cmp_ne_u32_e64 s0, 0, v33
	v_cmp_eq_u32_e32 vcc_lo, 0, v30
	s_delay_alu instid0(VALU_DEP_2) | instskip(NEXT) | instid1(SALU_CYCLE_1)
	s_and_b32 s3, s0, vcc_lo
	s_and_saveexec_b32 s0, s3
	s_cbranch_execz .LBB15_229
; %bb.228:
	s_waitcnt lgkmcnt(0)
	v_bcnt_u32_b32 v33, v33, v29
	ds_store_b32 v31, v33 offset:32
.LBB15_229:
	s_or_b32 exec_lo, exec_lo, s0
	v_xor_b32_e32 v28, -1, v28
	; wave barrier
	s_delay_alu instid0(VALU_DEP_1) | instskip(NEXT) | instid1(VALU_DEP_1)
	v_and_b32_e32 v33, 0xff, v28
	v_lshrrev_b32_e32 v33, s60, v33
	s_delay_alu instid0(VALU_DEP_1) | instskip(NEXT) | instid1(VALU_DEP_1)
	v_and_b32_e32 v33, s1, v33
	v_and_b32_e32 v34, 1, v33
	v_lshlrev_b32_e32 v35, 30, v33
	v_lshlrev_b32_e32 v37, 29, v33
	;; [unrolled: 1-line block ×4, first 2 shown]
	v_add_co_u32 v34, s0, v34, -1
	s_delay_alu instid0(VALU_DEP_1)
	v_cndmask_b32_e64 v39, 0, 1, s0
	v_not_b32_e32 v45, v35
	v_cmp_gt_i32_e64 s0, 0, v35
	v_not_b32_e32 v35, v37
	v_lshlrev_b32_e32 v42, 26, v33
	v_cmp_ne_u32_e32 vcc_lo, 0, v39
	v_ashrrev_i32_e32 v45, 31, v45
	v_lshlrev_b32_e32 v43, 25, v33
	v_ashrrev_i32_e32 v35, 31, v35
	v_lshlrev_b32_e32 v39, 24, v33
	v_xor_b32_e32 v34, vcc_lo, v34
	v_cmp_gt_i32_e32 vcc_lo, 0, v37
	v_not_b32_e32 v37, v38
	v_xor_b32_e32 v45, s0, v45
	v_cmp_gt_i32_e64 s0, 0, v38
	v_and_b32_e32 v34, exec_lo, v34
	v_not_b32_e32 v38, v41
	v_ashrrev_i32_e32 v37, 31, v37
	v_xor_b32_e32 v35, vcc_lo, v35
	v_cmp_gt_i32_e32 vcc_lo, 0, v41
	v_and_b32_e32 v34, v34, v45
	v_not_b32_e32 v41, v42
	v_ashrrev_i32_e32 v38, 31, v38
	v_xor_b32_e32 v37, s0, v37
	v_cmp_gt_i32_e64 s0, 0, v42
	v_and_b32_e32 v34, v34, v35
	v_not_b32_e32 v35, v43
	v_ashrrev_i32_e32 v41, 31, v41
	v_xor_b32_e32 v38, vcc_lo, v38
	v_cmp_gt_i32_e32 vcc_lo, 0, v43
	v_and_b32_e32 v34, v34, v37
	v_not_b32_e32 v37, v39
	v_ashrrev_i32_e32 v35, 31, v35
	v_xor_b32_e32 v41, s0, v41
	v_mul_u32_u24_e32 v33, 9, v33
	v_and_b32_e32 v34, v34, v38
	v_cmp_gt_i32_e64 s0, 0, v39
	v_ashrrev_i32_e32 v37, 31, v37
	v_xor_b32_e32 v38, vcc_lo, v35
	v_add_lshl_u32 v35, v3, v33, 2
	v_and_b32_e32 v34, v34, v41
	s_delay_alu instid0(VALU_DEP_4) | instskip(SKIP_2) | instid1(VALU_DEP_1)
	v_xor_b32_e32 v37, s0, v37
	ds_load_b32 v33, v35 offset:32
	v_and_b32_e32 v34, v34, v38
	; wave barrier
	v_and_b32_e32 v37, v34, v37
	s_delay_alu instid0(VALU_DEP_1) | instskip(SKIP_1) | instid1(VALU_DEP_2)
	v_mbcnt_lo_u32_b32 v34, v37, 0
	v_cmp_ne_u32_e64 s0, 0, v37
	v_cmp_eq_u32_e32 vcc_lo, 0, v34
	s_delay_alu instid0(VALU_DEP_2) | instskip(NEXT) | instid1(SALU_CYCLE_1)
	s_and_b32 s3, s0, vcc_lo
	s_and_saveexec_b32 s0, s3
	s_cbranch_execz .LBB15_231
; %bb.230:
	s_waitcnt lgkmcnt(0)
	v_bcnt_u32_b32 v37, v37, v33
	ds_store_b32 v35, v37 offset:32
.LBB15_231:
	s_or_b32 exec_lo, exec_lo, s0
	v_xor_b32_e32 v32, -1, v32
	; wave barrier
	s_delay_alu instid0(VALU_DEP_1) | instskip(NEXT) | instid1(VALU_DEP_1)
	v_and_b32_e32 v37, 0xff, v32
	v_lshrrev_b32_e32 v37, s60, v37
	s_delay_alu instid0(VALU_DEP_1) | instskip(NEXT) | instid1(VALU_DEP_1)
	v_and_b32_e32 v37, s1, v37
	v_and_b32_e32 v38, 1, v37
	v_lshlrev_b32_e32 v39, 30, v37
	v_lshlrev_b32_e32 v41, 29, v37
	;; [unrolled: 1-line block ×4, first 2 shown]
	v_add_co_u32 v38, s0, v38, -1
	s_delay_alu instid0(VALU_DEP_1)
	v_cndmask_b32_e64 v43, 0, 1, s0
	v_not_b32_e32 v50, v39
	v_cmp_gt_i32_e64 s0, 0, v39
	v_not_b32_e32 v39, v41
	v_lshlrev_b32_e32 v46, 26, v37
	v_cmp_ne_u32_e32 vcc_lo, 0, v43
	v_ashrrev_i32_e32 v50, 31, v50
	v_lshlrev_b32_e32 v47, 25, v37
	v_ashrrev_i32_e32 v39, 31, v39
	v_lshlrev_b32_e32 v43, 24, v37
	v_xor_b32_e32 v38, vcc_lo, v38
	v_cmp_gt_i32_e32 vcc_lo, 0, v41
	v_not_b32_e32 v41, v42
	v_xor_b32_e32 v50, s0, v50
	v_cmp_gt_i32_e64 s0, 0, v42
	v_and_b32_e32 v38, exec_lo, v38
	v_not_b32_e32 v42, v45
	v_ashrrev_i32_e32 v41, 31, v41
	v_xor_b32_e32 v39, vcc_lo, v39
	v_cmp_gt_i32_e32 vcc_lo, 0, v45
	v_and_b32_e32 v38, v38, v50
	v_not_b32_e32 v45, v46
	v_ashrrev_i32_e32 v42, 31, v42
	v_xor_b32_e32 v41, s0, v41
	v_cmp_gt_i32_e64 s0, 0, v46
	v_and_b32_e32 v38, v38, v39
	v_not_b32_e32 v39, v47
	v_ashrrev_i32_e32 v45, 31, v45
	v_xor_b32_e32 v42, vcc_lo, v42
	v_cmp_gt_i32_e32 vcc_lo, 0, v47
	v_and_b32_e32 v38, v38, v41
	v_not_b32_e32 v41, v43
	v_ashrrev_i32_e32 v39, 31, v39
	v_xor_b32_e32 v45, s0, v45
	v_mul_u32_u24_e32 v37, 9, v37
	v_and_b32_e32 v38, v38, v42
	v_cmp_gt_i32_e64 s0, 0, v43
	v_ashrrev_i32_e32 v41, 31, v41
	v_xor_b32_e32 v42, vcc_lo, v39
	v_add_lshl_u32 v39, v3, v37, 2
	v_and_b32_e32 v38, v38, v45
	s_delay_alu instid0(VALU_DEP_4) | instskip(SKIP_2) | instid1(VALU_DEP_1)
	v_xor_b32_e32 v41, s0, v41
	ds_load_b32 v37, v39 offset:32
	v_and_b32_e32 v38, v38, v42
	; wave barrier
	v_and_b32_e32 v41, v38, v41
	s_delay_alu instid0(VALU_DEP_1) | instskip(SKIP_1) | instid1(VALU_DEP_2)
	v_mbcnt_lo_u32_b32 v38, v41, 0
	v_cmp_ne_u32_e64 s0, 0, v41
	v_cmp_eq_u32_e32 vcc_lo, 0, v38
	s_delay_alu instid0(VALU_DEP_2) | instskip(NEXT) | instid1(SALU_CYCLE_1)
	s_and_b32 s3, s0, vcc_lo
	s_and_saveexec_b32 s0, s3
	s_cbranch_execz .LBB15_233
; %bb.232:
	s_waitcnt lgkmcnt(0)
	v_bcnt_u32_b32 v41, v41, v37
	ds_store_b32 v39, v41 offset:32
.LBB15_233:
	s_or_b32 exec_lo, exec_lo, s0
	v_xor_b32_e32 v36, -1, v36
	; wave barrier
	s_delay_alu instid0(VALU_DEP_1) | instskip(NEXT) | instid1(VALU_DEP_1)
	v_and_b32_e32 v41, 0xff, v36
	v_lshrrev_b32_e32 v41, s60, v41
	s_delay_alu instid0(VALU_DEP_1) | instskip(NEXT) | instid1(VALU_DEP_1)
	v_and_b32_e32 v41, s1, v41
	v_and_b32_e32 v42, 1, v41
	v_lshlrev_b32_e32 v43, 30, v41
	v_lshlrev_b32_e32 v45, 29, v41
	;; [unrolled: 1-line block ×4, first 2 shown]
	v_add_co_u32 v42, s0, v42, -1
	s_delay_alu instid0(VALU_DEP_1)
	v_cndmask_b32_e64 v47, 0, 1, s0
	v_not_b32_e32 v56, v43
	v_cmp_gt_i32_e64 s0, 0, v43
	v_not_b32_e32 v43, v45
	v_lshlrev_b32_e32 v52, 26, v41
	v_cmp_ne_u32_e32 vcc_lo, 0, v47
	v_ashrrev_i32_e32 v56, 31, v56
	v_lshlrev_b32_e32 v53, 25, v41
	v_ashrrev_i32_e32 v43, 31, v43
	v_lshlrev_b32_e32 v47, 24, v41
	v_xor_b32_e32 v42, vcc_lo, v42
	v_cmp_gt_i32_e32 vcc_lo, 0, v45
	v_not_b32_e32 v45, v46
	v_xor_b32_e32 v56, s0, v56
	v_cmp_gt_i32_e64 s0, 0, v46
	v_and_b32_e32 v42, exec_lo, v42
	v_not_b32_e32 v46, v50
	v_ashrrev_i32_e32 v45, 31, v45
	v_xor_b32_e32 v43, vcc_lo, v43
	v_cmp_gt_i32_e32 vcc_lo, 0, v50
	v_and_b32_e32 v42, v42, v56
	v_not_b32_e32 v50, v52
	v_ashrrev_i32_e32 v46, 31, v46
	v_xor_b32_e32 v45, s0, v45
	v_cmp_gt_i32_e64 s0, 0, v52
	v_and_b32_e32 v42, v42, v43
	v_not_b32_e32 v43, v53
	v_ashrrev_i32_e32 v50, 31, v50
	v_xor_b32_e32 v46, vcc_lo, v46
	v_cmp_gt_i32_e32 vcc_lo, 0, v53
	v_and_b32_e32 v42, v42, v45
	v_not_b32_e32 v45, v47
	v_ashrrev_i32_e32 v43, 31, v43
	v_xor_b32_e32 v50, s0, v50
	v_mul_u32_u24_e32 v41, 9, v41
	v_and_b32_e32 v42, v42, v46
	v_cmp_gt_i32_e64 s0, 0, v47
	v_ashrrev_i32_e32 v45, 31, v45
	v_xor_b32_e32 v46, vcc_lo, v43
	v_add_lshl_u32 v43, v3, v41, 2
	v_and_b32_e32 v42, v42, v50
	s_delay_alu instid0(VALU_DEP_4) | instskip(SKIP_2) | instid1(VALU_DEP_1)
	v_xor_b32_e32 v45, s0, v45
	ds_load_b32 v41, v43 offset:32
	v_and_b32_e32 v42, v42, v46
	; wave barrier
	v_and_b32_e32 v45, v42, v45
	s_delay_alu instid0(VALU_DEP_1) | instskip(SKIP_1) | instid1(VALU_DEP_2)
	v_mbcnt_lo_u32_b32 v42, v45, 0
	v_cmp_ne_u32_e64 s0, 0, v45
	v_cmp_eq_u32_e32 vcc_lo, 0, v42
	s_delay_alu instid0(VALU_DEP_2) | instskip(NEXT) | instid1(SALU_CYCLE_1)
	s_and_b32 s3, s0, vcc_lo
	s_and_saveexec_b32 s0, s3
	s_cbranch_execz .LBB15_235
; %bb.234:
	s_waitcnt lgkmcnt(0)
	v_bcnt_u32_b32 v45, v45, v41
	ds_store_b32 v43, v45 offset:32
.LBB15_235:
	s_or_b32 exec_lo, exec_lo, s0
	v_xor_b32_e32 v40, -1, v40
	; wave barrier
	s_delay_alu instid0(VALU_DEP_1) | instskip(NEXT) | instid1(VALU_DEP_1)
	v_and_b32_e32 v45, 0xff, v40
	v_lshrrev_b32_e32 v45, s60, v45
	s_delay_alu instid0(VALU_DEP_1) | instskip(NEXT) | instid1(VALU_DEP_1)
	v_and_b32_e32 v45, s1, v45
	v_and_b32_e32 v46, 1, v45
	v_lshlrev_b32_e32 v47, 30, v45
	v_lshlrev_b32_e32 v50, 29, v45
	;; [unrolled: 1-line block ×4, first 2 shown]
	v_add_co_u32 v46, s0, v46, -1
	s_delay_alu instid0(VALU_DEP_1)
	v_cndmask_b32_e64 v53, 0, 1, s0
	v_not_b32_e32 v60, v47
	v_cmp_gt_i32_e64 s0, 0, v47
	v_not_b32_e32 v47, v50
	v_lshlrev_b32_e32 v57, 26, v45
	v_cmp_ne_u32_e32 vcc_lo, 0, v53
	v_ashrrev_i32_e32 v60, 31, v60
	v_lshlrev_b32_e32 v58, 25, v45
	v_ashrrev_i32_e32 v47, 31, v47
	v_lshlrev_b32_e32 v53, 24, v45
	v_xor_b32_e32 v46, vcc_lo, v46
	v_cmp_gt_i32_e32 vcc_lo, 0, v50
	v_not_b32_e32 v50, v52
	v_xor_b32_e32 v60, s0, v60
	v_cmp_gt_i32_e64 s0, 0, v52
	v_and_b32_e32 v46, exec_lo, v46
	v_not_b32_e32 v52, v56
	v_ashrrev_i32_e32 v50, 31, v50
	v_xor_b32_e32 v47, vcc_lo, v47
	v_cmp_gt_i32_e32 vcc_lo, 0, v56
	v_and_b32_e32 v46, v46, v60
	v_not_b32_e32 v56, v57
	v_ashrrev_i32_e32 v52, 31, v52
	v_xor_b32_e32 v50, s0, v50
	v_cmp_gt_i32_e64 s0, 0, v57
	v_and_b32_e32 v46, v46, v47
	v_not_b32_e32 v47, v58
	v_ashrrev_i32_e32 v56, 31, v56
	v_xor_b32_e32 v52, vcc_lo, v52
	v_cmp_gt_i32_e32 vcc_lo, 0, v58
	v_and_b32_e32 v46, v46, v50
	v_not_b32_e32 v50, v53
	v_ashrrev_i32_e32 v47, 31, v47
	v_xor_b32_e32 v56, s0, v56
	v_mul_u32_u24_e32 v45, 9, v45
	v_and_b32_e32 v46, v46, v52
	v_cmp_gt_i32_e64 s0, 0, v53
	v_ashrrev_i32_e32 v50, 31, v50
	v_xor_b32_e32 v52, vcc_lo, v47
	v_add_lshl_u32 v47, v3, v45, 2
	v_and_b32_e32 v46, v46, v56
	s_delay_alu instid0(VALU_DEP_4) | instskip(SKIP_2) | instid1(VALU_DEP_1)
	v_xor_b32_e32 v50, s0, v50
	ds_load_b32 v45, v47 offset:32
	v_and_b32_e32 v46, v46, v52
	; wave barrier
	v_and_b32_e32 v50, v46, v50
	s_delay_alu instid0(VALU_DEP_1) | instskip(SKIP_1) | instid1(VALU_DEP_2)
	v_mbcnt_lo_u32_b32 v46, v50, 0
	v_cmp_ne_u32_e64 s0, 0, v50
	v_cmp_eq_u32_e32 vcc_lo, 0, v46
	s_delay_alu instid0(VALU_DEP_2) | instskip(NEXT) | instid1(SALU_CYCLE_1)
	s_and_b32 s3, s0, vcc_lo
	s_and_saveexec_b32 s0, s3
	s_cbranch_execz .LBB15_237
; %bb.236:
	s_waitcnt lgkmcnt(0)
	v_bcnt_u32_b32 v50, v50, v45
	ds_store_b32 v47, v50 offset:32
.LBB15_237:
	s_or_b32 exec_lo, exec_lo, s0
	v_xor_b32_e32 v44, -1, v44
	; wave barrier
	s_delay_alu instid0(VALU_DEP_1) | instskip(NEXT) | instid1(VALU_DEP_1)
	v_and_b32_e32 v50, 0xff, v44
	v_lshrrev_b32_e32 v50, s60, v50
	s_delay_alu instid0(VALU_DEP_1) | instskip(NEXT) | instid1(VALU_DEP_1)
	v_and_b32_e32 v50, s1, v50
	v_and_b32_e32 v52, 1, v50
	v_lshlrev_b32_e32 v53, 30, v50
	v_lshlrev_b32_e32 v56, 29, v50
	;; [unrolled: 1-line block ×4, first 2 shown]
	v_add_co_u32 v52, s0, v52, -1
	s_delay_alu instid0(VALU_DEP_1)
	v_cndmask_b32_e64 v58, 0, 1, s0
	v_not_b32_e32 v63, v53
	v_cmp_gt_i32_e64 s0, 0, v53
	v_not_b32_e32 v53, v56
	v_lshlrev_b32_e32 v61, 26, v50
	v_cmp_ne_u32_e32 vcc_lo, 0, v58
	v_ashrrev_i32_e32 v63, 31, v63
	v_lshlrev_b32_e32 v62, 25, v50
	v_ashrrev_i32_e32 v53, 31, v53
	v_lshlrev_b32_e32 v58, 24, v50
	v_xor_b32_e32 v52, vcc_lo, v52
	v_cmp_gt_i32_e32 vcc_lo, 0, v56
	v_not_b32_e32 v56, v57
	v_xor_b32_e32 v63, s0, v63
	v_cmp_gt_i32_e64 s0, 0, v57
	v_and_b32_e32 v52, exec_lo, v52
	v_not_b32_e32 v57, v60
	v_ashrrev_i32_e32 v56, 31, v56
	v_xor_b32_e32 v53, vcc_lo, v53
	v_cmp_gt_i32_e32 vcc_lo, 0, v60
	v_and_b32_e32 v52, v52, v63
	v_not_b32_e32 v60, v61
	v_ashrrev_i32_e32 v57, 31, v57
	v_xor_b32_e32 v56, s0, v56
	v_cmp_gt_i32_e64 s0, 0, v61
	v_and_b32_e32 v52, v52, v53
	v_not_b32_e32 v53, v62
	v_ashrrev_i32_e32 v60, 31, v60
	v_xor_b32_e32 v57, vcc_lo, v57
	v_cmp_gt_i32_e32 vcc_lo, 0, v62
	v_and_b32_e32 v52, v52, v56
	v_not_b32_e32 v56, v58
	v_ashrrev_i32_e32 v53, 31, v53
	v_xor_b32_e32 v60, s0, v60
	v_mul_u32_u24_e32 v50, 9, v50
	v_and_b32_e32 v52, v52, v57
	v_cmp_gt_i32_e64 s0, 0, v58
	v_ashrrev_i32_e32 v56, 31, v56
	v_xor_b32_e32 v57, vcc_lo, v53
	v_add_lshl_u32 v53, v3, v50, 2
	v_and_b32_e32 v52, v52, v60
	s_delay_alu instid0(VALU_DEP_4) | instskip(SKIP_2) | instid1(VALU_DEP_1)
	v_xor_b32_e32 v56, s0, v56
	ds_load_b32 v50, v53 offset:32
	v_and_b32_e32 v52, v52, v57
	; wave barrier
	v_and_b32_e32 v56, v52, v56
	s_delay_alu instid0(VALU_DEP_1) | instskip(SKIP_1) | instid1(VALU_DEP_2)
	v_mbcnt_lo_u32_b32 v52, v56, 0
	v_cmp_ne_u32_e64 s0, 0, v56
	v_cmp_eq_u32_e32 vcc_lo, 0, v52
	s_delay_alu instid0(VALU_DEP_2) | instskip(NEXT) | instid1(SALU_CYCLE_1)
	s_and_b32 s3, s0, vcc_lo
	s_and_saveexec_b32 s0, s3
	s_cbranch_execz .LBB15_239
; %bb.238:
	s_waitcnt lgkmcnt(0)
	v_bcnt_u32_b32 v56, v56, v50
	ds_store_b32 v53, v56 offset:32
.LBB15_239:
	s_or_b32 exec_lo, exec_lo, s0
	v_xor_b32_e32 v49, -1, v49
	; wave barrier
	s_delay_alu instid0(VALU_DEP_1) | instskip(NEXT) | instid1(VALU_DEP_1)
	v_and_b32_e32 v56, 0xff, v49
	v_lshrrev_b32_e32 v56, s60, v56
	s_delay_alu instid0(VALU_DEP_1) | instskip(NEXT) | instid1(VALU_DEP_1)
	v_and_b32_e32 v56, s1, v56
	v_and_b32_e32 v57, 1, v56
	v_lshlrev_b32_e32 v58, 30, v56
	v_lshlrev_b32_e32 v60, 29, v56
	;; [unrolled: 1-line block ×4, first 2 shown]
	v_add_co_u32 v57, s0, v57, -1
	s_delay_alu instid0(VALU_DEP_1)
	v_cndmask_b32_e64 v62, 0, 1, s0
	v_not_b32_e32 v66, v58
	v_cmp_gt_i32_e64 s0, 0, v58
	v_not_b32_e32 v58, v60
	v_lshlrev_b32_e32 v64, 26, v56
	v_cmp_ne_u32_e32 vcc_lo, 0, v62
	v_ashrrev_i32_e32 v66, 31, v66
	v_lshlrev_b32_e32 v65, 25, v56
	v_ashrrev_i32_e32 v58, 31, v58
	v_lshlrev_b32_e32 v62, 24, v56
	v_xor_b32_e32 v57, vcc_lo, v57
	v_cmp_gt_i32_e32 vcc_lo, 0, v60
	v_not_b32_e32 v60, v61
	v_xor_b32_e32 v66, s0, v66
	v_cmp_gt_i32_e64 s0, 0, v61
	v_and_b32_e32 v57, exec_lo, v57
	v_not_b32_e32 v61, v63
	v_ashrrev_i32_e32 v60, 31, v60
	v_xor_b32_e32 v58, vcc_lo, v58
	v_cmp_gt_i32_e32 vcc_lo, 0, v63
	v_and_b32_e32 v57, v57, v66
	v_not_b32_e32 v63, v64
	v_ashrrev_i32_e32 v61, 31, v61
	v_xor_b32_e32 v60, s0, v60
	v_cmp_gt_i32_e64 s0, 0, v64
	v_and_b32_e32 v57, v57, v58
	v_not_b32_e32 v58, v65
	v_ashrrev_i32_e32 v63, 31, v63
	v_xor_b32_e32 v61, vcc_lo, v61
	v_cmp_gt_i32_e32 vcc_lo, 0, v65
	v_and_b32_e32 v57, v57, v60
	v_not_b32_e32 v60, v62
	v_ashrrev_i32_e32 v58, 31, v58
	v_xor_b32_e32 v63, s0, v63
	v_mul_u32_u24_e32 v56, 9, v56
	v_and_b32_e32 v57, v57, v61
	v_cmp_gt_i32_e64 s0, 0, v62
	v_ashrrev_i32_e32 v60, 31, v60
	v_xor_b32_e32 v61, vcc_lo, v58
	v_add_lshl_u32 v58, v3, v56, 2
	v_and_b32_e32 v57, v57, v63
	s_delay_alu instid0(VALU_DEP_4) | instskip(SKIP_2) | instid1(VALU_DEP_1)
	v_xor_b32_e32 v60, s0, v60
	ds_load_b32 v56, v58 offset:32
	v_and_b32_e32 v57, v57, v61
	; wave barrier
	v_and_b32_e32 v60, v57, v60
	s_delay_alu instid0(VALU_DEP_1) | instskip(SKIP_1) | instid1(VALU_DEP_2)
	v_mbcnt_lo_u32_b32 v57, v60, 0
	v_cmp_ne_u32_e64 s0, 0, v60
	v_cmp_eq_u32_e32 vcc_lo, 0, v57
	s_delay_alu instid0(VALU_DEP_2) | instskip(NEXT) | instid1(SALU_CYCLE_1)
	s_and_b32 s3, s0, vcc_lo
	s_and_saveexec_b32 s0, s3
	s_cbranch_execz .LBB15_241
; %bb.240:
	s_waitcnt lgkmcnt(0)
	v_bcnt_u32_b32 v60, v60, v56
	ds_store_b32 v58, v60 offset:32
.LBB15_241:
	s_or_b32 exec_lo, exec_lo, s0
	v_xor_b32_e32 v55, -1, v55
	; wave barrier
	s_delay_alu instid0(VALU_DEP_1) | instskip(NEXT) | instid1(VALU_DEP_1)
	v_and_b32_e32 v60, 0xff, v55
	v_lshrrev_b32_e32 v60, s60, v60
	s_delay_alu instid0(VALU_DEP_1) | instskip(NEXT) | instid1(VALU_DEP_1)
	v_and_b32_e32 v60, s1, v60
	v_and_b32_e32 v61, 1, v60
	v_lshlrev_b32_e32 v62, 30, v60
	v_lshlrev_b32_e32 v63, 29, v60
	;; [unrolled: 1-line block ×4, first 2 shown]
	v_add_co_u32 v61, s0, v61, -1
	s_delay_alu instid0(VALU_DEP_1)
	v_cndmask_b32_e64 v65, 0, 1, s0
	v_not_b32_e32 v69, v62
	v_cmp_gt_i32_e64 s0, 0, v62
	v_not_b32_e32 v62, v63
	v_lshlrev_b32_e32 v67, 26, v60
	v_cmp_ne_u32_e32 vcc_lo, 0, v65
	v_ashrrev_i32_e32 v69, 31, v69
	v_lshlrev_b32_e32 v68, 25, v60
	v_ashrrev_i32_e32 v62, 31, v62
	v_lshlrev_b32_e32 v65, 24, v60
	v_xor_b32_e32 v61, vcc_lo, v61
	v_cmp_gt_i32_e32 vcc_lo, 0, v63
	v_not_b32_e32 v63, v64
	v_xor_b32_e32 v69, s0, v69
	v_cmp_gt_i32_e64 s0, 0, v64
	v_and_b32_e32 v61, exec_lo, v61
	v_not_b32_e32 v64, v66
	v_ashrrev_i32_e32 v63, 31, v63
	v_xor_b32_e32 v62, vcc_lo, v62
	v_cmp_gt_i32_e32 vcc_lo, 0, v66
	v_and_b32_e32 v61, v61, v69
	v_not_b32_e32 v66, v67
	v_ashrrev_i32_e32 v64, 31, v64
	v_xor_b32_e32 v63, s0, v63
	v_cmp_gt_i32_e64 s0, 0, v67
	v_and_b32_e32 v61, v61, v62
	v_not_b32_e32 v62, v68
	v_ashrrev_i32_e32 v66, 31, v66
	v_xor_b32_e32 v64, vcc_lo, v64
	v_cmp_gt_i32_e32 vcc_lo, 0, v68
	v_and_b32_e32 v61, v61, v63
	v_not_b32_e32 v63, v65
	v_ashrrev_i32_e32 v62, 31, v62
	v_xor_b32_e32 v66, s0, v66
	v_mul_u32_u24_e32 v60, 9, v60
	v_and_b32_e32 v61, v61, v64
	v_cmp_gt_i32_e64 s0, 0, v65
	v_ashrrev_i32_e32 v63, 31, v63
	v_xor_b32_e32 v64, vcc_lo, v62
	v_add_lshl_u32 v62, v3, v60, 2
	v_and_b32_e32 v61, v61, v66
	s_delay_alu instid0(VALU_DEP_4) | instskip(SKIP_2) | instid1(VALU_DEP_1)
	v_xor_b32_e32 v63, s0, v63
	ds_load_b32 v60, v62 offset:32
	v_and_b32_e32 v61, v61, v64
	; wave barrier
	v_and_b32_e32 v63, v61, v63
	s_delay_alu instid0(VALU_DEP_1) | instskip(SKIP_1) | instid1(VALU_DEP_2)
	v_mbcnt_lo_u32_b32 v61, v63, 0
	v_cmp_ne_u32_e64 s0, 0, v63
	v_cmp_eq_u32_e32 vcc_lo, 0, v61
	s_delay_alu instid0(VALU_DEP_2) | instskip(NEXT) | instid1(SALU_CYCLE_1)
	s_and_b32 s3, s0, vcc_lo
	s_and_saveexec_b32 s0, s3
	s_cbranch_execz .LBB15_243
; %bb.242:
	s_waitcnt lgkmcnt(0)
	v_bcnt_u32_b32 v63, v63, v60
	ds_store_b32 v62, v63 offset:32
.LBB15_243:
	s_or_b32 exec_lo, exec_lo, s0
	v_xor_b32_e32 v59, -1, v59
	; wave barrier
	s_delay_alu instid0(VALU_DEP_1) | instskip(NEXT) | instid1(VALU_DEP_1)
	v_and_b32_e32 v63, 0xff, v59
	v_lshrrev_b32_e32 v63, s60, v63
	s_delay_alu instid0(VALU_DEP_1) | instskip(NEXT) | instid1(VALU_DEP_1)
	v_and_b32_e32 v63, s1, v63
	v_and_b32_e32 v64, 1, v63
	v_lshlrev_b32_e32 v65, 30, v63
	v_lshlrev_b32_e32 v66, 29, v63
	;; [unrolled: 1-line block ×4, first 2 shown]
	v_add_co_u32 v64, s0, v64, -1
	s_delay_alu instid0(VALU_DEP_1)
	v_cndmask_b32_e64 v68, 0, 1, s0
	v_not_b32_e32 v72, v65
	v_cmp_gt_i32_e64 s0, 0, v65
	v_not_b32_e32 v65, v66
	v_lshlrev_b32_e32 v70, 26, v63
	v_cmp_ne_u32_e32 vcc_lo, 0, v68
	v_ashrrev_i32_e32 v72, 31, v72
	v_lshlrev_b32_e32 v71, 25, v63
	v_ashrrev_i32_e32 v65, 31, v65
	v_lshlrev_b32_e32 v68, 24, v63
	v_xor_b32_e32 v64, vcc_lo, v64
	v_cmp_gt_i32_e32 vcc_lo, 0, v66
	v_not_b32_e32 v66, v67
	v_xor_b32_e32 v72, s0, v72
	v_cmp_gt_i32_e64 s0, 0, v67
	v_and_b32_e32 v64, exec_lo, v64
	v_not_b32_e32 v67, v69
	v_ashrrev_i32_e32 v66, 31, v66
	v_xor_b32_e32 v65, vcc_lo, v65
	v_cmp_gt_i32_e32 vcc_lo, 0, v69
	v_and_b32_e32 v64, v64, v72
	v_not_b32_e32 v69, v70
	v_ashrrev_i32_e32 v67, 31, v67
	v_xor_b32_e32 v66, s0, v66
	v_cmp_gt_i32_e64 s0, 0, v70
	v_and_b32_e32 v64, v64, v65
	v_not_b32_e32 v65, v71
	v_ashrrev_i32_e32 v69, 31, v69
	v_xor_b32_e32 v67, vcc_lo, v67
	v_cmp_gt_i32_e32 vcc_lo, 0, v71
	v_and_b32_e32 v64, v64, v66
	v_not_b32_e32 v66, v68
	v_ashrrev_i32_e32 v65, 31, v65
	v_xor_b32_e32 v69, s0, v69
	v_mul_u32_u24_e32 v63, 9, v63
	v_and_b32_e32 v64, v64, v67
	v_cmp_gt_i32_e64 s0, 0, v68
	v_ashrrev_i32_e32 v66, 31, v66
	v_xor_b32_e32 v67, vcc_lo, v65
	v_add_lshl_u32 v65, v3, v63, 2
	v_and_b32_e32 v64, v64, v69
	s_delay_alu instid0(VALU_DEP_4) | instskip(SKIP_2) | instid1(VALU_DEP_1)
	v_xor_b32_e32 v66, s0, v66
	ds_load_b32 v63, v65 offset:32
	v_and_b32_e32 v64, v64, v67
	; wave barrier
	v_and_b32_e32 v66, v64, v66
	s_delay_alu instid0(VALU_DEP_1) | instskip(SKIP_1) | instid1(VALU_DEP_2)
	v_mbcnt_lo_u32_b32 v64, v66, 0
	v_cmp_ne_u32_e64 s0, 0, v66
	v_cmp_eq_u32_e32 vcc_lo, 0, v64
	s_delay_alu instid0(VALU_DEP_2) | instskip(NEXT) | instid1(SALU_CYCLE_1)
	s_and_b32 s3, s0, vcc_lo
	s_and_saveexec_b32 s0, s3
	s_cbranch_execz .LBB15_245
; %bb.244:
	s_waitcnt lgkmcnt(0)
	v_bcnt_u32_b32 v66, v66, v63
	ds_store_b32 v65, v66 offset:32
.LBB15_245:
	s_or_b32 exec_lo, exec_lo, s0
	v_xor_b32_e32 v54, -1, v54
	; wave barrier
	s_delay_alu instid0(VALU_DEP_1) | instskip(NEXT) | instid1(VALU_DEP_1)
	v_and_b32_e32 v66, 0xff, v54
	v_lshrrev_b32_e32 v66, s60, v66
	s_delay_alu instid0(VALU_DEP_1) | instskip(NEXT) | instid1(VALU_DEP_1)
	v_and_b32_e32 v66, s1, v66
	v_and_b32_e32 v67, 1, v66
	v_lshlrev_b32_e32 v68, 30, v66
	v_lshlrev_b32_e32 v69, 29, v66
	;; [unrolled: 1-line block ×4, first 2 shown]
	v_add_co_u32 v67, s0, v67, -1
	s_delay_alu instid0(VALU_DEP_1)
	v_cndmask_b32_e64 v71, 0, 1, s0
	v_not_b32_e32 v75, v68
	v_cmp_gt_i32_e64 s0, 0, v68
	v_not_b32_e32 v68, v69
	v_lshlrev_b32_e32 v73, 26, v66
	v_cmp_ne_u32_e32 vcc_lo, 0, v71
	v_ashrrev_i32_e32 v75, 31, v75
	v_lshlrev_b32_e32 v74, 25, v66
	v_ashrrev_i32_e32 v68, 31, v68
	v_lshlrev_b32_e32 v71, 24, v66
	v_xor_b32_e32 v67, vcc_lo, v67
	v_cmp_gt_i32_e32 vcc_lo, 0, v69
	v_not_b32_e32 v69, v70
	v_xor_b32_e32 v75, s0, v75
	v_cmp_gt_i32_e64 s0, 0, v70
	v_and_b32_e32 v67, exec_lo, v67
	v_not_b32_e32 v70, v72
	v_ashrrev_i32_e32 v69, 31, v69
	v_xor_b32_e32 v68, vcc_lo, v68
	v_cmp_gt_i32_e32 vcc_lo, 0, v72
	v_and_b32_e32 v67, v67, v75
	v_not_b32_e32 v72, v73
	v_ashrrev_i32_e32 v70, 31, v70
	v_xor_b32_e32 v69, s0, v69
	v_cmp_gt_i32_e64 s0, 0, v73
	v_and_b32_e32 v67, v67, v68
	v_not_b32_e32 v68, v74
	v_ashrrev_i32_e32 v72, 31, v72
	v_xor_b32_e32 v70, vcc_lo, v70
	v_cmp_gt_i32_e32 vcc_lo, 0, v74
	v_and_b32_e32 v67, v67, v69
	v_not_b32_e32 v69, v71
	v_ashrrev_i32_e32 v68, 31, v68
	v_xor_b32_e32 v72, s0, v72
	v_mul_u32_u24_e32 v66, 9, v66
	v_and_b32_e32 v67, v67, v70
	v_cmp_gt_i32_e64 s0, 0, v71
	v_ashrrev_i32_e32 v69, 31, v69
	v_xor_b32_e32 v70, vcc_lo, v68
	v_add_lshl_u32 v68, v3, v66, 2
	v_and_b32_e32 v67, v67, v72
	s_delay_alu instid0(VALU_DEP_4) | instskip(SKIP_2) | instid1(VALU_DEP_1)
	v_xor_b32_e32 v69, s0, v69
	ds_load_b32 v66, v68 offset:32
	v_and_b32_e32 v67, v67, v70
	; wave barrier
	v_and_b32_e32 v69, v67, v69
	s_delay_alu instid0(VALU_DEP_1) | instskip(SKIP_1) | instid1(VALU_DEP_2)
	v_mbcnt_lo_u32_b32 v67, v69, 0
	v_cmp_ne_u32_e64 s0, 0, v69
	v_cmp_eq_u32_e32 vcc_lo, 0, v67
	s_delay_alu instid0(VALU_DEP_2) | instskip(NEXT) | instid1(SALU_CYCLE_1)
	s_and_b32 s3, s0, vcc_lo
	s_and_saveexec_b32 s0, s3
	s_cbranch_execz .LBB15_247
; %bb.246:
	s_waitcnt lgkmcnt(0)
	v_bcnt_u32_b32 v69, v69, v66
	ds_store_b32 v68, v69 offset:32
.LBB15_247:
	s_or_b32 exec_lo, exec_lo, s0
	v_xor_b32_e32 v48, -1, v48
	; wave barrier
	s_delay_alu instid0(VALU_DEP_1) | instskip(NEXT) | instid1(VALU_DEP_1)
	v_and_b32_e32 v69, 0xff, v48
	v_lshrrev_b32_e32 v69, s60, v69
	s_delay_alu instid0(VALU_DEP_1) | instskip(NEXT) | instid1(VALU_DEP_1)
	v_and_b32_e32 v69, s1, v69
	v_and_b32_e32 v70, 1, v69
	v_lshlrev_b32_e32 v71, 30, v69
	v_lshlrev_b32_e32 v72, 29, v69
	;; [unrolled: 1-line block ×4, first 2 shown]
	v_add_co_u32 v70, s0, v70, -1
	s_delay_alu instid0(VALU_DEP_1)
	v_cndmask_b32_e64 v74, 0, 1, s0
	v_not_b32_e32 v78, v71
	v_cmp_gt_i32_e64 s0, 0, v71
	v_not_b32_e32 v71, v72
	v_lshlrev_b32_e32 v76, 26, v69
	v_cmp_ne_u32_e32 vcc_lo, 0, v74
	v_ashrrev_i32_e32 v78, 31, v78
	v_lshlrev_b32_e32 v77, 25, v69
	v_ashrrev_i32_e32 v71, 31, v71
	v_lshlrev_b32_e32 v74, 24, v69
	v_xor_b32_e32 v70, vcc_lo, v70
	v_cmp_gt_i32_e32 vcc_lo, 0, v72
	v_not_b32_e32 v72, v73
	v_xor_b32_e32 v78, s0, v78
	v_cmp_gt_i32_e64 s0, 0, v73
	v_and_b32_e32 v70, exec_lo, v70
	v_not_b32_e32 v73, v75
	v_ashrrev_i32_e32 v72, 31, v72
	v_xor_b32_e32 v71, vcc_lo, v71
	v_cmp_gt_i32_e32 vcc_lo, 0, v75
	v_and_b32_e32 v70, v70, v78
	v_not_b32_e32 v75, v76
	v_ashrrev_i32_e32 v73, 31, v73
	v_xor_b32_e32 v72, s0, v72
	v_cmp_gt_i32_e64 s0, 0, v76
	v_and_b32_e32 v70, v70, v71
	v_not_b32_e32 v71, v77
	v_ashrrev_i32_e32 v75, 31, v75
	v_xor_b32_e32 v73, vcc_lo, v73
	v_cmp_gt_i32_e32 vcc_lo, 0, v77
	v_and_b32_e32 v70, v70, v72
	v_not_b32_e32 v72, v74
	v_ashrrev_i32_e32 v71, 31, v71
	v_xor_b32_e32 v75, s0, v75
	v_mul_u32_u24_e32 v69, 9, v69
	v_and_b32_e32 v70, v70, v73
	v_cmp_gt_i32_e64 s0, 0, v74
	v_ashrrev_i32_e32 v73, 31, v72
	v_xor_b32_e32 v71, vcc_lo, v71
	v_add_lshl_u32 v72, v3, v69, 2
	v_and_b32_e32 v70, v70, v75
	s_delay_alu instid0(VALU_DEP_4) | instskip(NEXT) | instid1(VALU_DEP_2)
	v_xor_b32_e32 v69, s0, v73
	v_and_b32_e32 v71, v70, v71
	ds_load_b32 v70, v72 offset:32
	; wave barrier
	v_and_b32_e32 v69, v71, v69
	s_delay_alu instid0(VALU_DEP_1) | instskip(SKIP_1) | instid1(VALU_DEP_2)
	v_mbcnt_lo_u32_b32 v71, v69, 0
	v_cmp_ne_u32_e64 s0, 0, v69
	v_cmp_eq_u32_e32 vcc_lo, 0, v71
	s_delay_alu instid0(VALU_DEP_2) | instskip(NEXT) | instid1(SALU_CYCLE_1)
	s_and_b32 s3, s0, vcc_lo
	s_and_saveexec_b32 s0, s3
	s_cbranch_execz .LBB15_249
; %bb.248:
	s_waitcnt lgkmcnt(0)
	v_bcnt_u32_b32 v69, v69, v70
	ds_store_b32 v72, v69 offset:32
.LBB15_249:
	s_or_b32 exec_lo, exec_lo, s0
	v_xor_b32_e32 v69, -1, v9
	; wave barrier
	s_delay_alu instid0(VALU_DEP_1) | instskip(NEXT) | instid1(VALU_DEP_1)
	v_and_b32_e32 v9, 0xff, v69
	v_lshrrev_b32_e32 v9, s60, v9
	s_delay_alu instid0(VALU_DEP_1) | instskip(NEXT) | instid1(VALU_DEP_1)
	v_and_b32_e32 v9, s1, v9
	v_and_b32_e32 v73, 1, v9
	v_lshlrev_b32_e32 v74, 30, v9
	v_lshlrev_b32_e32 v75, 29, v9
	;; [unrolled: 1-line block ×4, first 2 shown]
	v_add_co_u32 v73, s0, v73, -1
	s_delay_alu instid0(VALU_DEP_1)
	v_cndmask_b32_e64 v77, 0, 1, s0
	v_not_b32_e32 v81, v74
	v_cmp_gt_i32_e64 s0, 0, v74
	v_not_b32_e32 v74, v75
	v_lshlrev_b32_e32 v79, 26, v9
	v_cmp_ne_u32_e32 vcc_lo, 0, v77
	v_ashrrev_i32_e32 v81, 31, v81
	v_lshlrev_b32_e32 v80, 25, v9
	v_ashrrev_i32_e32 v74, 31, v74
	v_lshlrev_b32_e32 v77, 24, v9
	v_xor_b32_e32 v73, vcc_lo, v73
	v_cmp_gt_i32_e32 vcc_lo, 0, v75
	v_not_b32_e32 v75, v76
	v_xor_b32_e32 v81, s0, v81
	v_cmp_gt_i32_e64 s0, 0, v76
	v_and_b32_e32 v73, exec_lo, v73
	v_not_b32_e32 v76, v78
	v_ashrrev_i32_e32 v75, 31, v75
	v_xor_b32_e32 v74, vcc_lo, v74
	v_cmp_gt_i32_e32 vcc_lo, 0, v78
	v_and_b32_e32 v73, v73, v81
	v_not_b32_e32 v78, v79
	v_ashrrev_i32_e32 v76, 31, v76
	v_xor_b32_e32 v75, s0, v75
	v_cmp_gt_i32_e64 s0, 0, v79
	v_and_b32_e32 v73, v73, v74
	v_not_b32_e32 v74, v80
	v_ashrrev_i32_e32 v78, 31, v78
	v_xor_b32_e32 v76, vcc_lo, v76
	v_cmp_gt_i32_e32 vcc_lo, 0, v80
	v_and_b32_e32 v73, v73, v75
	v_not_b32_e32 v75, v77
	v_ashrrev_i32_e32 v74, 31, v74
	v_xor_b32_e32 v78, s0, v78
	v_mul_u32_u24_e32 v9, 9, v9
	v_and_b32_e32 v73, v73, v76
	v_cmp_gt_i32_e64 s0, 0, v77
	v_ashrrev_i32_e32 v75, 31, v75
	v_xor_b32_e32 v74, vcc_lo, v74
	v_add_lshl_u32 v76, v3, v9, 2
	v_and_b32_e32 v73, v73, v78
	s_delay_alu instid0(VALU_DEP_4) | instskip(NEXT) | instid1(VALU_DEP_2)
	v_xor_b32_e32 v9, s0, v75
	v_and_b32_e32 v73, v73, v74
	ds_load_b32 v74, v76 offset:32
	; wave barrier
	v_and_b32_e32 v9, v73, v9
	s_delay_alu instid0(VALU_DEP_1) | instskip(SKIP_1) | instid1(VALU_DEP_2)
	v_mbcnt_lo_u32_b32 v75, v9, 0
	v_cmp_ne_u32_e64 s0, 0, v9
	v_cmp_eq_u32_e32 vcc_lo, 0, v75
	s_delay_alu instid0(VALU_DEP_2) | instskip(NEXT) | instid1(SALU_CYCLE_1)
	s_and_b32 s3, s0, vcc_lo
	s_and_saveexec_b32 s0, s3
	s_cbranch_execz .LBB15_251
; %bb.250:
	s_waitcnt lgkmcnt(0)
	v_bcnt_u32_b32 v9, v9, v74
	ds_store_b32 v76, v9 offset:32
.LBB15_251:
	s_or_b32 exec_lo, exec_lo, s0
	v_xor_b32_e32 v73, -1, v8
	; wave barrier
	s_delay_alu instid0(VALU_DEP_1) | instskip(NEXT) | instid1(VALU_DEP_1)
	v_and_b32_e32 v8, 0xff, v73
	v_lshrrev_b32_e32 v8, s60, v8
	s_delay_alu instid0(VALU_DEP_1) | instskip(NEXT) | instid1(VALU_DEP_1)
	v_and_b32_e32 v8, s1, v8
	v_and_b32_e32 v9, 1, v8
	v_lshlrev_b32_e32 v77, 30, v8
	v_lshlrev_b32_e32 v78, 29, v8
	;; [unrolled: 1-line block ×4, first 2 shown]
	v_add_co_u32 v9, s0, v9, -1
	s_delay_alu instid0(VALU_DEP_1)
	v_cndmask_b32_e64 v80, 0, 1, s0
	v_not_b32_e32 v84, v77
	v_cmp_gt_i32_e64 s0, 0, v77
	v_not_b32_e32 v77, v78
	v_lshlrev_b32_e32 v82, 26, v8
	v_cmp_ne_u32_e32 vcc_lo, 0, v80
	v_ashrrev_i32_e32 v84, 31, v84
	v_lshlrev_b32_e32 v83, 25, v8
	v_ashrrev_i32_e32 v77, 31, v77
	v_lshlrev_b32_e32 v80, 24, v8
	v_xor_b32_e32 v9, vcc_lo, v9
	v_cmp_gt_i32_e32 vcc_lo, 0, v78
	v_not_b32_e32 v78, v79
	v_xor_b32_e32 v84, s0, v84
	v_cmp_gt_i32_e64 s0, 0, v79
	v_and_b32_e32 v9, exec_lo, v9
	v_not_b32_e32 v79, v81
	v_ashrrev_i32_e32 v78, 31, v78
	v_xor_b32_e32 v77, vcc_lo, v77
	v_cmp_gt_i32_e32 vcc_lo, 0, v81
	v_and_b32_e32 v9, v9, v84
	v_not_b32_e32 v81, v82
	v_ashrrev_i32_e32 v79, 31, v79
	v_xor_b32_e32 v78, s0, v78
	v_cmp_gt_i32_e64 s0, 0, v82
	v_and_b32_e32 v9, v9, v77
	v_not_b32_e32 v77, v83
	v_ashrrev_i32_e32 v81, 31, v81
	v_xor_b32_e32 v79, vcc_lo, v79
	v_cmp_gt_i32_e32 vcc_lo, 0, v83
	v_and_b32_e32 v9, v9, v78
	v_not_b32_e32 v78, v80
	v_ashrrev_i32_e32 v77, 31, v77
	v_xor_b32_e32 v81, s0, v81
	v_mul_u32_u24_e32 v8, 9, v8
	v_and_b32_e32 v9, v9, v79
	v_cmp_gt_i32_e64 s0, 0, v80
	v_ashrrev_i32_e32 v78, 31, v78
	v_xor_b32_e32 v77, vcc_lo, v77
	v_add_lshl_u32 v80, v3, v8, 2
	v_and_b32_e32 v9, v9, v81
	s_delay_alu instid0(VALU_DEP_4) | instskip(SKIP_2) | instid1(VALU_DEP_1)
	v_xor_b32_e32 v8, s0, v78
	ds_load_b32 v78, v80 offset:32
	v_and_b32_e32 v9, v9, v77
	; wave barrier
	v_and_b32_e32 v8, v9, v8
	s_delay_alu instid0(VALU_DEP_1) | instskip(SKIP_1) | instid1(VALU_DEP_2)
	v_mbcnt_lo_u32_b32 v79, v8, 0
	v_cmp_ne_u32_e64 s0, 0, v8
	v_cmp_eq_u32_e32 vcc_lo, 0, v79
	s_delay_alu instid0(VALU_DEP_2) | instskip(NEXT) | instid1(SALU_CYCLE_1)
	s_and_b32 s3, s0, vcc_lo
	s_and_saveexec_b32 s0, s3
	s_cbranch_execz .LBB15_253
; %bb.252:
	s_waitcnt lgkmcnt(0)
	v_bcnt_u32_b32 v8, v8, v78
	ds_store_b32 v80, v8 offset:32
.LBB15_253:
	s_or_b32 exec_lo, exec_lo, s0
	v_xor_b32_e32 v77, -1, v7
	; wave barrier
	s_delay_alu instid0(VALU_DEP_1) | instskip(NEXT) | instid1(VALU_DEP_1)
	v_and_b32_e32 v7, 0xff, v77
	v_lshrrev_b32_e32 v7, s60, v7
	s_delay_alu instid0(VALU_DEP_1) | instskip(NEXT) | instid1(VALU_DEP_1)
	v_and_b32_e32 v7, s1, v7
	v_and_b32_e32 v8, 1, v7
	v_lshlrev_b32_e32 v9, 30, v7
	v_lshlrev_b32_e32 v81, 29, v7
	;; [unrolled: 1-line block ×4, first 2 shown]
	v_add_co_u32 v8, s0, v8, -1
	s_delay_alu instid0(VALU_DEP_1)
	v_cndmask_b32_e64 v83, 0, 1, s0
	v_not_b32_e32 v87, v9
	v_cmp_gt_i32_e64 s0, 0, v9
	v_not_b32_e32 v9, v81
	v_lshlrev_b32_e32 v85, 26, v7
	v_cmp_ne_u32_e32 vcc_lo, 0, v83
	v_ashrrev_i32_e32 v87, 31, v87
	v_lshlrev_b32_e32 v86, 25, v7
	v_ashrrev_i32_e32 v9, 31, v9
	v_lshlrev_b32_e32 v83, 24, v7
	v_xor_b32_e32 v8, vcc_lo, v8
	v_cmp_gt_i32_e32 vcc_lo, 0, v81
	v_not_b32_e32 v81, v82
	v_xor_b32_e32 v87, s0, v87
	v_cmp_gt_i32_e64 s0, 0, v82
	v_and_b32_e32 v8, exec_lo, v8
	v_not_b32_e32 v82, v84
	v_ashrrev_i32_e32 v81, 31, v81
	v_xor_b32_e32 v9, vcc_lo, v9
	v_cmp_gt_i32_e32 vcc_lo, 0, v84
	v_and_b32_e32 v8, v8, v87
	v_not_b32_e32 v84, v85
	v_ashrrev_i32_e32 v82, 31, v82
	v_xor_b32_e32 v81, s0, v81
	v_cmp_gt_i32_e64 s0, 0, v85
	v_and_b32_e32 v8, v8, v9
	v_not_b32_e32 v9, v86
	v_ashrrev_i32_e32 v84, 31, v84
	v_xor_b32_e32 v82, vcc_lo, v82
	v_cmp_gt_i32_e32 vcc_lo, 0, v86
	v_and_b32_e32 v8, v8, v81
	v_not_b32_e32 v81, v83
	v_ashrrev_i32_e32 v9, 31, v9
	v_xor_b32_e32 v84, s0, v84
	v_mul_u32_u24_e32 v7, 9, v7
	v_and_b32_e32 v8, v8, v82
	v_cmp_gt_i32_e64 s0, 0, v83
	v_ashrrev_i32_e32 v81, 31, v81
	v_xor_b32_e32 v9, vcc_lo, v9
	s_delay_alu instid0(VALU_DEP_4) | instskip(SKIP_1) | instid1(VALU_DEP_4)
	v_and_b32_e32 v8, v8, v84
	v_add_lshl_u32 v84, v3, v7, 2
	v_xor_b32_e32 v7, s0, v81
	s_delay_alu instid0(VALU_DEP_3) | instskip(SKIP_2) | instid1(VALU_DEP_1)
	v_and_b32_e32 v8, v8, v9
	ds_load_b32 v82, v84 offset:32
	; wave barrier
	v_and_b32_e32 v7, v8, v7
	v_mbcnt_lo_u32_b32 v83, v7, 0
	v_cmp_ne_u32_e64 s0, 0, v7
	s_delay_alu instid0(VALU_DEP_2) | instskip(NEXT) | instid1(VALU_DEP_2)
	v_cmp_eq_u32_e32 vcc_lo, 0, v83
	s_and_b32 s3, s0, vcc_lo
	s_delay_alu instid0(SALU_CYCLE_1)
	s_and_saveexec_b32 s0, s3
	s_cbranch_execz .LBB15_255
; %bb.254:
	s_waitcnt lgkmcnt(0)
	v_bcnt_u32_b32 v7, v7, v82
	ds_store_b32 v84, v7 offset:32
.LBB15_255:
	s_or_b32 exec_lo, exec_lo, s0
	v_xor_b32_e32 v81, -1, v6
	; wave barrier
	s_delay_alu instid0(VALU_DEP_1) | instskip(NEXT) | instid1(VALU_DEP_1)
	v_and_b32_e32 v6, 0xff, v81
	v_lshrrev_b32_e32 v6, s60, v6
	s_delay_alu instid0(VALU_DEP_1) | instskip(NEXT) | instid1(VALU_DEP_1)
	v_and_b32_e32 v6, s1, v6
	v_and_b32_e32 v7, 1, v6
	v_lshlrev_b32_e32 v8, 30, v6
	v_lshlrev_b32_e32 v9, 29, v6
	;; [unrolled: 1-line block ×4, first 2 shown]
	v_add_co_u32 v7, s0, v7, -1
	s_delay_alu instid0(VALU_DEP_1)
	v_cndmask_b32_e64 v86, 0, 1, s0
	v_not_b32_e32 v90, v8
	v_cmp_gt_i32_e64 s0, 0, v8
	v_not_b32_e32 v8, v9
	v_lshlrev_b32_e32 v88, 26, v6
	v_cmp_ne_u32_e32 vcc_lo, 0, v86
	v_ashrrev_i32_e32 v90, 31, v90
	v_lshlrev_b32_e32 v89, 25, v6
	v_ashrrev_i32_e32 v8, 31, v8
	v_lshlrev_b32_e32 v86, 24, v6
	v_xor_b32_e32 v7, vcc_lo, v7
	v_cmp_gt_i32_e32 vcc_lo, 0, v9
	v_not_b32_e32 v9, v85
	v_xor_b32_e32 v90, s0, v90
	v_cmp_gt_i32_e64 s0, 0, v85
	v_and_b32_e32 v7, exec_lo, v7
	v_not_b32_e32 v85, v87
	v_ashrrev_i32_e32 v9, 31, v9
	v_xor_b32_e32 v8, vcc_lo, v8
	v_cmp_gt_i32_e32 vcc_lo, 0, v87
	v_and_b32_e32 v7, v7, v90
	v_not_b32_e32 v87, v88
	v_ashrrev_i32_e32 v85, 31, v85
	v_xor_b32_e32 v9, s0, v9
	v_cmp_gt_i32_e64 s0, 0, v88
	v_and_b32_e32 v7, v7, v8
	v_not_b32_e32 v8, v89
	v_ashrrev_i32_e32 v87, 31, v87
	v_xor_b32_e32 v85, vcc_lo, v85
	v_cmp_gt_i32_e32 vcc_lo, 0, v89
	v_and_b32_e32 v7, v7, v9
	v_not_b32_e32 v9, v86
	v_ashrrev_i32_e32 v8, 31, v8
	v_xor_b32_e32 v87, s0, v87
	v_mul_u32_u24_e32 v6, 9, v6
	v_and_b32_e32 v7, v7, v85
	v_cmp_gt_i32_e64 s0, 0, v86
	v_ashrrev_i32_e32 v9, 31, v9
	v_xor_b32_e32 v8, vcc_lo, v8
	v_add_lshl_u32 v88, v3, v6, 2
	v_and_b32_e32 v7, v7, v87
	s_delay_alu instid0(VALU_DEP_4) | instskip(SKIP_2) | instid1(VALU_DEP_1)
	v_xor_b32_e32 v6, s0, v9
	ds_load_b32 v86, v88 offset:32
	v_and_b32_e32 v7, v7, v8
	; wave barrier
	v_and_b32_e32 v6, v7, v6
	s_delay_alu instid0(VALU_DEP_1) | instskip(SKIP_1) | instid1(VALU_DEP_2)
	v_mbcnt_lo_u32_b32 v87, v6, 0
	v_cmp_ne_u32_e64 s0, 0, v6
	v_cmp_eq_u32_e32 vcc_lo, 0, v87
	s_delay_alu instid0(VALU_DEP_2) | instskip(NEXT) | instid1(SALU_CYCLE_1)
	s_and_b32 s3, s0, vcc_lo
	s_and_saveexec_b32 s0, s3
	s_cbranch_execz .LBB15_257
; %bb.256:
	s_waitcnt lgkmcnt(0)
	v_bcnt_u32_b32 v6, v6, v86
	ds_store_b32 v88, v6 offset:32
.LBB15_257:
	s_or_b32 exec_lo, exec_lo, s0
	v_xor_b32_e32 v85, -1, v5
	; wave barrier
	s_delay_alu instid0(VALU_DEP_1) | instskip(NEXT) | instid1(VALU_DEP_1)
	v_and_b32_e32 v5, 0xff, v85
	v_lshrrev_b32_e32 v5, s60, v5
	s_delay_alu instid0(VALU_DEP_1) | instskip(NEXT) | instid1(VALU_DEP_1)
	v_and_b32_e32 v5, s1, v5
	v_and_b32_e32 v6, 1, v5
	v_lshlrev_b32_e32 v7, 30, v5
	v_lshlrev_b32_e32 v8, 29, v5
	;; [unrolled: 1-line block ×4, first 2 shown]
	v_add_co_u32 v6, s0, v6, -1
	s_delay_alu instid0(VALU_DEP_1)
	v_cndmask_b32_e64 v89, 0, 1, s0
	v_not_b32_e32 v93, v7
	v_cmp_gt_i32_e64 s0, 0, v7
	v_not_b32_e32 v7, v8
	v_lshlrev_b32_e32 v91, 26, v5
	v_cmp_ne_u32_e32 vcc_lo, 0, v89
	v_ashrrev_i32_e32 v93, 31, v93
	v_lshlrev_b32_e32 v92, 25, v5
	v_ashrrev_i32_e32 v7, 31, v7
	v_lshlrev_b32_e32 v89, 24, v5
	v_xor_b32_e32 v6, vcc_lo, v6
	v_cmp_gt_i32_e32 vcc_lo, 0, v8
	v_not_b32_e32 v8, v9
	v_xor_b32_e32 v93, s0, v93
	v_cmp_gt_i32_e64 s0, 0, v9
	v_and_b32_e32 v6, exec_lo, v6
	v_not_b32_e32 v9, v90
	v_ashrrev_i32_e32 v8, 31, v8
	v_xor_b32_e32 v7, vcc_lo, v7
	v_cmp_gt_i32_e32 vcc_lo, 0, v90
	v_and_b32_e32 v6, v6, v93
	v_not_b32_e32 v90, v91
	v_ashrrev_i32_e32 v9, 31, v9
	v_xor_b32_e32 v8, s0, v8
	v_cmp_gt_i32_e64 s0, 0, v91
	v_and_b32_e32 v6, v6, v7
	v_not_b32_e32 v7, v92
	v_ashrrev_i32_e32 v90, 31, v90
	v_xor_b32_e32 v9, vcc_lo, v9
	v_cmp_gt_i32_e32 vcc_lo, 0, v92
	v_and_b32_e32 v6, v6, v8
	v_not_b32_e32 v8, v89
	v_ashrrev_i32_e32 v7, 31, v7
	v_xor_b32_e32 v90, s0, v90
	v_mul_u32_u24_e32 v5, 9, v5
	v_and_b32_e32 v6, v6, v9
	v_cmp_gt_i32_e64 s0, 0, v89
	v_ashrrev_i32_e32 v8, 31, v8
	v_xor_b32_e32 v7, vcc_lo, v7
	v_add_lshl_u32 v92, v3, v5, 2
	v_and_b32_e32 v6, v6, v90
	s_delay_alu instid0(VALU_DEP_4) | instskip(SKIP_2) | instid1(VALU_DEP_1)
	v_xor_b32_e32 v5, s0, v8
	ds_load_b32 v90, v92 offset:32
	v_and_b32_e32 v6, v6, v7
	; wave barrier
	v_and_b32_e32 v5, v6, v5
	s_delay_alu instid0(VALU_DEP_1) | instskip(SKIP_1) | instid1(VALU_DEP_2)
	v_mbcnt_lo_u32_b32 v91, v5, 0
	v_cmp_ne_u32_e64 s0, 0, v5
	v_cmp_eq_u32_e32 vcc_lo, 0, v91
	s_delay_alu instid0(VALU_DEP_2) | instskip(NEXT) | instid1(SALU_CYCLE_1)
	s_and_b32 s3, s0, vcc_lo
	s_and_saveexec_b32 s0, s3
	s_cbranch_execz .LBB15_259
; %bb.258:
	s_waitcnt lgkmcnt(0)
	v_bcnt_u32_b32 v5, v5, v90
	ds_store_b32 v92, v5 offset:32
.LBB15_259:
	s_or_b32 exec_lo, exec_lo, s0
	v_xor_b32_e32 v89, -1, v4
	; wave barrier
	s_delay_alu instid0(VALU_DEP_1) | instskip(NEXT) | instid1(VALU_DEP_1)
	v_and_b32_e32 v4, 0xff, v89
	v_lshrrev_b32_e32 v4, s60, v4
	s_delay_alu instid0(VALU_DEP_1) | instskip(NEXT) | instid1(VALU_DEP_1)
	v_and_b32_e32 v4, s1, v4
	v_and_b32_e32 v5, 1, v4
	v_lshlrev_b32_e32 v6, 30, v4
	v_lshlrev_b32_e32 v7, 29, v4
	;; [unrolled: 1-line block ×4, first 2 shown]
	v_add_co_u32 v5, s0, v5, -1
	s_delay_alu instid0(VALU_DEP_1)
	v_cndmask_b32_e64 v9, 0, 1, s0
	v_not_b32_e32 v96, v6
	v_cmp_gt_i32_e64 s0, 0, v6
	v_not_b32_e32 v6, v7
	v_lshlrev_b32_e32 v94, 26, v4
	v_cmp_ne_u32_e32 vcc_lo, 0, v9
	v_ashrrev_i32_e32 v96, 31, v96
	v_lshlrev_b32_e32 v95, 25, v4
	v_ashrrev_i32_e32 v6, 31, v6
	v_lshlrev_b32_e32 v9, 24, v4
	v_xor_b32_e32 v5, vcc_lo, v5
	v_cmp_gt_i32_e32 vcc_lo, 0, v7
	v_not_b32_e32 v7, v8
	v_xor_b32_e32 v96, s0, v96
	v_cmp_gt_i32_e64 s0, 0, v8
	v_and_b32_e32 v5, exec_lo, v5
	v_not_b32_e32 v8, v93
	v_ashrrev_i32_e32 v7, 31, v7
	v_xor_b32_e32 v6, vcc_lo, v6
	v_cmp_gt_i32_e32 vcc_lo, 0, v93
	v_and_b32_e32 v5, v5, v96
	v_not_b32_e32 v93, v94
	v_ashrrev_i32_e32 v8, 31, v8
	v_xor_b32_e32 v7, s0, v7
	v_cmp_gt_i32_e64 s0, 0, v94
	v_and_b32_e32 v5, v5, v6
	v_not_b32_e32 v6, v95
	v_ashrrev_i32_e32 v93, 31, v93
	v_xor_b32_e32 v8, vcc_lo, v8
	v_cmp_gt_i32_e32 vcc_lo, 0, v95
	v_and_b32_e32 v5, v5, v7
	v_not_b32_e32 v7, v9
	v_ashrrev_i32_e32 v6, 31, v6
	v_xor_b32_e32 v93, s0, v93
	v_mul_u32_u24_e32 v4, 9, v4
	v_and_b32_e32 v5, v5, v8
	v_cmp_gt_i32_e64 s0, 0, v9
	v_ashrrev_i32_e32 v7, 31, v7
	v_xor_b32_e32 v6, vcc_lo, v6
	v_add_lshl_u32 v96, v3, v4, 2
	v_and_b32_e32 v5, v5, v93
	s_delay_alu instid0(VALU_DEP_4) | instskip(SKIP_2) | instid1(VALU_DEP_1)
	v_xor_b32_e32 v4, s0, v7
	ds_load_b32 v94, v96 offset:32
	v_and_b32_e32 v5, v5, v6
	; wave barrier
	v_and_b32_e32 v4, v5, v4
	s_delay_alu instid0(VALU_DEP_1) | instskip(SKIP_1) | instid1(VALU_DEP_2)
	v_mbcnt_lo_u32_b32 v95, v4, 0
	v_cmp_ne_u32_e64 s0, 0, v4
	v_cmp_eq_u32_e32 vcc_lo, 0, v95
	s_delay_alu instid0(VALU_DEP_2) | instskip(NEXT) | instid1(SALU_CYCLE_1)
	s_and_b32 s3, s0, vcc_lo
	s_and_saveexec_b32 s0, s3
	s_cbranch_execz .LBB15_261
; %bb.260:
	s_waitcnt lgkmcnt(0)
	v_bcnt_u32_b32 v4, v4, v94
	ds_store_b32 v96, v4 offset:32
.LBB15_261:
	s_or_b32 exec_lo, exec_lo, s0
	v_xor_b32_e32 v93, -1, v2
	; wave barrier
	v_add_nc_u32_e32 v100, 32, v14
	s_delay_alu instid0(VALU_DEP_2) | instskip(NEXT) | instid1(VALU_DEP_1)
	v_and_b32_e32 v2, 0xff, v93
	v_lshrrev_b32_e32 v2, s60, v2
	s_delay_alu instid0(VALU_DEP_1) | instskip(NEXT) | instid1(VALU_DEP_1)
	v_and_b32_e32 v2, s1, v2
	v_and_b32_e32 v4, 1, v2
	v_lshlrev_b32_e32 v5, 30, v2
	v_lshlrev_b32_e32 v6, 29, v2
	;; [unrolled: 1-line block ×4, first 2 shown]
	v_add_co_u32 v4, s0, v4, -1
	s_delay_alu instid0(VALU_DEP_1)
	v_cndmask_b32_e64 v8, 0, 1, s0
	v_not_b32_e32 v99, v5
	v_cmp_gt_i32_e64 s0, 0, v5
	v_not_b32_e32 v5, v6
	v_lshlrev_b32_e32 v97, 26, v2
	v_cmp_ne_u32_e32 vcc_lo, 0, v8
	v_ashrrev_i32_e32 v99, 31, v99
	v_lshlrev_b32_e32 v98, 25, v2
	v_ashrrev_i32_e32 v5, 31, v5
	v_lshlrev_b32_e32 v8, 24, v2
	v_xor_b32_e32 v4, vcc_lo, v4
	v_cmp_gt_i32_e32 vcc_lo, 0, v6
	v_not_b32_e32 v6, v7
	v_xor_b32_e32 v99, s0, v99
	v_cmp_gt_i32_e64 s0, 0, v7
	v_and_b32_e32 v4, exec_lo, v4
	v_not_b32_e32 v7, v9
	v_ashrrev_i32_e32 v6, 31, v6
	v_xor_b32_e32 v5, vcc_lo, v5
	v_cmp_gt_i32_e32 vcc_lo, 0, v9
	v_and_b32_e32 v4, v4, v99
	v_not_b32_e32 v9, v97
	v_ashrrev_i32_e32 v7, 31, v7
	v_xor_b32_e32 v6, s0, v6
	v_cmp_gt_i32_e64 s0, 0, v97
	v_and_b32_e32 v4, v4, v5
	v_not_b32_e32 v5, v98
	v_ashrrev_i32_e32 v9, 31, v9
	v_xor_b32_e32 v7, vcc_lo, v7
	v_cmp_gt_i32_e32 vcc_lo, 0, v98
	v_and_b32_e32 v4, v4, v6
	v_not_b32_e32 v6, v8
	v_ashrrev_i32_e32 v5, 31, v5
	v_xor_b32_e32 v9, s0, v9
	v_mul_u32_u24_e32 v2, 9, v2
	v_and_b32_e32 v4, v4, v7
	v_cmp_gt_i32_e64 s0, 0, v8
	v_ashrrev_i32_e32 v6, 31, v6
	v_xor_b32_e32 v5, vcc_lo, v5
	v_add_lshl_u32 v99, v3, v2, 2
	v_and_b32_e32 v4, v4, v9
	s_delay_alu instid0(VALU_DEP_4) | instskip(SKIP_2) | instid1(VALU_DEP_1)
	v_xor_b32_e32 v2, s0, v6
	ds_load_b32 v97, v99 offset:32
	v_and_b32_e32 v3, v4, v5
	; wave barrier
	v_and_b32_e32 v2, v3, v2
	s_delay_alu instid0(VALU_DEP_1) | instskip(SKIP_1) | instid1(VALU_DEP_2)
	v_mbcnt_lo_u32_b32 v98, v2, 0
	v_cmp_ne_u32_e64 s0, 0, v2
	v_cmp_eq_u32_e32 vcc_lo, 0, v98
	s_delay_alu instid0(VALU_DEP_2) | instskip(NEXT) | instid1(SALU_CYCLE_1)
	s_and_b32 s3, s0, vcc_lo
	s_and_saveexec_b32 s0, s3
	s_cbranch_execz .LBB15_263
; %bb.262:
	s_waitcnt lgkmcnt(0)
	v_bcnt_u32_b32 v2, v2, v97
	ds_store_b32 v99, v2 offset:32
.LBB15_263:
	s_or_b32 exec_lo, exec_lo, s0
	; wave barrier
	s_waitcnt lgkmcnt(0)
	s_barrier
	buffer_gl0_inv
	ds_load_2addr_b32 v[8:9], v14 offset0:8 offset1:9
	ds_load_2addr_b32 v[6:7], v100 offset0:2 offset1:3
	;; [unrolled: 1-line block ×4, first 2 shown]
	ds_load_b32 v101, v100 offset:32
	v_min_u32_e32 v12, 0xe0, v12
	s_mov_b32 s0, exec_lo
	s_delay_alu instid0(VALU_DEP_1) | instskip(SKIP_3) | instid1(VALU_DEP_1)
	v_or_b32_e32 v104, 31, v12
	s_waitcnt lgkmcnt(3)
	v_add3_u32 v102, v9, v8, v6
	s_waitcnt lgkmcnt(2)
	v_add3_u32 v102, v102, v7, v4
	s_waitcnt lgkmcnt(1)
	s_delay_alu instid0(VALU_DEP_1) | instskip(SKIP_1) | instid1(VALU_DEP_1)
	v_add3_u32 v102, v102, v5, v2
	s_waitcnt lgkmcnt(0)
	v_add3_u32 v101, v102, v3, v101
	v_and_b32_e32 v102, 15, v51
	s_delay_alu instid0(VALU_DEP_2) | instskip(NEXT) | instid1(VALU_DEP_2)
	v_mov_b32_dpp v103, v101 row_shr:1 row_mask:0xf bank_mask:0xf
	v_cmp_ne_u32_e32 vcc_lo, 0, v102
	s_delay_alu instid0(VALU_DEP_2) | instskip(SKIP_1) | instid1(VALU_DEP_2)
	v_cndmask_b32_e32 v103, 0, v103, vcc_lo
	v_cmp_lt_u32_e32 vcc_lo, 1, v102
	v_add_nc_u32_e32 v101, v103, v101
	s_delay_alu instid0(VALU_DEP_1) | instskip(NEXT) | instid1(VALU_DEP_1)
	v_mov_b32_dpp v103, v101 row_shr:2 row_mask:0xf bank_mask:0xf
	v_cndmask_b32_e32 v103, 0, v103, vcc_lo
	v_cmp_lt_u32_e32 vcc_lo, 3, v102
	s_delay_alu instid0(VALU_DEP_2) | instskip(NEXT) | instid1(VALU_DEP_1)
	v_add_nc_u32_e32 v101, v101, v103
	v_mov_b32_dpp v103, v101 row_shr:4 row_mask:0xf bank_mask:0xf
	s_delay_alu instid0(VALU_DEP_1) | instskip(SKIP_1) | instid1(VALU_DEP_2)
	v_cndmask_b32_e32 v103, 0, v103, vcc_lo
	v_cmp_lt_u32_e32 vcc_lo, 7, v102
	v_add_nc_u32_e32 v101, v101, v103
	s_delay_alu instid0(VALU_DEP_1) | instskip(NEXT) | instid1(VALU_DEP_1)
	v_mov_b32_dpp v103, v101 row_shr:8 row_mask:0xf bank_mask:0xf
	v_cndmask_b32_e32 v102, 0, v103, vcc_lo
	v_bfe_i32 v103, v51, 4, 1
	s_delay_alu instid0(VALU_DEP_2) | instskip(SKIP_4) | instid1(VALU_DEP_2)
	v_add_nc_u32_e32 v102, v101, v102
	ds_swizzle_b32 v101, v102 offset:swizzle(BROADCAST,32,15)
	s_waitcnt lgkmcnt(0)
	v_and_b32_e32 v103, v103, v101
	v_lshrrev_b32_e32 v101, 5, v1
	v_add_nc_u32_e32 v12, v102, v103
	v_cmpx_eq_u32_e64 v104, v1
	s_cbranch_execz .LBB15_265
; %bb.264:
	s_delay_alu instid0(VALU_DEP_3)
	v_lshlrev_b32_e32 v102, 2, v101
	ds_store_b32 v102, v12
.LBB15_265:
	s_or_b32 exec_lo, exec_lo, s0
	s_delay_alu instid0(SALU_CYCLE_1)
	s_mov_b32 s0, exec_lo
	s_waitcnt lgkmcnt(0)
	s_barrier
	buffer_gl0_inv
	v_cmpx_gt_u32_e32 8, v1
	s_cbranch_execz .LBB15_267
; %bb.266:
	v_lshlrev_b32_e32 v102, 2, v1
	ds_load_b32 v103, v102
	s_waitcnt lgkmcnt(0)
	v_mov_b32_dpp v105, v103 row_shr:1 row_mask:0xf bank_mask:0xf
	v_and_b32_e32 v104, 7, v51
	s_delay_alu instid0(VALU_DEP_1) | instskip(NEXT) | instid1(VALU_DEP_3)
	v_cmp_ne_u32_e32 vcc_lo, 0, v104
	v_cndmask_b32_e32 v105, 0, v105, vcc_lo
	v_cmp_lt_u32_e32 vcc_lo, 1, v104
	s_delay_alu instid0(VALU_DEP_2) | instskip(NEXT) | instid1(VALU_DEP_1)
	v_add_nc_u32_e32 v103, v105, v103
	v_mov_b32_dpp v105, v103 row_shr:2 row_mask:0xf bank_mask:0xf
	s_delay_alu instid0(VALU_DEP_1) | instskip(SKIP_1) | instid1(VALU_DEP_2)
	v_cndmask_b32_e32 v105, 0, v105, vcc_lo
	v_cmp_lt_u32_e32 vcc_lo, 3, v104
	v_add_nc_u32_e32 v103, v103, v105
	s_delay_alu instid0(VALU_DEP_1) | instskip(NEXT) | instid1(VALU_DEP_1)
	v_mov_b32_dpp v105, v103 row_shr:4 row_mask:0xf bank_mask:0xf
	v_cndmask_b32_e32 v104, 0, v105, vcc_lo
	s_delay_alu instid0(VALU_DEP_1)
	v_add_nc_u32_e32 v103, v103, v104
	ds_store_b32 v102, v103
.LBB15_267:
	s_or_b32 exec_lo, exec_lo, s0
	v_mov_b32_e32 v102, 0
	s_mov_b32 s0, exec_lo
	s_waitcnt lgkmcnt(0)
	s_barrier
	buffer_gl0_inv
	v_cmpx_lt_u32_e32 31, v1
	s_cbranch_execz .LBB15_269
; %bb.268:
	v_lshl_add_u32 v101, v101, 2, -4
	ds_load_b32 v102, v101
.LBB15_269:
	s_or_b32 exec_lo, exec_lo, s0
	v_add_nc_u32_e32 v101, -1, v51
	s_mov_b32 s0, 0
	s_mov_b32 s3, exec_lo
	s_waitcnt lgkmcnt(0)
	v_add_nc_u32_e32 v12, v102, v12
	v_cmp_gt_i32_e32 vcc_lo, 0, v101
	v_cndmask_b32_e32 v101, v101, v51, vcc_lo
	v_cmp_eq_u32_e32 vcc_lo, 0, v51
	s_delay_alu instid0(VALU_DEP_2) | instskip(SKIP_4) | instid1(VALU_DEP_2)
	v_lshlrev_b32_e32 v101, 2, v101
	ds_bpermute_b32 v12, v101, v12
	s_waitcnt lgkmcnt(0)
	v_cndmask_b32_e32 v12, v12, v102, vcc_lo
	v_cmp_ne_u32_e32 vcc_lo, 0, v1
	v_cndmask_b32_e32 v12, 0, v12, vcc_lo
	s_delay_alu instid0(VALU_DEP_1) | instskip(NEXT) | instid1(VALU_DEP_1)
	v_add_nc_u32_e32 v8, v12, v8
	v_add_nc_u32_e32 v9, v8, v9
	s_delay_alu instid0(VALU_DEP_1) | instskip(NEXT) | instid1(VALU_DEP_1)
	v_add_nc_u32_e32 v6, v9, v6
	v_add_nc_u32_e32 v7, v6, v7
	;; [unrolled: 3-line block ×4, first 2 shown]
	ds_store_2addr_b32 v14, v12, v8 offset0:8 offset1:9
	ds_store_2addr_b32 v100, v9, v6 offset0:2 offset1:3
	;; [unrolled: 1-line block ×4, first 2 shown]
	ds_store_b32 v100, v3 offset:32
	v_mov_b32_e32 v2, 0x1600
	s_waitcnt lgkmcnt(0)
	s_barrier
	buffer_gl0_inv
	ds_load_b32 v4, v19 offset:32
	ds_load_b32 v5, v23 offset:32
	;; [unrolled: 1-line block ×23, first 2 shown]
	v_add_nc_u32_e32 v14, 1, v1
	s_delay_alu instid0(VALU_DEP_1)
	v_cmpx_ne_u32_e32 0x100, v14
	s_cbranch_execz .LBB15_271
; %bb.270:
	v_mul_u32_u24_e32 v2, 9, v14
	s_delay_alu instid0(VALU_DEP_1)
	v_lshlrev_b32_e32 v2, 2, v2
	ds_load_b32 v2, v2 offset:32
.LBB15_271:
	s_or_b32 exec_lo, exec_lo, s3
	s_waitcnt lgkmcnt(1)
	v_add_nc_u32_e32 v58, v15, v13
	v_add3_u32 v47, v18, v17, v4
	v_add3_u32 v43, v22, v21, v5
	v_mov_b32_e32 v5, 0
	v_lshl_add_u32 v4, s15, 8, v1
	v_add3_u32 v39, v26, v25, v6
	v_add3_u32 v35, v30, v29, v7
	;; [unrolled: 1-line block ×3, first 2 shown]
	s_waitcnt lgkmcnt(0)
	v_sub_nc_u32_e32 v52, v2, v3
	v_lshlrev_b64 v[6:7], 2, v[4:5]
	v_add3_u32 v33, v34, v33, v8
	v_add3_u32 v31, v38, v37, v9
	;; [unrolled: 1-line block ×5, first 2 shown]
	v_add_co_u32 v6, vcc_lo, s66, v6
	v_add3_u32 v25, v61, v60, v62
	v_add3_u32 v23, v64, v63, v65
	;; [unrolled: 1-line block ×11, first 2 shown]
	s_barrier
	buffer_gl0_inv
	ds_store_b8 v58, v11 offset:2048
	ds_store_b8 v47, v0 offset:2048
	;; [unrolled: 1-line block ×15, first 2 shown]
	v_add_co_ci_u32_e32 v7, vcc_lo, s67, v7, vcc_lo
	v_or_b32_e32 v2, 2.0, v52
	v_mov_b32_e32 v0, 0
	ds_store_b8 v19, v69 offset:2048
	ds_store_b8 v18, v73 offset:2048
	;; [unrolled: 1-line block ×7, first 2 shown]
	s_waitcnt lgkmcnt(0)
	s_barrier
	buffer_gl0_inv
	global_store_b32 v[6:7], v2, off
                                        ; implicit-def: $sgpr3
	s_branch .LBB15_274
	.p2align	6
.LBB15_272:                             ;   in Loop: Header=BB15_274 Depth=1
	s_or_b32 exec_lo, exec_lo, s4
.LBB15_273:                             ;   in Loop: Header=BB15_274 Depth=1
	s_delay_alu instid0(SALU_CYCLE_1) | instskip(SKIP_2) | instid1(VALU_DEP_2)
	s_or_b32 exec_lo, exec_lo, s3
	v_and_b32_e32 v4, 0x3fffffff, v4
	v_cmp_eq_u32_e64 s3, 0x80000000, v2
	v_add_nc_u32_e32 v0, v4, v0
	s_delay_alu instid0(VALU_DEP_2) | instskip(NEXT) | instid1(SALU_CYCLE_1)
	s_and_b32 s4, exec_lo, s3
	s_or_b32 s0, s4, s0
	s_delay_alu instid0(SALU_CYCLE_1)
	s_and_not1_b32 exec_lo, exec_lo, s0
	s_cbranch_execz .LBB15_279
.LBB15_274:                             ; =>This Loop Header: Depth=1
                                        ;     Child Loop BB15_277 Depth 2
	s_or_b32 s3, s3, exec_lo
	s_cmp_eq_u32 s63, 0
	s_cbranch_scc1 .LBB15_278
; %bb.275:                              ;   in Loop: Header=BB15_274 Depth=1
	s_add_i32 s63, s63, -1
	s_mov_b32 s3, exec_lo
	v_lshl_add_u32 v4, s63, 8, v1
	s_delay_alu instid0(VALU_DEP_1) | instskip(NEXT) | instid1(VALU_DEP_1)
	v_lshlrev_b64 v[8:9], 2, v[4:5]
	v_add_co_u32 v8, vcc_lo, s66, v8
	s_delay_alu instid0(VALU_DEP_2) | instskip(SKIP_3) | instid1(VALU_DEP_1)
	v_add_co_ci_u32_e32 v9, vcc_lo, s67, v9, vcc_lo
	global_load_b32 v4, v[8:9], off glc
	s_waitcnt vmcnt(0)
	v_and_b32_e32 v2, -2.0, v4
	v_cmpx_eq_u32_e32 0, v2
	s_cbranch_execz .LBB15_273
; %bb.276:                              ;   in Loop: Header=BB15_274 Depth=1
	s_mov_b32 s4, 0
.LBB15_277:                             ;   Parent Loop BB15_274 Depth=1
                                        ; =>  This Inner Loop Header: Depth=2
	global_load_b32 v4, v[8:9], off glc
	s_waitcnt vmcnt(0)
	v_and_b32_e32 v2, -2.0, v4
	s_delay_alu instid0(VALU_DEP_1) | instskip(SKIP_1) | instid1(SALU_CYCLE_1)
	v_cmp_ne_u32_e32 vcc_lo, 0, v2
	s_or_b32 s4, vcc_lo, s4
	s_and_not1_b32 exec_lo, exec_lo, s4
	s_cbranch_execnz .LBB15_277
	s_branch .LBB15_272
.LBB15_278:                             ;   in Loop: Header=BB15_274 Depth=1
                                        ; implicit-def: $sgpr63
	s_and_b32 s4, exec_lo, s3
	s_delay_alu instid0(SALU_CYCLE_1) | instskip(NEXT) | instid1(SALU_CYCLE_1)
	s_or_b32 s0, s4, s0
	s_and_not1_b32 exec_lo, exec_lo, s0
	s_cbranch_execnz .LBB15_274
.LBB15_279:
	s_or_b32 exec_lo, exec_lo, s0
	v_add_nc_u32_e32 v2, v0, v52
	v_lshlrev_b32_e32 v53, 3, v1
	v_lshlrev_b32_e32 v9, 3, v51
	s_lshl_b64 s[4:5], s[64:65], 3
	v_lshlrev_b32_e32 v10, 3, v10
	v_or_b32_e32 v2, 0x80000000, v2
	v_add_nc_u32_e32 v5, 0x1100, v1
	v_or_b32_e32 v8, 0x1400, v1
	v_lshlrev_b32_e32 v58, 3, v58
	v_lshlrev_b32_e32 v47, 3, v47
	global_store_b32 v[6:7], v2, off
	global_load_b64 v[36:37], v53, s[56:57]
	v_sub_co_u32 v2, s0, v0, v3
	s_delay_alu instid0(VALU_DEP_1) | instskip(SKIP_3) | instid1(VALU_DEP_1)
	v_sub_co_ci_u32_e64 v4, null, 0, 0, s0
	s_add_u32 s0, s52, s4
	s_addc_u32 s3, s53, s5
	v_add_co_u32 v11, s0, s0, v9
	v_add_co_ci_u32_e64 v16, null, s3, 0, s0
	v_or_b32_e32 v0, 0x1000, v1
	s_delay_alu instid0(VALU_DEP_3) | instskip(NEXT) | instid1(VALU_DEP_3)
	v_add_co_u32 v54, vcc_lo, v11, v10
	v_add_co_ci_u32_e32 v55, vcc_lo, 0, v16, vcc_lo
	v_add_nc_u32_e32 v6, 0x1200, v1
	v_add_nc_u32_e32 v7, 0x1300, v1
	;; [unrolled: 1-line block ×3, first 2 shown]
	v_lshlrev_b32_e32 v43, 3, v43
	v_lshlrev_b32_e32 v39, 3, v39
	;; [unrolled: 1-line block ×20, first 2 shown]
	s_add_i32 s2, s2, -1
	s_delay_alu instid0(SALU_CYCLE_1)
	s_cmp_eq_u32 s15, s2
	s_cselect_b32 s2, -1, 0
	s_waitcnt vmcnt(0)
	v_add_co_u32 v10, vcc_lo, v2, v36
	v_add_co_ci_u32_e32 v11, vcc_lo, v4, v37, vcc_lo
	v_add_co_u32 v56, vcc_lo, 0x1000, v54
	v_add_co_ci_u32_e32 v57, vcc_lo, 0, v55, vcc_lo
	ds_store_b64 v53, v[10:11]
	s_waitcnt lgkmcnt(0)
	s_waitcnt_vscnt null, 0x0
	s_barrier
	buffer_gl0_inv
	ds_load_u8 v2, v1 offset:2304
	ds_load_u8 v4, v1 offset:2560
	;; [unrolled: 1-line block ×22, first 2 shown]
	s_waitcnt lgkmcnt(19)
	v_and_b32_e32 v59, 0xff, v10
	v_xor_b32_e32 v103, -1, v10
	s_waitcnt lgkmcnt(18)
	v_and_b32_e32 v10, 0xff, v11
	v_xor_b32_e32 v104, -1, v11
	s_waitcnt lgkmcnt(17)
	v_and_b32_e32 v11, 0xff, v16
	v_xor_b32_e32 v105, -1, v16
	s_waitcnt lgkmcnt(16)
	v_and_b32_e32 v16, 0xff, v20
	v_xor_b32_e32 v106, -1, v20
	s_waitcnt lgkmcnt(15)
	v_and_b32_e32 v20, 0xff, v24
	v_xor_b32_e32 v107, -1, v24
	s_waitcnt lgkmcnt(14)
	v_and_b32_e32 v24, 0xff, v28
	v_xor_b32_e32 v108, -1, v28
	s_waitcnt lgkmcnt(13)
	v_and_b32_e32 v28, 0xff, v32
	v_xor_b32_e32 v109, -1, v32
	s_waitcnt lgkmcnt(12)
	v_and_b32_e32 v32, 0xff, v34
	v_xor_b32_e32 v110, -1, v34
	s_waitcnt lgkmcnt(11)
	v_and_b32_e32 v34, 0xff, v36
	v_xor_b32_e32 v111, -1, v36
	s_waitcnt lgkmcnt(10)
	v_and_b32_e32 v36, 0xff, v37
	v_xor_b32_e32 v112, -1, v37
	s_waitcnt lgkmcnt(9)
	v_and_b32_e32 v37, 0xff, v38
	v_xor_b32_e32 v113, -1, v38
	s_waitcnt lgkmcnt(8)
	v_and_b32_e32 v38, 0xff, v40
	v_xor_b32_e32 v114, -1, v40
	s_waitcnt lgkmcnt(7)
	v_and_b32_e32 v40, 0xff, v41
	v_xor_b32_e32 v115, -1, v41
	s_waitcnt lgkmcnt(6)
	v_and_b32_e32 v41, 0xff, v42
	v_xor_b32_e32 v116, -1, v42
	s_waitcnt lgkmcnt(5)
	v_and_b32_e32 v42, 0xff, v44
	v_xor_b32_e32 v117, -1, v44
	s_waitcnt lgkmcnt(4)
	v_and_b32_e32 v44, 0xff, v45
	v_xor_b32_e32 v118, -1, v45
	s_waitcnt lgkmcnt(3)
	v_and_b32_e32 v45, 0xff, v46
	v_xor_b32_e32 v119, -1, v46
	s_waitcnt lgkmcnt(2)
	v_and_b32_e32 v46, 0xff, v48
	v_xor_b32_e32 v120, -1, v48
	s_waitcnt lgkmcnt(1)
	v_and_b32_e32 v48, 0xff, v49
	v_lshrrev_b32_e32 v10, s60, v10
	v_lshrrev_b32_e32 v11, s60, v11
	v_lshrrev_b32_e32 v46, s60, v46
	v_lshrrev_b32_e32 v16, s60, v16
	v_lshrrev_b32_e32 v48, s60, v48
	v_lshrrev_b32_e32 v20, s60, v20
	v_and_b32_e32 v50, 0xff, v2
	v_and_b32_e32 v51, 0xff, v4
	v_lshrrev_b32_e32 v24, s60, v24
	v_lshrrev_b32_e32 v28, s60, v28
	;; [unrolled: 1-line block ×12, first 2 shown]
	v_and_b32_e32 v10, s1, v10
	v_and_b32_e32 v65, s1, v46
	;; [unrolled: 1-line block ×6, first 2 shown]
	v_xor_b32_e32 v121, -1, v49
	v_lshrrev_b32_e32 v49, s60, v50
	v_lshrrev_b32_e32 v50, s60, v51
	;; [unrolled: 1-line block ×3, first 2 shown]
	v_and_b32_e32 v24, s1, v24
	v_and_b32_e32 v28, s1, v28
	;; [unrolled: 1-line block ×12, first 2 shown]
	v_lshlrev_b32_e32 v44, 3, v10
	v_lshlrev_b32_e32 v10, 3, v65
	;; [unrolled: 1-line block ×18, first 2 shown]
	ds_load_b64 v[59:60], v10
	ds_load_b64 v[61:62], v11
	s_waitcnt lgkmcnt(2)
	v_and_b32_e32 v71, 0xff, v67
	v_xor_b32_e32 v122, -1, v67
	ds_load_b64 v[63:64], v44
	ds_load_b64 v[65:66], v45
	;; [unrolled: 1-line block ×4, first 2 shown]
	v_and_b32_e32 v49, s1, v49
	v_and_b32_e32 v50, s1, v50
	v_lshrrev_b32_e32 v79, s60, v71
	ds_load_b64 v[71:72], v38
	ds_load_b64 v[73:74], v40
	;; [unrolled: 1-line block ×4, first 2 shown]
	v_and_b32_e32 v51, s1, v51
	v_lshlrev_b32_e32 v49, 3, v49
	v_lshlrev_b32_e32 v50, 3, v50
	v_and_b32_e32 v87, s1, v79
	ds_load_b64 v[79:80], v20
	ds_load_b64 v[81:82], v24
	;; [unrolled: 1-line block ×4, first 2 shown]
	v_lshlrev_b32_e32 v51, 3, v51
	v_xor_b32_e32 v2, -1, v2
	v_xor_b32_e32 v4, -1, v4
	v_lshlrev_b32_e32 v123, 3, v87
	ds_load_b64 v[87:88], v16
	ds_load_b64 v[89:90], v34
	;; [unrolled: 1-line block ×8, first 2 shown]
	s_waitcnt lgkmcnt(19)
	v_add_co_u32 v63, vcc_lo, s50, v63
	v_add_co_ci_u32_e32 v64, vcc_lo, s51, v64, vcc_lo
	s_waitcnt lgkmcnt(18)
	v_add_co_u32 v65, vcc_lo, s50, v65
	v_add_co_ci_u32_e32 v66, vcc_lo, s51, v66, vcc_lo
	;; [unrolled: 3-line block ×16, first 2 shown]
	v_add_co_u32 v124, vcc_lo, s50, v59
	v_add_co_ci_u32_e32 v125, vcc_lo, s51, v60, vcc_lo
	v_add_co_u32 v126, vcc_lo, s50, v61
	v_add_co_ci_u32_e32 v127, vcc_lo, s51, v62, vcc_lo
	;; [unrolled: 2-line block ×19, first 2 shown]
	s_waitcnt lgkmcnt(3)
	v_add_co_u32 v93, vcc_lo, s50, v95
	v_add_co_ci_u32_e32 v94, vcc_lo, s51, v96, vcc_lo
	s_waitcnt lgkmcnt(2)
	v_add_co_u32 v95, vcc_lo, s50, v97
	v_add_co_ci_u32_e32 v96, vcc_lo, s51, v98, vcc_lo
	;; [unrolled: 3-line block ×4, first 2 shown]
	v_add_co_u32 v93, vcc_lo, v93, v1
	v_add_co_ci_u32_e32 v94, vcc_lo, 0, v94, vcc_lo
	v_add_co_u32 v95, vcc_lo, v95, v1
	v_add_co_ci_u32_e32 v96, vcc_lo, 0, v96, vcc_lo
	;; [unrolled: 2-line block ×5, first 2 shown]
	s_clause 0x15
	global_store_b8 v[93:94], v122, off
	global_store_b8 v[95:96], v2, off offset:256
	global_store_b8 v[97:98], v4, off offset:512
	;; [unrolled: 1-line block ×15, first 2 shown]
	global_store_b8 v[83:84], v116, off
	global_store_b8 v[85:86], v117, off
	;; [unrolled: 1-line block ×6, first 2 shown]
	s_clause 0x15
	global_load_b64 v[59:60], v[54:55], off
	global_load_b64 v[61:62], v[54:55], off offset:256
	global_load_b64 v[63:64], v[54:55], off offset:512
	;; [unrolled: 1-line block ×15, first 2 shown]
	global_load_b64 v[89:90], v[56:57], off
	global_load_b64 v[91:92], v[56:57], off offset:256
	global_load_b64 v[93:94], v[56:57], off offset:512
	global_load_b64 v[95:96], v[56:57], off offset:768
	global_load_b64 v[97:98], v[56:57], off offset:1024
	global_load_b64 v[56:57], v[56:57], off offset:1280
	v_dual_mov_b32 v2, 0 :: v_dual_lshlrev_b32 v115, 3, v6
	v_lshlrev_b32_e32 v116, 3, v7
	v_lshlrev_b32_e32 v117, 3, v8
	;; [unrolled: 1-line block ×3, first 2 shown]
	s_delay_alu instid0(VALU_DEP_4)
	v_mov_b32_e32 v4, v2
	v_lshlrev_b32_e32 v114, 3, v5
	s_waitcnt vmcnt(0)
	s_waitcnt_vscnt null, 0x0
	s_barrier
	buffer_gl0_inv
	v_add_nc_u32_e32 v100, 0x1000, v53
	v_add_nc_u32_e32 v101, 0x1800, v53
	v_or_b32_e32 v102, 0x2000, v53
	v_add_nc_u32_e32 v103, 0x2800, v53
	v_add_nc_u32_e32 v104, 0x3000, v53
	v_add_nc_u32_e32 v105, 0x3800, v53
	v_or_b32_e32 v106, 0x4000, v53
	v_add_nc_u32_e32 v107, 0x4800, v53
	v_add_nc_u32_e32 v108, 0x5000, v53
	v_add_nc_u32_e32 v109, 0x5800, v53
	v_or_b32_e32 v110, 0x6000, v53
	v_add_nc_u32_e32 v111, 0x6800, v53
	v_add_nc_u32_e32 v112, 0x7000, v53
	v_add_nc_u32_e32 v113, 0x7800, v53
	v_lshlrev_b32_e32 v0, 3, v0
	ds_store_b64 v58, v[59:60] offset:2048
	ds_store_b64 v47, v[61:62] offset:2048
	;; [unrolled: 1-line block ×22, first 2 shown]
	s_waitcnt lgkmcnt(0)
	s_barrier
	buffer_gl0_inv
	ds_load_2addr_stride64_b64 v[5:8], v53 offset0:4 offset1:8
	ds_load_2addr_stride64_b64 v[12:15], v53 offset0:12 offset1:16
	ds_load_b64 v[29:30], v123
	ds_load_b64 v[66:67], v49
	ds_load_b64 v[68:69], v50
	ds_load_b64 v[70:71], v51
	ds_load_2addr_stride64_b64 v[54:57], v53 offset0:20 offset1:24
	ds_load_2addr_stride64_b64 v[58:61], v53 offset0:28 offset1:32
	ds_load_b64 v[72:73], v44
	ds_load_b64 v[74:75], v45
	ds_load_b64 v[76:77], v46
	ds_load_b64 v[78:79], v48
	;; [unrolled: 6-line block ×5, first 2 shown]
	ds_load_2addr_stride64_b64 v[25:28], v53 offset0:84 offset1:88
	ds_load_b64 v[9:10], v10
	ds_load_b64 v[98:99], v11
	s_waitcnt lgkmcnt(30)
	v_lshlrev_b64 v[29:30], 3, v[29:30]
	s_waitcnt lgkmcnt(29)
	v_lshlrev_b64 v[66:67], 3, v[66:67]
	s_waitcnt lgkmcnt(28)
	v_lshlrev_b64 v[68:69], 3, v[68:69]
	s_waitcnt lgkmcnt(27)
	v_lshlrev_b64 v[70:71], 3, v[70:71]
	s_waitcnt lgkmcnt(24)
	v_lshlrev_b64 v[72:73], 3, v[72:73]
	s_waitcnt lgkmcnt(23)
	v_lshlrev_b64 v[74:75], 3, v[74:75]
	v_add_co_u32 v11, vcc_lo, s54, v29
	v_add_co_ci_u32_e32 v16, vcc_lo, s55, v30, vcc_lo
	v_add_co_u32 v29, vcc_lo, s54, v66
	v_add_co_ci_u32_e32 v30, vcc_lo, s55, v67, vcc_lo
	;; [unrolled: 2-line block ×4, first 2 shown]
	s_waitcnt lgkmcnt(22)
	v_lshlrev_b64 v[76:77], 3, v[76:77]
	v_add_co_u32 v67, vcc_lo, s54, v72
	v_add_co_ci_u32_e32 v68, vcc_lo, s55, v73, vcc_lo
	s_waitcnt lgkmcnt(21)
	v_lshlrev_b64 v[78:79], 3, v[78:79]
	v_add_co_u32 v69, vcc_lo, s54, v74
	v_add_co_ci_u32_e32 v70, vcc_lo, s55, v75, vcc_lo
	;; [unrolled: 4-line block ×16, first 2 shown]
	v_add_co_u32 v120, vcc_lo, s54, v9
	v_add_co_ci_u32_e32 v121, vcc_lo, s55, v10, vcc_lo
	v_add_co_u32 v98, vcc_lo, s54, v98
	v_add_co_ci_u32_e32 v99, vcc_lo, s55, v99, vcc_lo
	;; [unrolled: 2-line block ×24, first 2 shown]
	s_clause 0x15
	global_store_b64 v[9:10], v[5:6], off
	global_store_b64 v[29:30], v[7:8], off offset:2048
	global_store_b64 v[31:32], v[12:13], off
	global_store_b64 v[33:34], v[14:15], off
	;; [unrolled: 1-line block ×20, first 2 shown]
.LBB15_280:
	s_and_b32 vcc_lo, exec_lo, s2
	s_cbranch_vccnz .LBB15_282
; %bb.281:
	s_nop 0
	s_sendmsg sendmsg(MSG_DEALLOC_VGPRS)
	s_endpgm
.LBB15_282:
	ds_load_b64 v[5:6], v53
	v_lshlrev_b64 v[0:1], 3, v[1:2]
	v_add_co_u32 v2, vcc_lo, v3, v52
	v_add_co_ci_u32_e32 v3, vcc_lo, 0, v4, vcc_lo
	s_delay_alu instid0(VALU_DEP_3) | instskip(NEXT) | instid1(VALU_DEP_4)
	v_add_co_u32 v0, vcc_lo, s58, v0
	v_add_co_ci_u32_e32 v1, vcc_lo, s59, v1, vcc_lo
	s_waitcnt lgkmcnt(0)
	v_add_co_u32 v2, vcc_lo, v2, v5
	v_add_co_ci_u32_e32 v3, vcc_lo, v3, v6, vcc_lo
	global_store_b64 v[0:1], v[2:3], off
	s_nop 0
	s_sendmsg sendmsg(MSG_DEALLOC_VGPRS)
	s_endpgm
.LBB15_283:
	global_load_b64 v[5:6], v[49:50], off
	s_or_b32 exec_lo, exec_lo, s47
                                        ; implicit-def: $vgpr7_vgpr8
	s_and_saveexec_b32 s47, s2
	s_cbranch_execz .LBB15_151
.LBB15_284:
	global_load_b64 v[7:8], v[49:50], off offset:256
	s_or_b32 exec_lo, exec_lo, s47
                                        ; implicit-def: $vgpr9_vgpr10
	s_and_saveexec_b32 s2, s3
	s_cbranch_execz .LBB15_152
.LBB15_285:
	global_load_b64 v[9:10], v[49:50], off offset:512
	s_or_b32 exec_lo, exec_lo, s2
                                        ; implicit-def: $vgpr11_vgpr12
	s_and_saveexec_b32 s2, s4
	s_cbranch_execz .LBB15_153
.LBB15_286:
	global_load_b64 v[11:12], v[49:50], off offset:768
	s_or_b32 exec_lo, exec_lo, s2
                                        ; implicit-def: $vgpr13_vgpr14
	s_and_saveexec_b32 s2, s5
	s_cbranch_execz .LBB15_154
.LBB15_287:
	global_load_b64 v[13:14], v[49:50], off offset:1024
	s_or_b32 exec_lo, exec_lo, s2
                                        ; implicit-def: $vgpr15_vgpr16
	s_and_saveexec_b32 s2, s6
	s_cbranch_execz .LBB15_155
.LBB15_288:
	global_load_b64 v[15:16], v[49:50], off offset:1280
	s_or_b32 exec_lo, exec_lo, s2
                                        ; implicit-def: $vgpr17_vgpr18
	s_and_saveexec_b32 s2, s7
	s_cbranch_execz .LBB15_156
.LBB15_289:
	global_load_b64 v[17:18], v[49:50], off offset:1536
	s_or_b32 exec_lo, exec_lo, s2
                                        ; implicit-def: $vgpr19_vgpr20
	s_and_saveexec_b32 s2, s8
	s_cbranch_execz .LBB15_157
.LBB15_290:
	global_load_b64 v[19:20], v[49:50], off offset:1792
	s_or_b32 exec_lo, exec_lo, s2
                                        ; implicit-def: $vgpr21_vgpr22
	s_and_saveexec_b32 s2, s9
	s_cbranch_execz .LBB15_158
.LBB15_291:
	global_load_b64 v[21:22], v[49:50], off offset:2048
	s_or_b32 exec_lo, exec_lo, s2
                                        ; implicit-def: $vgpr23_vgpr24
	s_and_saveexec_b32 s2, s10
	s_cbranch_execz .LBB15_159
.LBB15_292:
	global_load_b64 v[23:24], v[49:50], off offset:2304
	s_or_b32 exec_lo, exec_lo, s2
                                        ; implicit-def: $vgpr25_vgpr26
	s_and_saveexec_b32 s2, s11
	s_cbranch_execz .LBB15_160
.LBB15_293:
	global_load_b64 v[25:26], v[49:50], off offset:2560
	s_or_b32 exec_lo, exec_lo, s2
                                        ; implicit-def: $vgpr27_vgpr28
	s_and_saveexec_b32 s2, s12
	s_cbranch_execz .LBB15_161
.LBB15_294:
	global_load_b64 v[27:28], v[49:50], off offset:2816
	s_or_b32 exec_lo, exec_lo, s2
                                        ; implicit-def: $vgpr29_vgpr30
	s_and_saveexec_b32 s2, s13
	s_cbranch_execz .LBB15_162
.LBB15_295:
	global_load_b64 v[29:30], v[49:50], off offset:3072
	s_or_b32 exec_lo, exec_lo, s2
                                        ; implicit-def: $vgpr31_vgpr32
	s_and_saveexec_b32 s2, s14
	s_cbranch_execz .LBB15_163
.LBB15_296:
	global_load_b64 v[31:32], v[49:50], off offset:3328
	s_or_b32 exec_lo, exec_lo, s2
                                        ; implicit-def: $vgpr33_vgpr34
	s_and_saveexec_b32 s2, s16
	s_cbranch_execz .LBB15_164
.LBB15_297:
	global_load_b64 v[33:34], v[49:50], off offset:3584
	s_or_b32 exec_lo, exec_lo, s2
                                        ; implicit-def: $vgpr35_vgpr36
	s_and_saveexec_b32 s2, s18
	s_cbranch_execz .LBB15_165
.LBB15_298:
	global_load_b64 v[35:36], v[49:50], off offset:3840
	s_or_b32 exec_lo, exec_lo, s2
                                        ; implicit-def: $vgpr37_vgpr38
	s_and_saveexec_b32 s2, s23
	s_cbranch_execz .LBB15_166
.LBB15_299:
	v_add_co_u32 v37, vcc_lo, 0x1000, v49
	v_add_co_ci_u32_e32 v38, vcc_lo, 0, v50, vcc_lo
	global_load_b64 v[37:38], v[37:38], off
	s_or_b32 exec_lo, exec_lo, s2
                                        ; implicit-def: $vgpr39_vgpr40
	s_and_saveexec_b32 s2, s21
	s_cbranch_execz .LBB15_167
.LBB15_300:
	v_add_co_u32 v39, vcc_lo, 0x1000, v49
	v_add_co_ci_u32_e32 v40, vcc_lo, 0, v50, vcc_lo
	global_load_b64 v[39:40], v[39:40], off offset:256
	s_or_b32 exec_lo, exec_lo, s2
                                        ; implicit-def: $vgpr41_vgpr42
	s_and_saveexec_b32 s2, s22
	s_cbranch_execz .LBB15_168
.LBB15_301:
	v_add_co_u32 v41, vcc_lo, 0x1000, v49
	v_add_co_ci_u32_e32 v42, vcc_lo, 0, v50, vcc_lo
	global_load_b64 v[41:42], v[41:42], off offset:512
	s_or_b32 exec_lo, exec_lo, s2
                                        ; implicit-def: $vgpr43_vgpr44
	s_and_saveexec_b32 s2, s19
	s_cbranch_execz .LBB15_169
.LBB15_302:
	v_add_co_u32 v43, vcc_lo, 0x1000, v49
	v_add_co_ci_u32_e32 v44, vcc_lo, 0, v50, vcc_lo
	global_load_b64 v[43:44], v[43:44], off offset:768
	s_or_b32 exec_lo, exec_lo, s2
                                        ; implicit-def: $vgpr45_vgpr46
	s_and_saveexec_b32 s2, s20
	s_cbranch_execz .LBB15_170
.LBB15_303:
	v_add_co_u32 v45, vcc_lo, 0x1000, v49
	v_add_co_ci_u32_e32 v46, vcc_lo, 0, v50, vcc_lo
	global_load_b64 v[45:46], v[45:46], off offset:1024
	s_or_b32 exec_lo, exec_lo, s2
                                        ; implicit-def: $vgpr47_vgpr48
	s_and_saveexec_b32 s2, s17
	s_cbranch_execz .LBB15_171
.LBB15_304:
	v_add_co_u32 v47, vcc_lo, 0x1000, v49
	v_add_co_ci_u32_e32 v48, vcc_lo, 0, v50, vcc_lo
	global_load_b64 v[47:48], v[47:48], off offset:1280
	s_or_b32 exec_lo, exec_lo, s2
                                        ; implicit-def: $vgpr115
	s_and_saveexec_b32 s2, s24
	s_cbranch_execz .LBB15_172
.LBB15_305:
	ds_load_u8 v49, v1 offset:2048
	s_waitcnt lgkmcnt(0)
	v_lshrrev_b32_e32 v49, s60, v49
	s_delay_alu instid0(VALU_DEP_1)
	v_and_b32_e32 v115, s68, v49
	s_or_b32 exec_lo, exec_lo, s2
                                        ; implicit-def: $vgpr114
	s_and_saveexec_b32 s2, s25
	s_cbranch_execz .LBB15_173
.LBB15_306:
	ds_load_u8 v49, v1 offset:2304
	s_waitcnt lgkmcnt(0)
	v_lshrrev_b32_e32 v49, s60, v49
	s_delay_alu instid0(VALU_DEP_1)
	v_and_b32_e32 v114, s68, v49
	s_or_b32 exec_lo, exec_lo, s2
                                        ; implicit-def: $vgpr113
	s_and_saveexec_b32 s2, s26
	s_cbranch_execz .LBB15_174
.LBB15_307:
	ds_load_u8 v49, v1 offset:2560
	s_waitcnt lgkmcnt(0)
	v_lshrrev_b32_e32 v49, s60, v49
	s_delay_alu instid0(VALU_DEP_1)
	v_and_b32_e32 v113, s68, v49
	s_or_b32 exec_lo, exec_lo, s2
                                        ; implicit-def: $vgpr112
	s_and_saveexec_b32 s2, s27
	s_cbranch_execz .LBB15_175
.LBB15_308:
	ds_load_u8 v49, v1 offset:2816
	s_waitcnt lgkmcnt(0)
	v_lshrrev_b32_e32 v49, s60, v49
	s_delay_alu instid0(VALU_DEP_1)
	v_and_b32_e32 v112, s68, v49
	s_or_b32 exec_lo, exec_lo, s2
                                        ; implicit-def: $vgpr111
	s_and_saveexec_b32 s2, s28
	s_cbranch_execz .LBB15_176
.LBB15_309:
	ds_load_u8 v49, v1 offset:3072
	s_waitcnt lgkmcnt(0)
	v_lshrrev_b32_e32 v49, s60, v49
	s_delay_alu instid0(VALU_DEP_1)
	v_and_b32_e32 v111, s68, v49
	s_or_b32 exec_lo, exec_lo, s2
                                        ; implicit-def: $vgpr110
	s_and_saveexec_b32 s2, s29
	s_cbranch_execz .LBB15_177
.LBB15_310:
	ds_load_u8 v49, v1 offset:3328
	s_waitcnt lgkmcnt(0)
	v_lshrrev_b32_e32 v49, s60, v49
	s_delay_alu instid0(VALU_DEP_1)
	v_and_b32_e32 v110, s68, v49
	s_or_b32 exec_lo, exec_lo, s2
                                        ; implicit-def: $vgpr109
	s_and_saveexec_b32 s2, s30
	s_cbranch_execz .LBB15_178
.LBB15_311:
	ds_load_u8 v49, v1 offset:3584
	s_waitcnt lgkmcnt(0)
	v_lshrrev_b32_e32 v49, s60, v49
	s_delay_alu instid0(VALU_DEP_1)
	v_and_b32_e32 v109, s68, v49
	s_or_b32 exec_lo, exec_lo, s2
                                        ; implicit-def: $vgpr108
	s_and_saveexec_b32 s2, s31
	s_cbranch_execz .LBB15_179
.LBB15_312:
	ds_load_u8 v49, v1 offset:3840
	s_waitcnt lgkmcnt(0)
	v_lshrrev_b32_e32 v49, s60, v49
	s_delay_alu instid0(VALU_DEP_1)
	v_and_b32_e32 v108, s68, v49
	s_or_b32 exec_lo, exec_lo, s2
                                        ; implicit-def: $vgpr107
	s_and_saveexec_b32 s2, s33
	s_cbranch_execz .LBB15_180
.LBB15_313:
	ds_load_u8 v49, v1 offset:4096
	s_waitcnt lgkmcnt(0)
	v_lshrrev_b32_e32 v49, s60, v49
	s_delay_alu instid0(VALU_DEP_1)
	v_and_b32_e32 v107, s68, v49
	s_or_b32 exec_lo, exec_lo, s2
                                        ; implicit-def: $vgpr106
	s_and_saveexec_b32 s2, s34
	s_cbranch_execz .LBB15_181
.LBB15_314:
	ds_load_u8 v49, v1 offset:4352
	s_waitcnt lgkmcnt(0)
	v_lshrrev_b32_e32 v49, s60, v49
	s_delay_alu instid0(VALU_DEP_1)
	v_and_b32_e32 v106, s68, v49
	s_or_b32 exec_lo, exec_lo, s2
                                        ; implicit-def: $vgpr105
	s_and_saveexec_b32 s2, s35
	s_cbranch_execz .LBB15_182
.LBB15_315:
	ds_load_u8 v49, v1 offset:4608
	s_waitcnt lgkmcnt(0)
	v_lshrrev_b32_e32 v49, s60, v49
	s_delay_alu instid0(VALU_DEP_1)
	v_and_b32_e32 v105, s68, v49
	s_or_b32 exec_lo, exec_lo, s2
                                        ; implicit-def: $vgpr104
	s_and_saveexec_b32 s2, s36
	s_cbranch_execz .LBB15_183
.LBB15_316:
	ds_load_u8 v49, v1 offset:4864
	s_waitcnt lgkmcnt(0)
	v_lshrrev_b32_e32 v49, s60, v49
	s_delay_alu instid0(VALU_DEP_1)
	v_and_b32_e32 v104, s68, v49
	s_or_b32 exec_lo, exec_lo, s2
                                        ; implicit-def: $vgpr103
	s_and_saveexec_b32 s2, s37
	s_cbranch_execz .LBB15_184
.LBB15_317:
	ds_load_u8 v49, v1 offset:5120
	s_waitcnt lgkmcnt(0)
	v_lshrrev_b32_e32 v49, s60, v49
	s_delay_alu instid0(VALU_DEP_1)
	v_and_b32_e32 v103, s68, v49
	s_or_b32 exec_lo, exec_lo, s2
                                        ; implicit-def: $vgpr102
	s_and_saveexec_b32 s2, s38
	s_cbranch_execz .LBB15_185
.LBB15_318:
	ds_load_u8 v49, v1 offset:5376
	s_waitcnt lgkmcnt(0)
	v_lshrrev_b32_e32 v49, s60, v49
	s_delay_alu instid0(VALU_DEP_1)
	v_and_b32_e32 v102, s68, v49
	s_or_b32 exec_lo, exec_lo, s2
                                        ; implicit-def: $vgpr101
	s_and_saveexec_b32 s2, s39
	s_cbranch_execz .LBB15_186
.LBB15_319:
	ds_load_u8 v49, v1 offset:5632
	s_waitcnt lgkmcnt(0)
	v_lshrrev_b32_e32 v49, s60, v49
	s_delay_alu instid0(VALU_DEP_1)
	v_and_b32_e32 v101, s68, v49
	s_or_b32 exec_lo, exec_lo, s2
                                        ; implicit-def: $vgpr100
	s_and_saveexec_b32 s2, s40
	s_cbranch_execz .LBB15_187
.LBB15_320:
	ds_load_u8 v49, v1 offset:5888
	s_waitcnt lgkmcnt(0)
	v_lshrrev_b32_e32 v49, s60, v49
	s_delay_alu instid0(VALU_DEP_1)
	v_and_b32_e32 v100, s68, v49
	s_or_b32 exec_lo, exec_lo, s2
                                        ; implicit-def: $vgpr99
	s_and_saveexec_b32 s2, s41
	s_cbranch_execz .LBB15_188
.LBB15_321:
	ds_load_u8 v49, v1 offset:6144
	s_waitcnt lgkmcnt(0)
	v_lshrrev_b32_e32 v49, s60, v49
	s_delay_alu instid0(VALU_DEP_1)
	v_and_b32_e32 v99, s68, v49
	s_or_b32 exec_lo, exec_lo, s2
                                        ; implicit-def: $vgpr98
	s_and_saveexec_b32 s2, s42
	s_cbranch_execz .LBB15_189
.LBB15_322:
	ds_load_u8 v49, v1 offset:6400
	s_waitcnt lgkmcnt(0)
	v_lshrrev_b32_e32 v49, s60, v49
	s_delay_alu instid0(VALU_DEP_1)
	v_and_b32_e32 v98, s68, v49
	s_or_b32 exec_lo, exec_lo, s2
                                        ; implicit-def: $vgpr97
	s_and_saveexec_b32 s2, s43
	s_cbranch_execz .LBB15_190
.LBB15_323:
	ds_load_u8 v49, v1 offset:6656
	s_waitcnt lgkmcnt(0)
	v_lshrrev_b32_e32 v49, s60, v49
	s_delay_alu instid0(VALU_DEP_1)
	v_and_b32_e32 v97, s68, v49
	s_or_b32 exec_lo, exec_lo, s2
                                        ; implicit-def: $vgpr96
	s_and_saveexec_b32 s2, s44
	s_cbranch_execz .LBB15_191
.LBB15_324:
	ds_load_u8 v49, v1 offset:6912
	s_waitcnt lgkmcnt(0)
	v_lshrrev_b32_e32 v49, s60, v49
	s_delay_alu instid0(VALU_DEP_1)
	v_and_b32_e32 v96, s68, v49
	s_or_b32 exec_lo, exec_lo, s2
                                        ; implicit-def: $vgpr50
	s_and_saveexec_b32 s2, s45
	s_cbranch_execz .LBB15_192
.LBB15_325:
	ds_load_u8 v49, v1 offset:7168
	s_waitcnt lgkmcnt(0)
	v_lshrrev_b32_e32 v49, s60, v49
	s_delay_alu instid0(VALU_DEP_1)
	v_and_b32_e32 v50, s68, v49
	s_or_b32 exec_lo, exec_lo, s2
                                        ; implicit-def: $vgpr49
	s_and_saveexec_b32 s2, s46
	s_cbranch_execnz .LBB15_193
	s_branch .LBB15_194
.LBB15_326:
	v_lshlrev_b32_e32 v5, 3, v115
	ds_load_b64 v[5:6], v5
	ds_load_b64 v[7:8], v53 offset:2048
	s_waitcnt lgkmcnt(1)
	v_lshlrev_b64 v[5:6], 3, v[5:6]
	s_delay_alu instid0(VALU_DEP_1) | instskip(NEXT) | instid1(VALU_DEP_2)
	v_add_co_u32 v5, vcc_lo, s54, v5
	v_add_co_ci_u32_e32 v6, vcc_lo, s55, v6, vcc_lo
	s_delay_alu instid0(VALU_DEP_2) | instskip(NEXT) | instid1(VALU_DEP_2)
	v_add_co_u32 v5, vcc_lo, v5, v53
	v_add_co_ci_u32_e32 v6, vcc_lo, 0, v6, vcc_lo
	s_waitcnt lgkmcnt(0)
	global_store_b64 v[5:6], v[7:8], off
	s_or_b32 exec_lo, exec_lo, s2
	s_and_saveexec_b32 s2, s25
	s_cbranch_execz .LBB15_196
.LBB15_327:
	v_lshlrev_b32_e32 v5, 3, v114
	v_lshlrev_b32_e32 v9, 3, v1
	ds_load_b64 v[5:6], v5
	ds_load_b64 v[7:8], v9 offset:4096
	s_waitcnt lgkmcnt(1)
	v_lshlrev_b64 v[5:6], 3, v[5:6]
	s_delay_alu instid0(VALU_DEP_1) | instskip(NEXT) | instid1(VALU_DEP_2)
	v_add_co_u32 v5, vcc_lo, s54, v5
	v_add_co_ci_u32_e32 v6, vcc_lo, s55, v6, vcc_lo
	s_delay_alu instid0(VALU_DEP_2) | instskip(NEXT) | instid1(VALU_DEP_2)
	v_add_co_u32 v5, vcc_lo, v5, v9
	v_add_co_ci_u32_e32 v6, vcc_lo, 0, v6, vcc_lo
	s_waitcnt lgkmcnt(0)
	global_store_b64 v[5:6], v[7:8], off offset:2048
	s_or_b32 exec_lo, exec_lo, s2
	s_and_saveexec_b32 s2, s26
	s_cbranch_execz .LBB15_197
.LBB15_328:
	v_lshlrev_b32_e32 v5, 3, v113
	v_lshlrev_b32_e32 v7, 3, v1
	;; [unrolled: 1-line block ×3, first 2 shown]
	ds_load_b64 v[5:6], v5
	ds_load_b64 v[7:8], v7 offset:6144
	s_waitcnt lgkmcnt(1)
	v_lshlrev_b64 v[5:6], 3, v[5:6]
	s_delay_alu instid0(VALU_DEP_1) | instskip(NEXT) | instid1(VALU_DEP_2)
	v_add_co_u32 v5, vcc_lo, s54, v5
	v_add_co_ci_u32_e32 v6, vcc_lo, s55, v6, vcc_lo
	s_delay_alu instid0(VALU_DEP_2) | instskip(NEXT) | instid1(VALU_DEP_2)
	v_add_co_u32 v5, vcc_lo, v5, v9
	v_add_co_ci_u32_e32 v6, vcc_lo, 0, v6, vcc_lo
	s_waitcnt lgkmcnt(0)
	global_store_b64 v[5:6], v[7:8], off
	s_or_b32 exec_lo, exec_lo, s2
	s_and_saveexec_b32 s2, s27
	s_cbranch_execz .LBB15_198
.LBB15_329:
	v_lshlrev_b32_e32 v5, 3, v112
	v_lshlrev_b32_e32 v7, 3, v1
	;; [unrolled: 1-line block ×3, first 2 shown]
	ds_load_b64 v[5:6], v5
	ds_load_b64 v[7:8], v7 offset:8192
	s_waitcnt lgkmcnt(1)
	v_lshlrev_b64 v[5:6], 3, v[5:6]
	s_delay_alu instid0(VALU_DEP_1) | instskip(NEXT) | instid1(VALU_DEP_2)
	v_add_co_u32 v5, vcc_lo, s54, v5
	v_add_co_ci_u32_e32 v6, vcc_lo, s55, v6, vcc_lo
	s_delay_alu instid0(VALU_DEP_2) | instskip(NEXT) | instid1(VALU_DEP_2)
	v_add_co_u32 v5, vcc_lo, v5, v9
	v_add_co_ci_u32_e32 v6, vcc_lo, 0, v6, vcc_lo
	s_waitcnt lgkmcnt(0)
	global_store_b64 v[5:6], v[7:8], off
	s_or_b32 exec_lo, exec_lo, s2
	s_and_saveexec_b32 s2, s28
	s_cbranch_execz .LBB15_199
.LBB15_330:
	v_lshlrev_b32_e32 v5, 3, v111
	v_lshlrev_b32_e32 v7, 3, v1
	;; [unrolled: 1-line block ×3, first 2 shown]
	ds_load_b64 v[5:6], v5
	ds_load_b64 v[7:8], v7 offset:10240
	s_waitcnt lgkmcnt(1)
	v_lshlrev_b64 v[5:6], 3, v[5:6]
	s_delay_alu instid0(VALU_DEP_1) | instskip(NEXT) | instid1(VALU_DEP_2)
	v_add_co_u32 v5, vcc_lo, s54, v5
	v_add_co_ci_u32_e32 v6, vcc_lo, s55, v6, vcc_lo
	s_delay_alu instid0(VALU_DEP_2) | instskip(NEXT) | instid1(VALU_DEP_2)
	v_add_co_u32 v5, vcc_lo, v5, v9
	v_add_co_ci_u32_e32 v6, vcc_lo, 0, v6, vcc_lo
	s_waitcnt lgkmcnt(0)
	global_store_b64 v[5:6], v[7:8], off
	s_or_b32 exec_lo, exec_lo, s2
	s_and_saveexec_b32 s2, s29
	s_cbranch_execz .LBB15_200
.LBB15_331:
	v_lshlrev_b32_e32 v5, 3, v110
	v_lshlrev_b32_e32 v7, 3, v1
	;; [unrolled: 1-line block ×3, first 2 shown]
	ds_load_b64 v[5:6], v5
	ds_load_b64 v[7:8], v7 offset:12288
	s_waitcnt lgkmcnt(1)
	v_lshlrev_b64 v[5:6], 3, v[5:6]
	s_delay_alu instid0(VALU_DEP_1) | instskip(NEXT) | instid1(VALU_DEP_2)
	v_add_co_u32 v5, vcc_lo, s54, v5
	v_add_co_ci_u32_e32 v6, vcc_lo, s55, v6, vcc_lo
	s_delay_alu instid0(VALU_DEP_2) | instskip(NEXT) | instid1(VALU_DEP_2)
	v_add_co_u32 v5, vcc_lo, v5, v9
	v_add_co_ci_u32_e32 v6, vcc_lo, 0, v6, vcc_lo
	s_waitcnt lgkmcnt(0)
	global_store_b64 v[5:6], v[7:8], off
	s_or_b32 exec_lo, exec_lo, s2
	s_and_saveexec_b32 s2, s30
	s_cbranch_execz .LBB15_201
.LBB15_332:
	v_lshlrev_b32_e32 v5, 3, v109
	v_lshlrev_b32_e32 v7, 3, v1
	v_lshlrev_b32_e32 v9, 3, v80
	ds_load_b64 v[5:6], v5
	ds_load_b64 v[7:8], v7 offset:14336
	s_waitcnt lgkmcnt(1)
	v_lshlrev_b64 v[5:6], 3, v[5:6]
	s_delay_alu instid0(VALU_DEP_1) | instskip(NEXT) | instid1(VALU_DEP_2)
	v_add_co_u32 v5, vcc_lo, s54, v5
	v_add_co_ci_u32_e32 v6, vcc_lo, s55, v6, vcc_lo
	s_delay_alu instid0(VALU_DEP_2) | instskip(NEXT) | instid1(VALU_DEP_2)
	v_add_co_u32 v5, vcc_lo, v5, v9
	v_add_co_ci_u32_e32 v6, vcc_lo, 0, v6, vcc_lo
	s_waitcnt lgkmcnt(0)
	global_store_b64 v[5:6], v[7:8], off
	s_or_b32 exec_lo, exec_lo, s2
	s_and_saveexec_b32 s2, s31
	s_cbranch_execz .LBB15_202
.LBB15_333:
	v_lshlrev_b32_e32 v5, 3, v108
	v_lshlrev_b32_e32 v7, 3, v1
	;; [unrolled: 1-line block ×3, first 2 shown]
	ds_load_b64 v[5:6], v5
	ds_load_b64 v[7:8], v7 offset:16384
	s_waitcnt lgkmcnt(1)
	v_lshlrev_b64 v[5:6], 3, v[5:6]
	s_delay_alu instid0(VALU_DEP_1) | instskip(NEXT) | instid1(VALU_DEP_2)
	v_add_co_u32 v5, vcc_lo, s54, v5
	v_add_co_ci_u32_e32 v6, vcc_lo, s55, v6, vcc_lo
	s_delay_alu instid0(VALU_DEP_2) | instskip(NEXT) | instid1(VALU_DEP_2)
	v_add_co_u32 v5, vcc_lo, v5, v9
	v_add_co_ci_u32_e32 v6, vcc_lo, 0, v6, vcc_lo
	s_waitcnt lgkmcnt(0)
	global_store_b64 v[5:6], v[7:8], off
	s_or_b32 exec_lo, exec_lo, s2
	s_and_saveexec_b32 s2, s33
	s_cbranch_execz .LBB15_203
.LBB15_334:
	v_lshlrev_b32_e32 v5, 3, v107
	v_lshlrev_b32_e32 v7, 3, v1
	;; [unrolled: 1-line block ×3, first 2 shown]
	ds_load_b64 v[5:6], v5
	ds_load_b64 v[7:8], v7 offset:18432
	s_waitcnt lgkmcnt(1)
	v_lshlrev_b64 v[5:6], 3, v[5:6]
	s_delay_alu instid0(VALU_DEP_1) | instskip(NEXT) | instid1(VALU_DEP_2)
	v_add_co_u32 v5, vcc_lo, s54, v5
	v_add_co_ci_u32_e32 v6, vcc_lo, s55, v6, vcc_lo
	s_delay_alu instid0(VALU_DEP_2) | instskip(NEXT) | instid1(VALU_DEP_2)
	v_add_co_u32 v5, vcc_lo, v5, v9
	v_add_co_ci_u32_e32 v6, vcc_lo, 0, v6, vcc_lo
	s_waitcnt lgkmcnt(0)
	global_store_b64 v[5:6], v[7:8], off
	s_or_b32 exec_lo, exec_lo, s2
	s_and_saveexec_b32 s2, s34
	s_cbranch_execz .LBB15_204
.LBB15_335:
	v_lshlrev_b32_e32 v5, 3, v106
	v_lshlrev_b32_e32 v7, 3, v1
	;; [unrolled: 1-line block ×3, first 2 shown]
	ds_load_b64 v[5:6], v5
	ds_load_b64 v[7:8], v7 offset:20480
	s_waitcnt lgkmcnt(1)
	v_lshlrev_b64 v[5:6], 3, v[5:6]
	s_delay_alu instid0(VALU_DEP_1) | instskip(NEXT) | instid1(VALU_DEP_2)
	v_add_co_u32 v5, vcc_lo, s54, v5
	v_add_co_ci_u32_e32 v6, vcc_lo, s55, v6, vcc_lo
	s_delay_alu instid0(VALU_DEP_2) | instskip(NEXT) | instid1(VALU_DEP_2)
	v_add_co_u32 v5, vcc_lo, v5, v9
	v_add_co_ci_u32_e32 v6, vcc_lo, 0, v6, vcc_lo
	s_waitcnt lgkmcnt(0)
	global_store_b64 v[5:6], v[7:8], off
	s_or_b32 exec_lo, exec_lo, s2
	s_and_saveexec_b32 s2, s35
	s_cbranch_execz .LBB15_205
.LBB15_336:
	v_lshlrev_b32_e32 v5, 3, v105
	v_lshlrev_b32_e32 v7, 3, v1
	;; [unrolled: 1-line block ×3, first 2 shown]
	ds_load_b64 v[5:6], v5
	ds_load_b64 v[7:8], v7 offset:22528
	s_waitcnt lgkmcnt(1)
	v_lshlrev_b64 v[5:6], 3, v[5:6]
	s_delay_alu instid0(VALU_DEP_1) | instskip(NEXT) | instid1(VALU_DEP_2)
	v_add_co_u32 v5, vcc_lo, s54, v5
	v_add_co_ci_u32_e32 v6, vcc_lo, s55, v6, vcc_lo
	s_delay_alu instid0(VALU_DEP_2) | instskip(NEXT) | instid1(VALU_DEP_2)
	v_add_co_u32 v5, vcc_lo, v5, v9
	v_add_co_ci_u32_e32 v6, vcc_lo, 0, v6, vcc_lo
	s_waitcnt lgkmcnt(0)
	global_store_b64 v[5:6], v[7:8], off
	s_or_b32 exec_lo, exec_lo, s2
	s_and_saveexec_b32 s2, s36
	s_cbranch_execz .LBB15_206
.LBB15_337:
	v_lshlrev_b32_e32 v5, 3, v104
	v_lshlrev_b32_e32 v7, 3, v1
	;; [unrolled: 1-line block ×3, first 2 shown]
	ds_load_b64 v[5:6], v5
	ds_load_b64 v[7:8], v7 offset:24576
	s_waitcnt lgkmcnt(1)
	v_lshlrev_b64 v[5:6], 3, v[5:6]
	s_delay_alu instid0(VALU_DEP_1) | instskip(NEXT) | instid1(VALU_DEP_2)
	v_add_co_u32 v5, vcc_lo, s54, v5
	v_add_co_ci_u32_e32 v6, vcc_lo, s55, v6, vcc_lo
	s_delay_alu instid0(VALU_DEP_2) | instskip(NEXT) | instid1(VALU_DEP_2)
	v_add_co_u32 v5, vcc_lo, v5, v9
	v_add_co_ci_u32_e32 v6, vcc_lo, 0, v6, vcc_lo
	s_waitcnt lgkmcnt(0)
	global_store_b64 v[5:6], v[7:8], off
	s_or_b32 exec_lo, exec_lo, s2
	s_and_saveexec_b32 s2, s37
	s_cbranch_execz .LBB15_207
.LBB15_338:
	v_lshlrev_b32_e32 v5, 3, v103
	v_lshlrev_b32_e32 v7, 3, v1
	;; [unrolled: 1-line block ×3, first 2 shown]
	ds_load_b64 v[5:6], v5
	ds_load_b64 v[7:8], v7 offset:26624
	s_waitcnt lgkmcnt(1)
	v_lshlrev_b64 v[5:6], 3, v[5:6]
	s_delay_alu instid0(VALU_DEP_1) | instskip(NEXT) | instid1(VALU_DEP_2)
	v_add_co_u32 v5, vcc_lo, s54, v5
	v_add_co_ci_u32_e32 v6, vcc_lo, s55, v6, vcc_lo
	s_delay_alu instid0(VALU_DEP_2) | instskip(NEXT) | instid1(VALU_DEP_2)
	v_add_co_u32 v5, vcc_lo, v5, v9
	v_add_co_ci_u32_e32 v6, vcc_lo, 0, v6, vcc_lo
	s_waitcnt lgkmcnt(0)
	global_store_b64 v[5:6], v[7:8], off
	s_or_b32 exec_lo, exec_lo, s2
	s_and_saveexec_b32 s2, s38
	s_cbranch_execz .LBB15_208
.LBB15_339:
	v_lshlrev_b32_e32 v5, 3, v102
	v_lshlrev_b32_e32 v7, 3, v1
	;; [unrolled: 1-line block ×3, first 2 shown]
	ds_load_b64 v[5:6], v5
	ds_load_b64 v[7:8], v7 offset:28672
	s_waitcnt lgkmcnt(1)
	v_lshlrev_b64 v[5:6], 3, v[5:6]
	s_delay_alu instid0(VALU_DEP_1) | instskip(NEXT) | instid1(VALU_DEP_2)
	v_add_co_u32 v5, vcc_lo, s54, v5
	v_add_co_ci_u32_e32 v6, vcc_lo, s55, v6, vcc_lo
	s_delay_alu instid0(VALU_DEP_2) | instskip(NEXT) | instid1(VALU_DEP_2)
	v_add_co_u32 v5, vcc_lo, v5, v9
	v_add_co_ci_u32_e32 v6, vcc_lo, 0, v6, vcc_lo
	s_waitcnt lgkmcnt(0)
	global_store_b64 v[5:6], v[7:8], off
	s_or_b32 exec_lo, exec_lo, s2
	s_and_saveexec_b32 s2, s39
	s_cbranch_execz .LBB15_209
.LBB15_340:
	v_lshlrev_b32_e32 v5, 3, v101
	v_lshlrev_b32_e32 v7, 3, v1
	;; [unrolled: 1-line block ×3, first 2 shown]
	ds_load_b64 v[5:6], v5
	ds_load_b64 v[7:8], v7 offset:30720
	s_waitcnt lgkmcnt(1)
	v_lshlrev_b64 v[5:6], 3, v[5:6]
	s_delay_alu instid0(VALU_DEP_1) | instskip(NEXT) | instid1(VALU_DEP_2)
	v_add_co_u32 v5, vcc_lo, s54, v5
	v_add_co_ci_u32_e32 v6, vcc_lo, s55, v6, vcc_lo
	s_delay_alu instid0(VALU_DEP_2) | instskip(NEXT) | instid1(VALU_DEP_2)
	v_add_co_u32 v5, vcc_lo, v5, v9
	v_add_co_ci_u32_e32 v6, vcc_lo, 0, v6, vcc_lo
	s_waitcnt lgkmcnt(0)
	global_store_b64 v[5:6], v[7:8], off
	s_or_b32 exec_lo, exec_lo, s2
	s_and_saveexec_b32 s2, s40
	s_cbranch_execz .LBB15_210
.LBB15_341:
	v_lshlrev_b32_e32 v5, 3, v100
	v_lshlrev_b32_e32 v7, 3, v1
	;; [unrolled: 1-line block ×3, first 2 shown]
	ds_load_b64 v[5:6], v5
	ds_load_b64 v[7:8], v7 offset:32768
	s_waitcnt lgkmcnt(1)
	v_lshlrev_b64 v[5:6], 3, v[5:6]
	s_delay_alu instid0(VALU_DEP_1) | instskip(NEXT) | instid1(VALU_DEP_2)
	v_add_co_u32 v5, vcc_lo, s54, v5
	v_add_co_ci_u32_e32 v6, vcc_lo, s55, v6, vcc_lo
	s_delay_alu instid0(VALU_DEP_2) | instskip(NEXT) | instid1(VALU_DEP_2)
	v_add_co_u32 v5, vcc_lo, v5, v9
	v_add_co_ci_u32_e32 v6, vcc_lo, 0, v6, vcc_lo
	s_waitcnt lgkmcnt(0)
	global_store_b64 v[5:6], v[7:8], off
	s_or_b32 exec_lo, exec_lo, s2
	s_and_saveexec_b32 s2, s41
	s_cbranch_execz .LBB15_211
.LBB15_342:
	v_lshlrev_b32_e32 v5, 3, v99
	v_lshlrev_b32_e32 v7, 3, v1
	;; [unrolled: 1-line block ×3, first 2 shown]
	ds_load_b64 v[5:6], v5
	ds_load_b64 v[7:8], v7 offset:34816
	s_waitcnt lgkmcnt(1)
	v_lshlrev_b64 v[5:6], 3, v[5:6]
	s_delay_alu instid0(VALU_DEP_1) | instskip(NEXT) | instid1(VALU_DEP_2)
	v_add_co_u32 v5, vcc_lo, s54, v5
	v_add_co_ci_u32_e32 v6, vcc_lo, s55, v6, vcc_lo
	s_delay_alu instid0(VALU_DEP_2) | instskip(NEXT) | instid1(VALU_DEP_2)
	v_add_co_u32 v5, vcc_lo, v5, v9
	v_add_co_ci_u32_e32 v6, vcc_lo, 0, v6, vcc_lo
	s_waitcnt lgkmcnt(0)
	global_store_b64 v[5:6], v[7:8], off
	s_or_b32 exec_lo, exec_lo, s2
	s_and_saveexec_b32 s2, s42
	s_cbranch_execz .LBB15_212
.LBB15_343:
	v_lshlrev_b32_e32 v5, 3, v98
	v_lshlrev_b32_e32 v7, 3, v1
	;; [unrolled: 1-line block ×3, first 2 shown]
	ds_load_b64 v[5:6], v5
	ds_load_b64 v[7:8], v7 offset:36864
	s_waitcnt lgkmcnt(1)
	v_lshlrev_b64 v[5:6], 3, v[5:6]
	s_delay_alu instid0(VALU_DEP_1) | instskip(NEXT) | instid1(VALU_DEP_2)
	v_add_co_u32 v5, vcc_lo, s54, v5
	v_add_co_ci_u32_e32 v6, vcc_lo, s55, v6, vcc_lo
	s_delay_alu instid0(VALU_DEP_2) | instskip(NEXT) | instid1(VALU_DEP_2)
	v_add_co_u32 v5, vcc_lo, v5, v9
	v_add_co_ci_u32_e32 v6, vcc_lo, 0, v6, vcc_lo
	s_waitcnt lgkmcnt(0)
	global_store_b64 v[5:6], v[7:8], off
	s_or_b32 exec_lo, exec_lo, s2
	s_and_saveexec_b32 s2, s43
	s_cbranch_execz .LBB15_213
.LBB15_344:
	v_lshlrev_b32_e32 v5, 3, v97
	v_lshlrev_b32_e32 v7, 3, v1
	;; [unrolled: 1-line block ×3, first 2 shown]
	ds_load_b64 v[5:6], v5
	ds_load_b64 v[7:8], v7 offset:38912
	s_waitcnt lgkmcnt(1)
	v_lshlrev_b64 v[5:6], 3, v[5:6]
	s_delay_alu instid0(VALU_DEP_1) | instskip(NEXT) | instid1(VALU_DEP_2)
	v_add_co_u32 v5, vcc_lo, s54, v5
	v_add_co_ci_u32_e32 v6, vcc_lo, s55, v6, vcc_lo
	s_delay_alu instid0(VALU_DEP_2) | instskip(NEXT) | instid1(VALU_DEP_2)
	v_add_co_u32 v5, vcc_lo, v5, v9
	v_add_co_ci_u32_e32 v6, vcc_lo, 0, v6, vcc_lo
	s_waitcnt lgkmcnt(0)
	global_store_b64 v[5:6], v[7:8], off
	s_or_b32 exec_lo, exec_lo, s2
	s_and_saveexec_b32 s2, s44
	s_cbranch_execz .LBB15_214
.LBB15_345:
	v_lshlrev_b32_e32 v5, 3, v96
	v_lshlrev_b32_e32 v7, 3, v1
	;; [unrolled: 1-line block ×3, first 2 shown]
	ds_load_b64 v[5:6], v5
	ds_load_b64 v[7:8], v7 offset:40960
	s_waitcnt lgkmcnt(1)
	v_lshlrev_b64 v[5:6], 3, v[5:6]
	s_delay_alu instid0(VALU_DEP_1) | instskip(NEXT) | instid1(VALU_DEP_2)
	v_add_co_u32 v5, vcc_lo, s54, v5
	v_add_co_ci_u32_e32 v6, vcc_lo, s55, v6, vcc_lo
	s_delay_alu instid0(VALU_DEP_2) | instskip(NEXT) | instid1(VALU_DEP_2)
	v_add_co_u32 v5, vcc_lo, v5, v9
	v_add_co_ci_u32_e32 v6, vcc_lo, 0, v6, vcc_lo
	s_waitcnt lgkmcnt(0)
	global_store_b64 v[5:6], v[7:8], off
	s_or_b32 exec_lo, exec_lo, s2
	s_and_saveexec_b32 s2, s45
	s_cbranch_execz .LBB15_215
.LBB15_346:
	v_lshlrev_b32_e32 v5, 3, v50
	v_lshlrev_b32_e32 v7, 3, v1
	;; [unrolled: 1-line block ×3, first 2 shown]
	ds_load_b64 v[5:6], v5
	ds_load_b64 v[7:8], v7 offset:43008
	s_waitcnt lgkmcnt(1)
	v_lshlrev_b64 v[5:6], 3, v[5:6]
	s_delay_alu instid0(VALU_DEP_1) | instskip(NEXT) | instid1(VALU_DEP_2)
	v_add_co_u32 v5, vcc_lo, s54, v5
	v_add_co_ci_u32_e32 v6, vcc_lo, s55, v6, vcc_lo
	s_delay_alu instid0(VALU_DEP_2) | instskip(NEXT) | instid1(VALU_DEP_2)
	v_add_co_u32 v5, vcc_lo, v5, v9
	v_add_co_ci_u32_e32 v6, vcc_lo, 0, v6, vcc_lo
	s_waitcnt lgkmcnt(0)
	global_store_b64 v[5:6], v[7:8], off
	s_or_b32 exec_lo, exec_lo, s2
	s_and_saveexec_b32 s2, s46
	s_cbranch_execnz .LBB15_216
	s_branch .LBB15_217
	.section	.rodata,"a",@progbits
	.p2align	6, 0x0
	.amdhsa_kernel _ZN7rocprim17ROCPRIM_304000_NS6detail25onesweep_iteration_kernelINS1_34wrapped_radix_sort_onesweep_configINS0_14default_configEhN2at4cuda3cub6detail10OpaqueTypeILi8EEEEELb1EPhSC_PSA_SD_mNS0_19identity_decomposerEEEvT1_T2_T3_T4_jPT5_SK_PNS1_23onesweep_lookback_stateET6_jjj
		.amdhsa_group_segment_fixed_size 47104
		.amdhsa_private_segment_fixed_size 0
		.amdhsa_kernarg_size 336
		.amdhsa_user_sgpr_count 15
		.amdhsa_user_sgpr_dispatch_ptr 0
		.amdhsa_user_sgpr_queue_ptr 0
		.amdhsa_user_sgpr_kernarg_segment_ptr 1
		.amdhsa_user_sgpr_dispatch_id 0
		.amdhsa_user_sgpr_private_segment_size 0
		.amdhsa_wavefront_size32 1
		.amdhsa_uses_dynamic_stack 0
		.amdhsa_enable_private_segment 0
		.amdhsa_system_sgpr_workgroup_id_x 1
		.amdhsa_system_sgpr_workgroup_id_y 0
		.amdhsa_system_sgpr_workgroup_id_z 0
		.amdhsa_system_sgpr_workgroup_info 0
		.amdhsa_system_vgpr_workitem_id 2
		.amdhsa_next_free_vgpr 128
		.amdhsa_next_free_sgpr 72
		.amdhsa_reserve_vcc 1
		.amdhsa_float_round_mode_32 0
		.amdhsa_float_round_mode_16_64 0
		.amdhsa_float_denorm_mode_32 3
		.amdhsa_float_denorm_mode_16_64 3
		.amdhsa_dx10_clamp 1
		.amdhsa_ieee_mode 1
		.amdhsa_fp16_overflow 0
		.amdhsa_workgroup_processor_mode 1
		.amdhsa_memory_ordered 1
		.amdhsa_forward_progress 0
		.amdhsa_shared_vgpr_count 0
		.amdhsa_exception_fp_ieee_invalid_op 0
		.amdhsa_exception_fp_denorm_src 0
		.amdhsa_exception_fp_ieee_div_zero 0
		.amdhsa_exception_fp_ieee_overflow 0
		.amdhsa_exception_fp_ieee_underflow 0
		.amdhsa_exception_fp_ieee_inexact 0
		.amdhsa_exception_int_div_zero 0
	.end_amdhsa_kernel
	.section	.text._ZN7rocprim17ROCPRIM_304000_NS6detail25onesweep_iteration_kernelINS1_34wrapped_radix_sort_onesweep_configINS0_14default_configEhN2at4cuda3cub6detail10OpaqueTypeILi8EEEEELb1EPhSC_PSA_SD_mNS0_19identity_decomposerEEEvT1_T2_T3_T4_jPT5_SK_PNS1_23onesweep_lookback_stateET6_jjj,"axG",@progbits,_ZN7rocprim17ROCPRIM_304000_NS6detail25onesweep_iteration_kernelINS1_34wrapped_radix_sort_onesweep_configINS0_14default_configEhN2at4cuda3cub6detail10OpaqueTypeILi8EEEEELb1EPhSC_PSA_SD_mNS0_19identity_decomposerEEEvT1_T2_T3_T4_jPT5_SK_PNS1_23onesweep_lookback_stateET6_jjj,comdat
.Lfunc_end15:
	.size	_ZN7rocprim17ROCPRIM_304000_NS6detail25onesweep_iteration_kernelINS1_34wrapped_radix_sort_onesweep_configINS0_14default_configEhN2at4cuda3cub6detail10OpaqueTypeILi8EEEEELb1EPhSC_PSA_SD_mNS0_19identity_decomposerEEEvT1_T2_T3_T4_jPT5_SK_PNS1_23onesweep_lookback_stateET6_jjj, .Lfunc_end15-_ZN7rocprim17ROCPRIM_304000_NS6detail25onesweep_iteration_kernelINS1_34wrapped_radix_sort_onesweep_configINS0_14default_configEhN2at4cuda3cub6detail10OpaqueTypeILi8EEEEELb1EPhSC_PSA_SD_mNS0_19identity_decomposerEEEvT1_T2_T3_T4_jPT5_SK_PNS1_23onesweep_lookback_stateET6_jjj
                                        ; -- End function
	.section	.AMDGPU.csdata,"",@progbits
; Kernel info:
; codeLenInByte = 31724
; NumSgprs: 74
; NumVgprs: 128
; ScratchSize: 0
; MemoryBound: 0
; FloatMode: 240
; IeeeMode: 1
; LDSByteSize: 47104 bytes/workgroup (compile time only)
; SGPRBlocks: 9
; VGPRBlocks: 15
; NumSGPRsForWavesPerEU: 74
; NumVGPRsForWavesPerEU: 128
; Occupancy: 4
; WaveLimiterHint : 1
; COMPUTE_PGM_RSRC2:SCRATCH_EN: 0
; COMPUTE_PGM_RSRC2:USER_SGPR: 15
; COMPUTE_PGM_RSRC2:TRAP_HANDLER: 0
; COMPUTE_PGM_RSRC2:TGID_X_EN: 1
; COMPUTE_PGM_RSRC2:TGID_Y_EN: 0
; COMPUTE_PGM_RSRC2:TGID_Z_EN: 0
; COMPUTE_PGM_RSRC2:TIDIG_COMP_CNT: 2
	.section	.text._ZN7rocprim17ROCPRIM_304000_NS6detail28radix_sort_block_sort_kernelINS1_36wrapped_radix_sort_block_sort_configINS0_13kernel_configILj256ELj4ELj4294967295EEEhN2at4cuda3cub6detail10OpaqueTypeILi8EEEEELb0EPKhPhPKSB_PSB_NS0_19identity_decomposerEEEvT1_T2_T3_T4_jT5_jj,"axG",@progbits,_ZN7rocprim17ROCPRIM_304000_NS6detail28radix_sort_block_sort_kernelINS1_36wrapped_radix_sort_block_sort_configINS0_13kernel_configILj256ELj4ELj4294967295EEEhN2at4cuda3cub6detail10OpaqueTypeILi8EEEEELb0EPKhPhPKSB_PSB_NS0_19identity_decomposerEEEvT1_T2_T3_T4_jT5_jj,comdat
	.protected	_ZN7rocprim17ROCPRIM_304000_NS6detail28radix_sort_block_sort_kernelINS1_36wrapped_radix_sort_block_sort_configINS0_13kernel_configILj256ELj4ELj4294967295EEEhN2at4cuda3cub6detail10OpaqueTypeILi8EEEEELb0EPKhPhPKSB_PSB_NS0_19identity_decomposerEEEvT1_T2_T3_T4_jT5_jj ; -- Begin function _ZN7rocprim17ROCPRIM_304000_NS6detail28radix_sort_block_sort_kernelINS1_36wrapped_radix_sort_block_sort_configINS0_13kernel_configILj256ELj4ELj4294967295EEEhN2at4cuda3cub6detail10OpaqueTypeILi8EEEEELb0EPKhPhPKSB_PSB_NS0_19identity_decomposerEEEvT1_T2_T3_T4_jT5_jj
	.globl	_ZN7rocprim17ROCPRIM_304000_NS6detail28radix_sort_block_sort_kernelINS1_36wrapped_radix_sort_block_sort_configINS0_13kernel_configILj256ELj4ELj4294967295EEEhN2at4cuda3cub6detail10OpaqueTypeILi8EEEEELb0EPKhPhPKSB_PSB_NS0_19identity_decomposerEEEvT1_T2_T3_T4_jT5_jj
	.p2align	8
	.type	_ZN7rocprim17ROCPRIM_304000_NS6detail28radix_sort_block_sort_kernelINS1_36wrapped_radix_sort_block_sort_configINS0_13kernel_configILj256ELj4ELj4294967295EEEhN2at4cuda3cub6detail10OpaqueTypeILi8EEEEELb0EPKhPhPKSB_PSB_NS0_19identity_decomposerEEEvT1_T2_T3_T4_jT5_jj,@function
_ZN7rocprim17ROCPRIM_304000_NS6detail28radix_sort_block_sort_kernelINS1_36wrapped_radix_sort_block_sort_configINS0_13kernel_configILj256ELj4ELj4294967295EEEhN2at4cuda3cub6detail10OpaqueTypeILi8EEEEELb0EPKhPhPKSB_PSB_NS0_19identity_decomposerEEEvT1_T2_T3_T4_jT5_jj: ; @_ZN7rocprim17ROCPRIM_304000_NS6detail28radix_sort_block_sort_kernelINS1_36wrapped_radix_sort_block_sort_configINS0_13kernel_configILj256ELj4ELj4294967295EEEhN2at4cuda3cub6detail10OpaqueTypeILi8EEEEELb0EPKhPhPKSB_PSB_NS0_19identity_decomposerEEEvT1_T2_T3_T4_jT5_jj
; %bb.0:
	s_clause 0x1
	s_load_b32 s2, s[0:1], 0x20
	s_load_b256 s[16:23], s[0:1], 0x0
	v_and_b32_e32 v8, 0x3ff, v0
	v_mbcnt_lo_u32_b32 v7, -1, 0
	s_lshl_b32 s24, s15, 10
	s_mov_b32 s25, 0
	s_delay_alu instid0(VALU_DEP_2) | instskip(NEXT) | instid1(VALU_DEP_2)
	v_lshlrev_b32_e32 v1, 2, v8
	v_lshlrev_b32_e32 v12, 3, v7
	s_delay_alu instid0(VALU_DEP_2) | instskip(NEXT) | instid1(VALU_DEP_1)
	v_and_b32_e32 v14, 0x380, v1
	v_lshlrev_b32_e32 v13, 3, v14
	v_add_nc_u32_e32 v11, v7, v14
	s_waitcnt lgkmcnt(0)
	s_lshr_b32 s3, s2, 10
	s_delay_alu instid0(SALU_CYCLE_1) | instskip(SKIP_4) | instid1(VALU_DEP_1)
	s_cmp_lg_u32 s15, s3
	s_cselect_b32 s26, -1, 0
	s_add_u32 s4, s16, s24
	s_addc_u32 s5, s17, 0
	v_add_co_u32 v1, s4, s4, v7
	v_add_co_ci_u32_e64 v2, null, s5, 0, s4
	s_cmp_eq_u32 s15, s3
	s_delay_alu instid0(VALU_DEP_2) | instskip(NEXT) | instid1(VALU_DEP_2)
	v_add_co_u32 v9, vcc_lo, v1, v14
	v_add_co_ci_u32_e32 v10, vcc_lo, 0, v2, vcc_lo
	s_mov_b32 s3, -1
	s_cbranch_scc1 .LBB16_2
; %bb.1:
	s_lshl_b64 s[4:5], s[24:25], 3
	v_add_nc_u32_e32 v32, v7, v14
	s_add_u32 s3, s20, s4
	s_addc_u32 s4, s21, s5
	v_add_co_u32 v1, s3, s3, v12
	s_delay_alu instid0(VALU_DEP_1) | instskip(SKIP_1) | instid1(VALU_DEP_3)
	v_add_co_ci_u32_e64 v2, null, s4, 0, s3
	v_add_nc_u32_e32 v29, 32, v32
	v_add_co_u32 v15, vcc_lo, v1, v13
	s_delay_alu instid0(VALU_DEP_3)
	v_add_co_ci_u32_e32 v16, vcc_lo, 0, v2, vcc_lo
	s_clause 0x3
	global_load_u8 v27, v[9:10], off offset:96
	global_load_u8 v28, v[9:10], off offset:64
	;; [unrolled: 1-line block ×3, first 2 shown]
	global_load_u8 v25, v[9:10], off
	s_clause 0x3
	global_load_b64 v[1:2], v[15:16], off
	global_load_b64 v[3:4], v[15:16], off offset:256
	global_load_b64 v[5:6], v[15:16], off offset:512
	global_load_b64 v[21:22], v[15:16], off offset:768
	v_add_nc_u32_e32 v30, 64, v32
	v_add_nc_u32_e32 v31, 0x60, v32
	s_mov_b32 s3, s25
	s_delay_alu instid0(SALU_CYCLE_1)
	s_and_not1_b32 vcc_lo, exec_lo, s3
	s_sub_i32 s16, s2, s24
	s_cbranch_vccz .LBB16_3
	s_branch .LBB16_17
.LBB16_2:
                                        ; implicit-def: $vgpr25
                                        ; implicit-def: $vgpr26
                                        ; implicit-def: $vgpr28
                                        ; implicit-def: $vgpr27
                                        ; implicit-def: $vgpr1_vgpr2
                                        ; implicit-def: $vgpr3_vgpr4
                                        ; implicit-def: $vgpr5_vgpr6
                                        ; implicit-def: $vgpr21_vgpr22
                                        ; implicit-def: $vgpr32
                                        ; implicit-def: $vgpr29
                                        ; implicit-def: $vgpr30
                                        ; implicit-def: $vgpr31
	s_and_not1_b32 vcc_lo, exec_lo, s3
	s_sub_i32 s16, s2, s24
	s_cbranch_vccnz .LBB16_17
.LBB16_3:
	v_cmp_gt_u32_e32 vcc_lo, s16, v11
	s_waitcnt vmcnt(4)
	v_dual_mov_b32 v25, 0xff :: v_dual_mov_b32 v26, 0xff
	v_dual_mov_b32 v27, 0xff :: v_dual_mov_b32 v28, 0xff
	s_and_saveexec_b32 s2, vcc_lo
	s_cbranch_execz .LBB16_5
; %bb.4:
	global_load_u8 v25, v[9:10], off
	v_dual_mov_b32 v26, 0xff :: v_dual_mov_b32 v27, 0xff
	v_mov_b32_e32 v28, 0xff
.LBB16_5:
	s_or_b32 exec_lo, exec_lo, s2
	v_add_nc_u32_e32 v29, 32, v11
	s_delay_alu instid0(VALU_DEP_1) | instskip(NEXT) | instid1(VALU_DEP_1)
	v_cmp_gt_u32_e64 s2, s16, v29
	s_and_saveexec_b32 s3, s2
	s_cbranch_execz .LBB16_7
; %bb.6:
	global_load_u8 v26, v[9:10], off offset:32
.LBB16_7:
	s_or_b32 exec_lo, exec_lo, s3
	v_add_nc_u32_e32 v30, 64, v11
	s_delay_alu instid0(VALU_DEP_1) | instskip(NEXT) | instid1(VALU_DEP_1)
	v_cmp_gt_u32_e64 s3, s16, v30
	s_and_saveexec_b32 s4, s3
	s_cbranch_execz .LBB16_9
; %bb.8:
	global_load_u8 v28, v[9:10], off offset:64
.LBB16_9:
	;; [unrolled: 9-line block ×3, first 2 shown]
	s_or_b32 exec_lo, exec_lo, s5
	s_lshl_b64 s[6:7], s[24:25], 3
	s_delay_alu instid0(SALU_CYCLE_1) | instskip(SKIP_3) | instid1(VALU_DEP_1)
	s_add_u32 s5, s20, s6
	s_addc_u32 s6, s21, s7
	s_waitcnt vmcnt(3)
	v_add_co_u32 v1, s5, s5, v12
	v_add_co_ci_u32_e64 v2, null, s6, 0, s5
	s_delay_alu instid0(VALU_DEP_2) | instskip(NEXT) | instid1(VALU_DEP_1)
	v_add_co_u32 v9, s5, v1, v13
	v_add_co_ci_u32_e64 v10, s5, 0, v2, s5
                                        ; implicit-def: $vgpr1_vgpr2
	s_and_saveexec_b32 s5, vcc_lo
	s_cbranch_execnz .LBB16_54
; %bb.12:
	s_or_b32 exec_lo, exec_lo, s5
                                        ; implicit-def: $vgpr3_vgpr4
	s_and_saveexec_b32 s5, s2
	s_cbranch_execnz .LBB16_55
.LBB16_13:
	s_or_b32 exec_lo, exec_lo, s5
                                        ; implicit-def: $vgpr5_vgpr6
	s_and_saveexec_b32 s2, s3
	s_cbranch_execnz .LBB16_56
.LBB16_14:
	s_or_b32 exec_lo, exec_lo, s2
                                        ; implicit-def: $vgpr21_vgpr22
	s_and_saveexec_b32 s2, s4
	s_cbranch_execz .LBB16_16
.LBB16_15:
	global_load_b64 v[21:22], v[9:10], off offset:768
.LBB16_16:
	s_or_b32 exec_lo, exec_lo, s2
	v_mov_b32_e32 v32, v11
.LBB16_17:
	s_clause 0x1
	s_load_b32 s7, s[0:1], 0x3c
	s_load_b64 s[14:15], s[0:1], 0x28
	v_bfe_u32 v9, v0, 10, 10
	v_bfe_u32 v0, v0, 20, 10
	s_mov_b32 s20, 0
	v_cmp_eq_u32_e64 s2, 0, v7
	s_mov_b32 s28, s20
	s_mov_b32 s29, s20
	v_and_b32_e32 v10, 0x3e0, v8
	s_mov_b32 s21, s20
	v_and_b32_e32 v11, 15, v7
	v_and_b32_e32 v12, 16, v7
	v_add_nc_u32_e32 v13, -1, v7
	v_min_u32_e32 v17, 0xe0, v10
	v_lshrrev_b32_e32 v14, 3, v8
	v_and_b32_e32 v16, 7, v7
	v_mul_i32_i24_e32 v15, 0xffffffe4, v8
	v_cmp_gt_u32_e64 s0, 8, v8
	v_cmp_lt_u32_e64 s1, 31, v8
	v_and_b32_e32 v35, 0x7c, v14
	s_waitcnt lgkmcnt(0)
	s_lshr_b32 s6, s7, 16
	s_and_b32 s7, s7, 0xffff
	v_mad_u32_u24 v0, v0, s6, v9
	v_mul_lo_u32 v14, v31, 7
	v_cmp_eq_u32_e64 s3, 0, v8
	v_cmp_eq_u32_e64 s10, 0, v16
	v_cmp_lt_u32_e64 s11, 1, v16
	v_mad_u64_u32 v[9:10], null, v0, s7, v[8:9]
	v_cmp_lt_u32_e64 s12, 3, v16
	v_add_nc_u32_e32 v38, -4, v35
	v_add_nc_u32_e32 v43, v31, v14
	s_add_i32 s17, s15, s14
	s_delay_alu instid0(VALU_DEP_4)
	v_lshrrev_b32_e32 v37, 5, v9
	v_mov_b32_e32 v9, s20
	v_cmp_eq_u32_e64 s8, 0, v12
	v_mov_b32_e32 v10, s21
	v_cmp_eq_u32_e64 s4, 0, v11
	v_cmp_lt_u32_e64 s5, 1, v11
	v_cmp_lt_u32_e64 s6, 3, v11
	;; [unrolled: 1-line block ×3, first 2 shown]
	v_dual_mov_b32 v11, s28 :: v_dual_mov_b32 v12, s29
	v_cmp_gt_i32_e32 vcc_lo, 0, v13
	v_dual_cndmask_b32 v0, v13, v7 :: v_dual_lshlrev_b32 v33, 5, v8
	v_or_b32_e32 v7, 31, v17
	v_mul_lo_u32 v13, v30, 7
	s_delay_alu instid0(VALU_DEP_3)
	v_add_nc_u32_e32 v34, 32, v33
	v_add_nc_u32_e32 v39, v33, v15
	v_lshlrev_b32_e32 v36, 2, v0
	v_cmp_eq_u32_e64 s9, v7, v8
	v_mul_lo_u32 v0, v32, 7
	v_mul_lo_u32 v7, v29, 7
	v_add_nc_u32_e32 v42, v30, v13
	s_delay_alu instid0(VALU_DEP_3) | instskip(NEXT) | instid1(VALU_DEP_3)
	v_add_nc_u32_e32 v40, v32, v0
	v_add_nc_u32_e32 v41, v29, v7
	s_branch .LBB16_19
.LBB16_18:                              ;   in Loop: Header=BB16_19 Depth=1
	v_mad_u64_u32 v[1:2], null, v24, 7, v[24:25]
	v_mad_u64_u32 v[2:3], null, v23, 7, v[23:24]
	;; [unrolled: 1-line block ×3, first 2 shown]
	s_barrier
	buffer_gl0_inv
	v_mad_u64_u32 v[4:5], null, v0, 7, v[0:1]
	ds_store_b8 v24, v25
	ds_store_b8 v23, v26
	;; [unrolled: 1-line block ×4, first 2 shown]
	s_waitcnt lgkmcnt(0)
	s_barrier
	buffer_gl0_inv
	ds_load_u8 v27, v31
	ds_load_u8 v28, v30
	ds_load_u8 v26, v29
	ds_load_u8 v25, v32
	s_waitcnt lgkmcnt(0)
	s_barrier
	buffer_gl0_inv
	ds_store_b64 v1, v[19:20]
	ds_store_b64 v2, v[17:18]
	;; [unrolled: 1-line block ×4, first 2 shown]
	s_waitcnt lgkmcnt(0)
	s_barrier
	buffer_gl0_inv
	ds_load_b64 v[1:2], v40
	ds_load_b64 v[3:4], v41
	;; [unrolled: 1-line block ×4, first 2 shown]
	s_add_i32 s15, s15, -8
	s_waitcnt lgkmcnt(0)
	s_barrier
	buffer_gl0_inv
	s_cbranch_execz .LBB16_35
.LBB16_19:                              ; =>This Inner Loop Header: Depth=1
	s_waitcnt vmcnt(0)
	v_and_b32_e32 v0, 0xff, v25
	s_min_u32 s13, s15, 8
	ds_store_2addr_b64 v33, v[9:10], v[11:12] offset0:4 offset1:5
	ds_store_2addr_b64 v34, v[9:10], v[11:12] offset0:2 offset1:3
	s_lshl_b32 s13, -1, s13
	s_waitcnt lgkmcnt(0)
	v_lshrrev_b32_e32 v0, s14, v0
	s_not_b32 s20, s13
	s_barrier
	buffer_gl0_inv
	v_and_b32_e32 v7, s20, v0
	; wave barrier
	s_delay_alu instid0(VALU_DEP_1)
	v_and_b32_e32 v0, 1, v7
	v_lshlrev_b32_e32 v13, 30, v7
	v_lshlrev_b32_e32 v14, 29, v7
	;; [unrolled: 1-line block ×4, first 2 shown]
	v_add_co_u32 v0, s13, v0, -1
	s_delay_alu instid0(VALU_DEP_1)
	v_cndmask_b32_e64 v16, 0, 1, s13
	v_not_b32_e32 v20, v13
	v_cmp_gt_i32_e64 s13, 0, v13
	v_not_b32_e32 v13, v14
	v_lshlrev_b32_e32 v19, 25, v7
	v_cmp_ne_u32_e32 vcc_lo, 0, v16
	v_ashrrev_i32_e32 v20, 31, v20
	s_delay_alu instid0(VALU_DEP_4)
	v_ashrrev_i32_e32 v13, 31, v13
	v_xor_b32_e32 v0, vcc_lo, v0
	v_cmp_gt_i32_e32 vcc_lo, 0, v14
	v_not_b32_e32 v14, v15
	v_xor_b32_e32 v20, s13, v20
	v_cmp_gt_i32_e64 s13, 0, v15
	v_and_b32_e32 v0, exec_lo, v0
	v_not_b32_e32 v15, v17
	v_xor_b32_e32 v13, vcc_lo, v13
	v_cmp_gt_i32_e32 vcc_lo, 0, v17
	v_ashrrev_i32_e32 v14, 31, v14
	v_and_b32_e32 v0, v0, v20
	v_ashrrev_i32_e32 v15, 31, v15
	s_delay_alu instid0(VALU_DEP_3) | instskip(NEXT) | instid1(VALU_DEP_3)
	v_xor_b32_e32 v14, s13, v14
	v_and_b32_e32 v0, v0, v13
	v_not_b32_e32 v13, v19
	s_delay_alu instid0(VALU_DEP_4)
	v_xor_b32_e32 v15, vcc_lo, v15
	v_cmp_gt_i32_e32 vcc_lo, 0, v19
	v_mov_b32_e32 v20, v2
	v_lshlrev_b32_e32 v18, 26, v7
	v_lshlrev_b32_e32 v16, 24, v7
	v_and_b32_e32 v0, v0, v14
	v_ashrrev_i32_e32 v13, 31, v13
	v_mov_b32_e32 v19, v1
	v_not_b32_e32 v17, v18
	v_cmp_gt_i32_e64 s13, 0, v18
	v_not_b32_e32 v14, v16
	v_and_b32_e32 v0, v0, v15
	v_xor_b32_e32 v13, vcc_lo, v13
	v_ashrrev_i32_e32 v17, 31, v17
	v_lshl_add_u32 v1, v7, 3, v37
	v_ashrrev_i32_e32 v14, 31, v14
	s_delay_alu instid0(VALU_DEP_3) | instskip(SKIP_2) | instid1(VALU_DEP_3)
	v_xor_b32_e32 v17, s13, v17
	v_cmp_gt_i32_e64 s13, 0, v16
	v_dual_mov_b32 v16, v6 :: v_dual_mov_b32 v15, v5
	v_and_b32_e32 v0, v0, v17
	s_delay_alu instid0(VALU_DEP_3) | instskip(SKIP_1) | instid1(VALU_DEP_3)
	v_xor_b32_e32 v14, s13, v14
	v_dual_mov_b32 v18, v4 :: v_dual_mov_b32 v17, v3
	v_and_b32_e32 v0, v0, v13
	s_delay_alu instid0(VALU_DEP_1) | instskip(SKIP_2) | instid1(VALU_DEP_3)
	v_dual_mov_b32 v13, v21 :: v_dual_and_b32 v0, v0, v14
	v_mov_b32_e32 v14, v22
	v_lshl_add_u32 v22, v1, 2, 32
	v_mbcnt_lo_u32_b32 v21, v0, 0
	v_cmp_ne_u32_e64 s13, 0, v0
	s_delay_alu instid0(VALU_DEP_2) | instskip(NEXT) | instid1(VALU_DEP_2)
	v_cmp_eq_u32_e32 vcc_lo, 0, v21
	s_and_b32 s21, s13, vcc_lo
	s_delay_alu instid0(SALU_CYCLE_1)
	s_and_saveexec_b32 s13, s21
	s_cbranch_execz .LBB16_21
; %bb.20:                               ;   in Loop: Header=BB16_19 Depth=1
	v_bcnt_u32_b32 v0, v0, 0
	ds_store_b32 v22, v0
.LBB16_21:                              ;   in Loop: Header=BB16_19 Depth=1
	s_or_b32 exec_lo, exec_lo, s13
	v_and_b32_e32 v0, 0xff, v26
	; wave barrier
	s_delay_alu instid0(VALU_DEP_1) | instskip(NEXT) | instid1(VALU_DEP_1)
	v_lshrrev_b32_e32 v0, s14, v0
	v_and_b32_e32 v0, s20, v0
	s_delay_alu instid0(VALU_DEP_1)
	v_and_b32_e32 v1, 1, v0
	v_lshlrev_b32_e32 v2, 30, v0
	v_lshlrev_b32_e32 v3, 29, v0
	;; [unrolled: 1-line block ×4, first 2 shown]
	v_add_co_u32 v1, s13, v1, -1
	s_delay_alu instid0(VALU_DEP_1)
	v_cndmask_b32_e64 v5, 0, 1, s13
	v_not_b32_e32 v24, v2
	v_cmp_gt_i32_e64 s13, 0, v2
	v_not_b32_e32 v2, v3
	v_lshlrev_b32_e32 v7, 26, v0
	v_cmp_ne_u32_e32 vcc_lo, 0, v5
	v_ashrrev_i32_e32 v24, 31, v24
	v_lshlrev_b32_e32 v23, 25, v0
	v_ashrrev_i32_e32 v2, 31, v2
	v_lshlrev_b32_e32 v5, 24, v0
	v_xor_b32_e32 v1, vcc_lo, v1
	v_cmp_gt_i32_e32 vcc_lo, 0, v3
	v_not_b32_e32 v3, v4
	v_xor_b32_e32 v24, s13, v24
	v_cmp_gt_i32_e64 s13, 0, v4
	v_and_b32_e32 v1, exec_lo, v1
	v_not_b32_e32 v4, v6
	v_ashrrev_i32_e32 v3, 31, v3
	v_xor_b32_e32 v2, vcc_lo, v2
	v_cmp_gt_i32_e32 vcc_lo, 0, v6
	v_and_b32_e32 v1, v1, v24
	v_not_b32_e32 v6, v7
	v_ashrrev_i32_e32 v4, 31, v4
	v_xor_b32_e32 v3, s13, v3
	v_cmp_gt_i32_e64 s13, 0, v7
	v_and_b32_e32 v1, v1, v2
	v_not_b32_e32 v2, v23
	v_ashrrev_i32_e32 v6, 31, v6
	v_xor_b32_e32 v4, vcc_lo, v4
	v_cmp_gt_i32_e32 vcc_lo, 0, v23
	v_and_b32_e32 v1, v1, v3
	v_not_b32_e32 v3, v5
	v_ashrrev_i32_e32 v2, 31, v2
	v_xor_b32_e32 v6, s13, v6
	v_lshlrev_b32_e32 v0, 3, v0
	v_and_b32_e32 v1, v1, v4
	v_cmp_gt_i32_e64 s13, 0, v5
	v_ashrrev_i32_e32 v3, 31, v3
	v_xor_b32_e32 v2, vcc_lo, v2
	v_add_lshl_u32 v4, v0, v37, 2
	v_and_b32_e32 v1, v1, v6
	s_delay_alu instid0(VALU_DEP_4) | instskip(SKIP_3) | instid1(VALU_DEP_2)
	v_xor_b32_e32 v0, s13, v3
	ds_load_b32 v23, v4 offset:32
	v_and_b32_e32 v1, v1, v2
	v_add_nc_u32_e32 v24, 32, v4
	; wave barrier
	v_and_b32_e32 v0, v1, v0
	s_delay_alu instid0(VALU_DEP_1) | instskip(SKIP_1) | instid1(VALU_DEP_2)
	v_mbcnt_lo_u32_b32 v44, v0, 0
	v_cmp_ne_u32_e64 s13, 0, v0
	v_cmp_eq_u32_e32 vcc_lo, 0, v44
	s_delay_alu instid0(VALU_DEP_2) | instskip(NEXT) | instid1(SALU_CYCLE_1)
	s_and_b32 s21, s13, vcc_lo
	s_and_saveexec_b32 s13, s21
	s_cbranch_execz .LBB16_23
; %bb.22:                               ;   in Loop: Header=BB16_19 Depth=1
	s_waitcnt lgkmcnt(0)
	v_bcnt_u32_b32 v0, v0, v23
	ds_store_b32 v24, v0
.LBB16_23:                              ;   in Loop: Header=BB16_19 Depth=1
	s_or_b32 exec_lo, exec_lo, s13
	v_and_b32_e32 v0, 0xff, v28
	; wave barrier
	s_delay_alu instid0(VALU_DEP_1) | instskip(NEXT) | instid1(VALU_DEP_1)
	v_lshrrev_b32_e32 v0, s14, v0
	v_and_b32_e32 v0, s20, v0
	s_delay_alu instid0(VALU_DEP_1)
	v_and_b32_e32 v1, 1, v0
	v_lshlrev_b32_e32 v2, 30, v0
	v_lshlrev_b32_e32 v3, 29, v0
	v_lshlrev_b32_e32 v4, 28, v0
	v_lshlrev_b32_e32 v6, 27, v0
	v_add_co_u32 v1, s13, v1, -1
	s_delay_alu instid0(VALU_DEP_1)
	v_cndmask_b32_e64 v5, 0, 1, s13
	v_not_b32_e32 v46, v2
	v_cmp_gt_i32_e64 s13, 0, v2
	v_not_b32_e32 v2, v3
	v_lshlrev_b32_e32 v7, 26, v0
	v_cmp_ne_u32_e32 vcc_lo, 0, v5
	v_ashrrev_i32_e32 v46, 31, v46
	v_lshlrev_b32_e32 v45, 25, v0
	v_ashrrev_i32_e32 v2, 31, v2
	v_lshlrev_b32_e32 v5, 24, v0
	v_xor_b32_e32 v1, vcc_lo, v1
	v_cmp_gt_i32_e32 vcc_lo, 0, v3
	v_not_b32_e32 v3, v4
	v_xor_b32_e32 v46, s13, v46
	v_cmp_gt_i32_e64 s13, 0, v4
	v_and_b32_e32 v1, exec_lo, v1
	v_not_b32_e32 v4, v6
	v_ashrrev_i32_e32 v3, 31, v3
	v_xor_b32_e32 v2, vcc_lo, v2
	v_cmp_gt_i32_e32 vcc_lo, 0, v6
	v_and_b32_e32 v1, v1, v46
	v_not_b32_e32 v6, v7
	v_ashrrev_i32_e32 v4, 31, v4
	v_xor_b32_e32 v3, s13, v3
	v_cmp_gt_i32_e64 s13, 0, v7
	v_and_b32_e32 v1, v1, v2
	v_not_b32_e32 v2, v45
	v_ashrrev_i32_e32 v6, 31, v6
	v_xor_b32_e32 v4, vcc_lo, v4
	v_cmp_gt_i32_e32 vcc_lo, 0, v45
	v_and_b32_e32 v1, v1, v3
	v_not_b32_e32 v3, v5
	v_ashrrev_i32_e32 v2, 31, v2
	v_xor_b32_e32 v6, s13, v6
	v_lshlrev_b32_e32 v0, 3, v0
	v_and_b32_e32 v1, v1, v4
	v_cmp_gt_i32_e64 s13, 0, v5
	v_ashrrev_i32_e32 v3, 31, v3
	v_xor_b32_e32 v2, vcc_lo, v2
	v_add_lshl_u32 v4, v0, v37, 2
	v_and_b32_e32 v1, v1, v6
	s_delay_alu instid0(VALU_DEP_4) | instskip(SKIP_3) | instid1(VALU_DEP_2)
	v_xor_b32_e32 v0, s13, v3
	ds_load_b32 v45, v4 offset:32
	v_and_b32_e32 v1, v1, v2
	v_add_nc_u32_e32 v47, 32, v4
	; wave barrier
	v_and_b32_e32 v0, v1, v0
	s_delay_alu instid0(VALU_DEP_1) | instskip(SKIP_1) | instid1(VALU_DEP_2)
	v_mbcnt_lo_u32_b32 v46, v0, 0
	v_cmp_ne_u32_e64 s13, 0, v0
	v_cmp_eq_u32_e32 vcc_lo, 0, v46
	s_delay_alu instid0(VALU_DEP_2) | instskip(NEXT) | instid1(SALU_CYCLE_1)
	s_and_b32 s21, s13, vcc_lo
	s_and_saveexec_b32 s13, s21
	s_cbranch_execz .LBB16_25
; %bb.24:                               ;   in Loop: Header=BB16_19 Depth=1
	s_waitcnt lgkmcnt(0)
	v_bcnt_u32_b32 v0, v0, v45
	ds_store_b32 v47, v0
.LBB16_25:                              ;   in Loop: Header=BB16_19 Depth=1
	s_or_b32 exec_lo, exec_lo, s13
	v_and_b32_e32 v0, 0xff, v27
	; wave barrier
	s_delay_alu instid0(VALU_DEP_1) | instskip(NEXT) | instid1(VALU_DEP_1)
	v_lshrrev_b32_e32 v0, s14, v0
	v_and_b32_e32 v0, s20, v0
	s_delay_alu instid0(VALU_DEP_1)
	v_and_b32_e32 v1, 1, v0
	v_lshlrev_b32_e32 v2, 30, v0
	v_lshlrev_b32_e32 v3, 29, v0
	;; [unrolled: 1-line block ×4, first 2 shown]
	v_add_co_u32 v1, s13, v1, -1
	s_delay_alu instid0(VALU_DEP_1)
	v_cndmask_b32_e64 v5, 0, 1, s13
	v_not_b32_e32 v49, v2
	v_cmp_gt_i32_e64 s13, 0, v2
	v_not_b32_e32 v2, v3
	v_lshlrev_b32_e32 v7, 26, v0
	v_cmp_ne_u32_e32 vcc_lo, 0, v5
	v_ashrrev_i32_e32 v49, 31, v49
	v_lshlrev_b32_e32 v48, 25, v0
	v_ashrrev_i32_e32 v2, 31, v2
	v_lshlrev_b32_e32 v5, 24, v0
	v_xor_b32_e32 v1, vcc_lo, v1
	v_cmp_gt_i32_e32 vcc_lo, 0, v3
	v_not_b32_e32 v3, v4
	v_xor_b32_e32 v49, s13, v49
	v_cmp_gt_i32_e64 s13, 0, v4
	v_and_b32_e32 v1, exec_lo, v1
	v_not_b32_e32 v4, v6
	v_ashrrev_i32_e32 v3, 31, v3
	v_xor_b32_e32 v2, vcc_lo, v2
	v_cmp_gt_i32_e32 vcc_lo, 0, v6
	v_and_b32_e32 v1, v1, v49
	v_not_b32_e32 v6, v7
	v_ashrrev_i32_e32 v4, 31, v4
	v_xor_b32_e32 v3, s13, v3
	v_cmp_gt_i32_e64 s13, 0, v7
	v_and_b32_e32 v1, v1, v2
	v_not_b32_e32 v2, v48
	v_ashrrev_i32_e32 v6, 31, v6
	v_xor_b32_e32 v4, vcc_lo, v4
	v_cmp_gt_i32_e32 vcc_lo, 0, v48
	v_and_b32_e32 v1, v1, v3
	v_not_b32_e32 v3, v5
	v_ashrrev_i32_e32 v2, 31, v2
	v_xor_b32_e32 v6, s13, v6
	v_lshlrev_b32_e32 v0, 3, v0
	v_and_b32_e32 v1, v1, v4
	v_cmp_gt_i32_e64 s13, 0, v5
	v_ashrrev_i32_e32 v3, 31, v3
	v_xor_b32_e32 v2, vcc_lo, v2
	v_add_lshl_u32 v4, v0, v37, 2
	v_and_b32_e32 v1, v1, v6
	s_delay_alu instid0(VALU_DEP_4) | instskip(SKIP_3) | instid1(VALU_DEP_2)
	v_xor_b32_e32 v0, s13, v3
	ds_load_b32 v48, v4 offset:32
	v_and_b32_e32 v1, v1, v2
	v_add_nc_u32_e32 v50, 32, v4
	; wave barrier
	v_and_b32_e32 v0, v1, v0
	s_delay_alu instid0(VALU_DEP_1) | instskip(SKIP_1) | instid1(VALU_DEP_2)
	v_mbcnt_lo_u32_b32 v49, v0, 0
	v_cmp_ne_u32_e64 s13, 0, v0
	v_cmp_eq_u32_e32 vcc_lo, 0, v49
	s_delay_alu instid0(VALU_DEP_2) | instskip(NEXT) | instid1(SALU_CYCLE_1)
	s_and_b32 s20, s13, vcc_lo
	s_and_saveexec_b32 s13, s20
	s_cbranch_execz .LBB16_27
; %bb.26:                               ;   in Loop: Header=BB16_19 Depth=1
	s_waitcnt lgkmcnt(0)
	v_bcnt_u32_b32 v0, v0, v48
	ds_store_b32 v50, v0
.LBB16_27:                              ;   in Loop: Header=BB16_19 Depth=1
	s_or_b32 exec_lo, exec_lo, s13
	; wave barrier
	s_waitcnt lgkmcnt(0)
	s_barrier
	buffer_gl0_inv
	ds_load_2addr_b64 v[4:7], v33 offset0:4 offset1:5
	ds_load_2addr_b64 v[0:3], v34 offset0:2 offset1:3
	s_waitcnt lgkmcnt(1)
	v_add_nc_u32_e32 v51, v5, v4
	s_delay_alu instid0(VALU_DEP_1) | instskip(SKIP_1) | instid1(VALU_DEP_1)
	v_add3_u32 v51, v51, v6, v7
	s_waitcnt lgkmcnt(0)
	v_add3_u32 v51, v51, v0, v1
	s_delay_alu instid0(VALU_DEP_1) | instskip(NEXT) | instid1(VALU_DEP_1)
	v_add3_u32 v3, v51, v2, v3
	v_mov_b32_dpp v51, v3 row_shr:1 row_mask:0xf bank_mask:0xf
	s_delay_alu instid0(VALU_DEP_1) | instskip(NEXT) | instid1(VALU_DEP_1)
	v_cndmask_b32_e64 v51, v51, 0, s4
	v_add_nc_u32_e32 v3, v51, v3
	s_delay_alu instid0(VALU_DEP_1) | instskip(NEXT) | instid1(VALU_DEP_1)
	v_mov_b32_dpp v51, v3 row_shr:2 row_mask:0xf bank_mask:0xf
	v_cndmask_b32_e64 v51, 0, v51, s5
	s_delay_alu instid0(VALU_DEP_1) | instskip(NEXT) | instid1(VALU_DEP_1)
	v_add_nc_u32_e32 v3, v3, v51
	v_mov_b32_dpp v51, v3 row_shr:4 row_mask:0xf bank_mask:0xf
	s_delay_alu instid0(VALU_DEP_1) | instskip(NEXT) | instid1(VALU_DEP_1)
	v_cndmask_b32_e64 v51, 0, v51, s6
	v_add_nc_u32_e32 v3, v3, v51
	s_delay_alu instid0(VALU_DEP_1) | instskip(NEXT) | instid1(VALU_DEP_1)
	v_mov_b32_dpp v51, v3 row_shr:8 row_mask:0xf bank_mask:0xf
	v_cndmask_b32_e64 v51, 0, v51, s7
	s_delay_alu instid0(VALU_DEP_1) | instskip(SKIP_3) | instid1(VALU_DEP_1)
	v_add_nc_u32_e32 v3, v3, v51
	ds_swizzle_b32 v51, v3 offset:swizzle(BROADCAST,32,15)
	s_waitcnt lgkmcnt(0)
	v_cndmask_b32_e64 v51, v51, 0, s8
	v_add_nc_u32_e32 v3, v3, v51
	s_and_saveexec_b32 s13, s9
	s_cbranch_execz .LBB16_29
; %bb.28:                               ;   in Loop: Header=BB16_19 Depth=1
	ds_store_b32 v35, v3
.LBB16_29:                              ;   in Loop: Header=BB16_19 Depth=1
	s_or_b32 exec_lo, exec_lo, s13
	s_waitcnt lgkmcnt(0)
	s_barrier
	buffer_gl0_inv
	s_and_saveexec_b32 s13, s0
	s_cbranch_execz .LBB16_31
; %bb.30:                               ;   in Loop: Header=BB16_19 Depth=1
	ds_load_b32 v51, v39
	s_waitcnt lgkmcnt(0)
	v_mov_b32_dpp v52, v51 row_shr:1 row_mask:0xf bank_mask:0xf
	s_delay_alu instid0(VALU_DEP_1) | instskip(NEXT) | instid1(VALU_DEP_1)
	v_cndmask_b32_e64 v52, v52, 0, s10
	v_add_nc_u32_e32 v51, v52, v51
	s_delay_alu instid0(VALU_DEP_1) | instskip(NEXT) | instid1(VALU_DEP_1)
	v_mov_b32_dpp v52, v51 row_shr:2 row_mask:0xf bank_mask:0xf
	v_cndmask_b32_e64 v52, 0, v52, s11
	s_delay_alu instid0(VALU_DEP_1) | instskip(NEXT) | instid1(VALU_DEP_1)
	v_add_nc_u32_e32 v51, v51, v52
	v_mov_b32_dpp v52, v51 row_shr:4 row_mask:0xf bank_mask:0xf
	s_delay_alu instid0(VALU_DEP_1) | instskip(NEXT) | instid1(VALU_DEP_1)
	v_cndmask_b32_e64 v52, 0, v52, s12
	v_add_nc_u32_e32 v51, v51, v52
	ds_store_b32 v39, v51
.LBB16_31:                              ;   in Loop: Header=BB16_19 Depth=1
	s_or_b32 exec_lo, exec_lo, s13
	v_mov_b32_e32 v51, 0
	s_waitcnt lgkmcnt(0)
	s_barrier
	buffer_gl0_inv
	s_and_saveexec_b32 s13, s1
	s_cbranch_execz .LBB16_33
; %bb.32:                               ;   in Loop: Header=BB16_19 Depth=1
	ds_load_b32 v51, v38
.LBB16_33:                              ;   in Loop: Header=BB16_19 Depth=1
	s_or_b32 exec_lo, exec_lo, s13
	s_waitcnt lgkmcnt(0)
	v_add_nc_u32_e32 v3, v51, v3
	s_add_i32 s14, s14, 8
	s_delay_alu instid0(SALU_CYCLE_1) | instskip(SKIP_3) | instid1(VALU_DEP_1)
	s_cmp_ge_u32 s14, s17
	ds_bpermute_b32 v3, v36, v3
	s_waitcnt lgkmcnt(0)
	v_cndmask_b32_e64 v3, v3, v51, s2
	v_cndmask_b32_e64 v3, v3, 0, s3
	s_delay_alu instid0(VALU_DEP_1) | instskip(NEXT) | instid1(VALU_DEP_1)
	v_add_nc_u32_e32 v4, v3, v4
	v_add_nc_u32_e32 v5, v4, v5
	s_delay_alu instid0(VALU_DEP_1) | instskip(NEXT) | instid1(VALU_DEP_1)
	v_add_nc_u32_e32 v6, v5, v6
	v_add_nc_u32_e32 v51, v6, v7
	;; [unrolled: 3-line block ×3, first 2 shown]
	s_delay_alu instid0(VALU_DEP_1)
	v_add_nc_u32_e32 v1, v0, v2
	ds_store_2addr_b64 v33, v[3:4], v[5:6] offset0:4 offset1:5
	ds_store_2addr_b64 v34, v[51:52], v[0:1] offset0:2 offset1:3
	v_mov_b32_e32 v51, v28
	s_waitcnt lgkmcnt(0)
	s_barrier
	buffer_gl0_inv
	ds_load_b32 v0, v22
	ds_load_b32 v1, v24
	;; [unrolled: 1-line block ×4, first 2 shown]
	v_dual_mov_b32 v47, v25 :: v_dual_mov_b32 v50, v26
	v_mov_b32_e32 v52, v27
	s_waitcnt lgkmcnt(0)
	v_add_nc_u32_e32 v24, v0, v21
	v_add3_u32 v23, v44, v23, v1
	v_add3_u32 v7, v46, v45, v2
	v_add3_u32 v0, v49, v48, v3
	s_cbranch_scc0 .LBB16_18
; %bb.34:
                                        ; implicit-def: $sgpr14
                                        ; implicit-def: $vgpr25
                                        ; implicit-def: $vgpr26
                                        ; implicit-def: $vgpr28
                                        ; implicit-def: $vgpr27
                                        ; implicit-def: $vgpr1_vgpr2
                                        ; implicit-def: $vgpr3_vgpr4
                                        ; implicit-def: $vgpr5_vgpr6
                                        ; implicit-def: $vgpr21_vgpr22
.LBB16_35:
	s_barrier
	buffer_gl0_inv
	ds_store_b8 v24, v47
	ds_store_b8 v23, v50
	;; [unrolled: 1-line block ×4, first 2 shown]
	s_waitcnt lgkmcnt(0)
	s_barrier
	buffer_gl0_inv
	ds_load_u8 v25, v8
	ds_load_u8 v22, v8 offset:256
	ds_load_u8 v21, v8 offset:512
	;; [unrolled: 1-line block ×3, first 2 shown]
	s_waitcnt lgkmcnt(0)
	s_barrier
	buffer_gl0_inv
	s_add_u32 s0, s18, s24
	s_addc_u32 s1, s19, 0
	v_add_co_u32 v9, s0, s0, v8
	s_delay_alu instid0(VALU_DEP_1)
	v_add_co_ci_u32_e64 v10, null, s1, 0, s0
	v_lshlrev_b32_e32 v11, 3, v8
	s_mov_b32 s2, 0
	s_and_not1_b32 vcc_lo, exec_lo, s26
	s_mov_b32 s0, -1
	v_mad_u64_u32 v[1:2], null, v24, 7, v[24:25]
	v_mad_u64_u32 v[2:3], null, v23, 7, v[23:24]
	v_mad_u64_u32 v[3:4], null, v7, 7, v[7:8]
	ds_store_b64 v1, v[19:20]
	ds_store_b64 v2, v[17:18]
	;; [unrolled: 1-line block ×3, first 2 shown]
	v_mad_u64_u32 v[4:5], null, v0, 7, v[0:1]
	v_mad_u32_u24 v0, v8, 7, v8
	ds_store_b64 v4, v[13:14]
	s_waitcnt lgkmcnt(0)
	s_barrier
	buffer_gl0_inv
	ds_load_2addr_stride64_b64 v[4:7], v0 offset1:4
	ds_load_2addr_stride64_b64 v[0:3], v0 offset0:8 offset1:12
	s_cbranch_vccz .LBB16_39
; %bb.36:
	s_and_not1_b32 vcc_lo, exec_lo, s0
	s_cbranch_vccz .LBB16_40
.LBB16_37:
	s_and_saveexec_b32 s0, s2
	s_cbranch_execnz .LBB16_53
.LBB16_38:
	s_nop 0
	s_sendmsg sendmsg(MSG_DEALLOC_VGPRS)
	s_endpgm
.LBB16_39:
	s_lshl_b64 s[0:1], s[24:25], 3
	s_mov_b32 s2, -1
	s_add_u32 s4, s22, s0
	s_addc_u32 s5, s23, s1
	v_add_co_u32 v13, s0, s4, v11
	s_delay_alu instid0(VALU_DEP_1) | instskip(NEXT) | instid1(VALU_DEP_2)
	v_add_co_ci_u32_e64 v14, null, s5, 0, s0
	v_add_co_u32 v13, vcc_lo, 0x1000, v13
	s_delay_alu instid0(VALU_DEP_2)
	v_add_co_ci_u32_e32 v14, vcc_lo, 0, v14, vcc_lo
	s_clause 0x3
	global_store_b8 v[9:10], v25, off
	global_store_b8 v[9:10], v22, off offset:256
	global_store_b8 v[9:10], v21, off offset:512
	;; [unrolled: 1-line block ×3, first 2 shown]
	s_waitcnt lgkmcnt(1)
	s_clause 0x1
	global_store_b64 v11, v[6:7], s[4:5] offset:2048
	global_store_b64 v11, v[4:5], s[4:5]
	s_waitcnt lgkmcnt(0)
	global_store_b64 v[13:14], v[0:1], off
	s_cbranch_execnz .LBB16_37
.LBB16_40:
	v_cmp_gt_u32_e32 vcc_lo, s16, v8
	s_and_saveexec_b32 s0, vcc_lo
	s_cbranch_execz .LBB16_42
; %bb.41:
	global_store_b8 v[9:10], v25, off
.LBB16_42:
	s_or_b32 exec_lo, exec_lo, s0
	v_add_nc_u32_e32 v13, 0x100, v8
	s_delay_alu instid0(VALU_DEP_1) | instskip(NEXT) | instid1(VALU_DEP_1)
	v_cmp_gt_u32_e64 s0, s16, v13
	s_and_saveexec_b32 s1, s0
	s_cbranch_execz .LBB16_44
; %bb.43:
	global_store_b8 v[9:10], v22, off offset:256
.LBB16_44:
	s_or_b32 exec_lo, exec_lo, s1
	v_add_nc_u32_e32 v13, 0x200, v8
	s_delay_alu instid0(VALU_DEP_1) | instskip(NEXT) | instid1(VALU_DEP_1)
	v_cmp_gt_u32_e64 s1, s16, v13
	s_and_saveexec_b32 s2, s1
	s_cbranch_execz .LBB16_46
; %bb.45:
	global_store_b8 v[9:10], v21, off offset:512
.LBB16_46:
	;; [unrolled: 9-line block ×3, first 2 shown]
	s_or_b32 exec_lo, exec_lo, s3
	s_lshl_b64 s[4:5], s[24:25], 3
	s_delay_alu instid0(SALU_CYCLE_1) | instskip(SKIP_2) | instid1(VALU_DEP_1)
	s_add_u32 s3, s22, s4
	s_addc_u32 s4, s23, s5
	v_add_co_u32 v8, s3, s3, v11
	v_add_co_ci_u32_e64 v9, null, s4, 0, s3
	s_and_saveexec_b32 s3, vcc_lo
	s_cbranch_execnz .LBB16_57
; %bb.49:
	s_or_b32 exec_lo, exec_lo, s3
	s_and_saveexec_b32 s3, s0
	s_cbranch_execnz .LBB16_58
.LBB16_50:
	s_or_b32 exec_lo, exec_lo, s3
	s_and_saveexec_b32 s0, s1
	s_cbranch_execz .LBB16_52
.LBB16_51:
	s_waitcnt lgkmcnt(1)
	v_add_co_u32 v4, vcc_lo, 0x1000, v8
	v_add_co_ci_u32_e32 v5, vcc_lo, 0, v9, vcc_lo
	s_waitcnt lgkmcnt(0)
	global_store_b64 v[4:5], v[0:1], off
.LBB16_52:
	s_or_b32 exec_lo, exec_lo, s0
	s_and_saveexec_b32 s0, s2
	s_cbranch_execz .LBB16_38
.LBB16_53:
	s_lshl_b64 s[0:1], s[24:25], 3
	s_delay_alu instid0(SALU_CYCLE_1) | instskip(SKIP_3) | instid1(VALU_DEP_1)
	s_add_u32 s0, s22, s0
	s_addc_u32 s1, s23, s1
	s_waitcnt lgkmcnt(0)
	v_add_co_u32 v0, s0, s0, v11
	v_add_co_ci_u32_e64 v1, null, s1, 0, s0
	s_delay_alu instid0(VALU_DEP_2) | instskip(NEXT) | instid1(VALU_DEP_2)
	v_add_co_u32 v0, vcc_lo, 0x1000, v0
	v_add_co_ci_u32_e32 v1, vcc_lo, 0, v1, vcc_lo
	global_store_b64 v[0:1], v[2:3], off offset:2048
	s_nop 0
	s_sendmsg sendmsg(MSG_DEALLOC_VGPRS)
	s_endpgm
.LBB16_54:
	global_load_b64 v[1:2], v[9:10], off
	s_or_b32 exec_lo, exec_lo, s5
                                        ; implicit-def: $vgpr3_vgpr4
	s_and_saveexec_b32 s5, s2
	s_cbranch_execz .LBB16_13
.LBB16_55:
	global_load_b64 v[3:4], v[9:10], off offset:256
	s_or_b32 exec_lo, exec_lo, s5
                                        ; implicit-def: $vgpr5_vgpr6
	s_and_saveexec_b32 s2, s3
	s_cbranch_execz .LBB16_14
.LBB16_56:
	global_load_b64 v[5:6], v[9:10], off offset:512
	s_or_b32 exec_lo, exec_lo, s2
                                        ; implicit-def: $vgpr21_vgpr22
	s_and_saveexec_b32 s2, s4
	s_cbranch_execnz .LBB16_15
	s_branch .LBB16_16
.LBB16_57:
	s_waitcnt lgkmcnt(1)
	global_store_b64 v[8:9], v[4:5], off
	s_or_b32 exec_lo, exec_lo, s3
	s_and_saveexec_b32 s3, s0
	s_cbranch_execz .LBB16_50
.LBB16_58:
	s_waitcnt lgkmcnt(1)
	global_store_b64 v[8:9], v[6:7], off offset:2048
	s_or_b32 exec_lo, exec_lo, s3
	s_and_saveexec_b32 s0, s1
	s_cbranch_execnz .LBB16_51
	s_branch .LBB16_52
	.section	.rodata,"a",@progbits
	.p2align	6, 0x0
	.amdhsa_kernel _ZN7rocprim17ROCPRIM_304000_NS6detail28radix_sort_block_sort_kernelINS1_36wrapped_radix_sort_block_sort_configINS0_13kernel_configILj256ELj4ELj4294967295EEEhN2at4cuda3cub6detail10OpaqueTypeILi8EEEEELb0EPKhPhPKSB_PSB_NS0_19identity_decomposerEEEvT1_T2_T3_T4_jT5_jj
		.amdhsa_group_segment_fixed_size 8224
		.amdhsa_private_segment_fixed_size 0
		.amdhsa_kernarg_size 304
		.amdhsa_user_sgpr_count 15
		.amdhsa_user_sgpr_dispatch_ptr 0
		.amdhsa_user_sgpr_queue_ptr 0
		.amdhsa_user_sgpr_kernarg_segment_ptr 1
		.amdhsa_user_sgpr_dispatch_id 0
		.amdhsa_user_sgpr_private_segment_size 0
		.amdhsa_wavefront_size32 1
		.amdhsa_uses_dynamic_stack 0
		.amdhsa_enable_private_segment 0
		.amdhsa_system_sgpr_workgroup_id_x 1
		.amdhsa_system_sgpr_workgroup_id_y 0
		.amdhsa_system_sgpr_workgroup_id_z 0
		.amdhsa_system_sgpr_workgroup_info 0
		.amdhsa_system_vgpr_workitem_id 2
		.amdhsa_next_free_vgpr 53
		.amdhsa_next_free_sgpr 30
		.amdhsa_reserve_vcc 1
		.amdhsa_float_round_mode_32 0
		.amdhsa_float_round_mode_16_64 0
		.amdhsa_float_denorm_mode_32 3
		.amdhsa_float_denorm_mode_16_64 3
		.amdhsa_dx10_clamp 1
		.amdhsa_ieee_mode 1
		.amdhsa_fp16_overflow 0
		.amdhsa_workgroup_processor_mode 1
		.amdhsa_memory_ordered 1
		.amdhsa_forward_progress 0
		.amdhsa_shared_vgpr_count 0
		.amdhsa_exception_fp_ieee_invalid_op 0
		.amdhsa_exception_fp_denorm_src 0
		.amdhsa_exception_fp_ieee_div_zero 0
		.amdhsa_exception_fp_ieee_overflow 0
		.amdhsa_exception_fp_ieee_underflow 0
		.amdhsa_exception_fp_ieee_inexact 0
		.amdhsa_exception_int_div_zero 0
	.end_amdhsa_kernel
	.section	.text._ZN7rocprim17ROCPRIM_304000_NS6detail28radix_sort_block_sort_kernelINS1_36wrapped_radix_sort_block_sort_configINS0_13kernel_configILj256ELj4ELj4294967295EEEhN2at4cuda3cub6detail10OpaqueTypeILi8EEEEELb0EPKhPhPKSB_PSB_NS0_19identity_decomposerEEEvT1_T2_T3_T4_jT5_jj,"axG",@progbits,_ZN7rocprim17ROCPRIM_304000_NS6detail28radix_sort_block_sort_kernelINS1_36wrapped_radix_sort_block_sort_configINS0_13kernel_configILj256ELj4ELj4294967295EEEhN2at4cuda3cub6detail10OpaqueTypeILi8EEEEELb0EPKhPhPKSB_PSB_NS0_19identity_decomposerEEEvT1_T2_T3_T4_jT5_jj,comdat
.Lfunc_end16:
	.size	_ZN7rocprim17ROCPRIM_304000_NS6detail28radix_sort_block_sort_kernelINS1_36wrapped_radix_sort_block_sort_configINS0_13kernel_configILj256ELj4ELj4294967295EEEhN2at4cuda3cub6detail10OpaqueTypeILi8EEEEELb0EPKhPhPKSB_PSB_NS0_19identity_decomposerEEEvT1_T2_T3_T4_jT5_jj, .Lfunc_end16-_ZN7rocprim17ROCPRIM_304000_NS6detail28radix_sort_block_sort_kernelINS1_36wrapped_radix_sort_block_sort_configINS0_13kernel_configILj256ELj4ELj4294967295EEEhN2at4cuda3cub6detail10OpaqueTypeILi8EEEEELb0EPKhPhPKSB_PSB_NS0_19identity_decomposerEEEvT1_T2_T3_T4_jT5_jj
                                        ; -- End function
	.section	.AMDGPU.csdata,"",@progbits
; Kernel info:
; codeLenInByte = 4116
; NumSgprs: 32
; NumVgprs: 53
; ScratchSize: 0
; MemoryBound: 0
; FloatMode: 240
; IeeeMode: 1
; LDSByteSize: 8224 bytes/workgroup (compile time only)
; SGPRBlocks: 3
; VGPRBlocks: 6
; NumSGPRsForWavesPerEU: 32
; NumVGPRsForWavesPerEU: 53
; Occupancy: 16
; WaveLimiterHint : 1
; COMPUTE_PGM_RSRC2:SCRATCH_EN: 0
; COMPUTE_PGM_RSRC2:USER_SGPR: 15
; COMPUTE_PGM_RSRC2:TRAP_HANDLER: 0
; COMPUTE_PGM_RSRC2:TGID_X_EN: 1
; COMPUTE_PGM_RSRC2:TGID_Y_EN: 0
; COMPUTE_PGM_RSRC2:TGID_Z_EN: 0
; COMPUTE_PGM_RSRC2:TIDIG_COMP_CNT: 2
	.section	.text._ZN7rocprim17ROCPRIM_304000_NS6detail45device_block_merge_mergepath_partition_kernelINS1_37wrapped_merge_sort_block_merge_configINS0_14default_configEhN2at4cuda3cub6detail10OpaqueTypeILi8EEEEEPhjNS1_19radix_merge_compareILb0ELb0EhNS0_19identity_decomposerEEEEEvT0_T1_jPSH_T2_SH_,"axG",@progbits,_ZN7rocprim17ROCPRIM_304000_NS6detail45device_block_merge_mergepath_partition_kernelINS1_37wrapped_merge_sort_block_merge_configINS0_14default_configEhN2at4cuda3cub6detail10OpaqueTypeILi8EEEEEPhjNS1_19radix_merge_compareILb0ELb0EhNS0_19identity_decomposerEEEEEvT0_T1_jPSH_T2_SH_,comdat
	.protected	_ZN7rocprim17ROCPRIM_304000_NS6detail45device_block_merge_mergepath_partition_kernelINS1_37wrapped_merge_sort_block_merge_configINS0_14default_configEhN2at4cuda3cub6detail10OpaqueTypeILi8EEEEEPhjNS1_19radix_merge_compareILb0ELb0EhNS0_19identity_decomposerEEEEEvT0_T1_jPSH_T2_SH_ ; -- Begin function _ZN7rocprim17ROCPRIM_304000_NS6detail45device_block_merge_mergepath_partition_kernelINS1_37wrapped_merge_sort_block_merge_configINS0_14default_configEhN2at4cuda3cub6detail10OpaqueTypeILi8EEEEEPhjNS1_19radix_merge_compareILb0ELb0EhNS0_19identity_decomposerEEEEEvT0_T1_jPSH_T2_SH_
	.globl	_ZN7rocprim17ROCPRIM_304000_NS6detail45device_block_merge_mergepath_partition_kernelINS1_37wrapped_merge_sort_block_merge_configINS0_14default_configEhN2at4cuda3cub6detail10OpaqueTypeILi8EEEEEPhjNS1_19radix_merge_compareILb0ELb0EhNS0_19identity_decomposerEEEEEvT0_T1_jPSH_T2_SH_
	.p2align	8
	.type	_ZN7rocprim17ROCPRIM_304000_NS6detail45device_block_merge_mergepath_partition_kernelINS1_37wrapped_merge_sort_block_merge_configINS0_14default_configEhN2at4cuda3cub6detail10OpaqueTypeILi8EEEEEPhjNS1_19radix_merge_compareILb0ELb0EhNS0_19identity_decomposerEEEEEvT0_T1_jPSH_T2_SH_,@function
_ZN7rocprim17ROCPRIM_304000_NS6detail45device_block_merge_mergepath_partition_kernelINS1_37wrapped_merge_sort_block_merge_configINS0_14default_configEhN2at4cuda3cub6detail10OpaqueTypeILi8EEEEEPhjNS1_19radix_merge_compareILb0ELb0EhNS0_19identity_decomposerEEEEEvT0_T1_jPSH_T2_SH_: ; @_ZN7rocprim17ROCPRIM_304000_NS6detail45device_block_merge_mergepath_partition_kernelINS1_37wrapped_merge_sort_block_merge_configINS0_14default_configEhN2at4cuda3cub6detail10OpaqueTypeILi8EEEEEPhjNS1_19radix_merge_compareILb0ELb0EhNS0_19identity_decomposerEEEEEvT0_T1_jPSH_T2_SH_
; %bb.0:
	s_load_b64 s[2:3], s[0:1], 0x8
	v_lshl_or_b32 v0, s15, 7, v0
	s_waitcnt lgkmcnt(0)
	s_delay_alu instid0(VALU_DEP_1)
	v_cmp_gt_u32_e32 vcc_lo, s3, v0
	s_and_saveexec_b32 s3, vcc_lo
	s_cbranch_execz .LBB17_6
; %bb.1:
	s_load_b32 s3, s[0:1], 0x1c
	s_waitcnt lgkmcnt(0)
	s_lshr_b32 s4, s3, 9
	s_delay_alu instid0(SALU_CYCLE_1) | instskip(NEXT) | instid1(SALU_CYCLE_1)
	s_and_b32 s4, s4, 0x7ffffe
	s_sub_i32 s5, 0, s4
	s_add_i32 s4, s4, -1
	v_and_b32_e32 v1, s5, v0
	v_and_b32_e32 v4, s4, v0
	s_delay_alu instid0(VALU_DEP_2) | instskip(NEXT) | instid1(VALU_DEP_1)
	v_lshlrev_b32_e32 v1, 10, v1
	v_add_nc_u32_e32 v2, s3, v1
	s_delay_alu instid0(VALU_DEP_1) | instskip(SKIP_1) | instid1(VALU_DEP_2)
	v_min_u32_e32 v7, s2, v2
	v_min_u32_e32 v2, s2, v1
	v_add_nc_u32_e32 v3, s3, v7
	s_delay_alu instid0(VALU_DEP_1) | instskip(SKIP_2) | instid1(VALU_DEP_2)
	v_min_u32_e32 v1, s2, v3
	v_lshlrev_b32_e32 v3, 10, v4
	s_mov_b32 s2, exec_lo
	v_sub_nc_u32_e32 v4, v1, v2
	v_sub_nc_u32_e32 v5, v1, v7
	s_delay_alu instid0(VALU_DEP_2) | instskip(SKIP_1) | instid1(VALU_DEP_2)
	v_min_u32_e32 v1, v4, v3
	v_sub_nc_u32_e32 v4, v7, v2
	v_sub_nc_u32_e64 v3, v1, v5 clamp
	s_delay_alu instid0(VALU_DEP_2) | instskip(NEXT) | instid1(VALU_DEP_1)
	v_min_u32_e32 v4, v1, v4
	v_cmpx_lt_u32_e64 v3, v4
	s_cbranch_execz .LBB17_5
; %bb.2:
	s_load_b64 s[4:5], s[0:1], 0x0
	s_waitcnt lgkmcnt(0)
	v_add_co_u32 v5, s3, s4, v2
	s_delay_alu instid0(VALU_DEP_1) | instskip(SKIP_1) | instid1(VALU_DEP_1)
	v_add_co_ci_u32_e64 v6, null, s5, 0, s3
	v_add_co_u32 v7, s3, s4, v7
	v_add_co_ci_u32_e64 v8, null, s5, 0, s3
	s_mov_b32 s3, 0
	.p2align	6
.LBB17_3:                               ; =>This Inner Loop Header: Depth=1
	v_add_nc_u32_e32 v9, v4, v3
	s_delay_alu instid0(VALU_DEP_1) | instskip(NEXT) | instid1(VALU_DEP_1)
	v_lshrrev_b32_e32 v13, 1, v9
	v_xad_u32 v11, v13, -1, v1
	v_add_co_u32 v9, vcc_lo, v5, v13
	v_add_co_ci_u32_e32 v10, vcc_lo, 0, v6, vcc_lo
	s_delay_alu instid0(VALU_DEP_3)
	v_add_co_u32 v11, vcc_lo, v7, v11
	v_add_co_ci_u32_e32 v12, vcc_lo, 0, v8, vcc_lo
	s_clause 0x1
	global_load_u8 v9, v[9:10], off
	global_load_u8 v10, v[11:12], off
	v_add_nc_u32_e32 v11, 1, v13
	s_waitcnt vmcnt(0)
	v_cmp_gt_u16_e32 vcc_lo, v9, v10
	s_delay_alu instid0(VALU_DEP_2) | instskip(NEXT) | instid1(VALU_DEP_1)
	v_dual_cndmask_b32 v4, v4, v13 :: v_dual_cndmask_b32 v3, v11, v3
	v_cmp_ge_u32_e32 vcc_lo, v3, v4
	s_or_b32 s3, vcc_lo, s3
	s_delay_alu instid0(SALU_CYCLE_1)
	s_and_not1_b32 exec_lo, exec_lo, s3
	s_cbranch_execnz .LBB17_3
; %bb.4:
	s_or_b32 exec_lo, exec_lo, s3
.LBB17_5:
	s_delay_alu instid0(SALU_CYCLE_1) | instskip(SKIP_2) | instid1(VALU_DEP_1)
	s_or_b32 exec_lo, exec_lo, s2
	s_load_b64 s[0:1], s[0:1], 0x10
	v_dual_mov_b32 v1, 0 :: v_dual_add_nc_u32 v2, v3, v2
	v_lshlrev_b64 v[0:1], 2, v[0:1]
	s_waitcnt lgkmcnt(0)
	s_delay_alu instid0(VALU_DEP_1) | instskip(NEXT) | instid1(VALU_DEP_2)
	v_add_co_u32 v0, vcc_lo, s0, v0
	v_add_co_ci_u32_e32 v1, vcc_lo, s1, v1, vcc_lo
	global_store_b32 v[0:1], v2, off
.LBB17_6:
	s_nop 0
	s_sendmsg sendmsg(MSG_DEALLOC_VGPRS)
	s_endpgm
	.section	.rodata,"a",@progbits
	.p2align	6, 0x0
	.amdhsa_kernel _ZN7rocprim17ROCPRIM_304000_NS6detail45device_block_merge_mergepath_partition_kernelINS1_37wrapped_merge_sort_block_merge_configINS0_14default_configEhN2at4cuda3cub6detail10OpaqueTypeILi8EEEEEPhjNS1_19radix_merge_compareILb0ELb0EhNS0_19identity_decomposerEEEEEvT0_T1_jPSH_T2_SH_
		.amdhsa_group_segment_fixed_size 0
		.amdhsa_private_segment_fixed_size 0
		.amdhsa_kernarg_size 32
		.amdhsa_user_sgpr_count 15
		.amdhsa_user_sgpr_dispatch_ptr 0
		.amdhsa_user_sgpr_queue_ptr 0
		.amdhsa_user_sgpr_kernarg_segment_ptr 1
		.amdhsa_user_sgpr_dispatch_id 0
		.amdhsa_user_sgpr_private_segment_size 0
		.amdhsa_wavefront_size32 1
		.amdhsa_uses_dynamic_stack 0
		.amdhsa_enable_private_segment 0
		.amdhsa_system_sgpr_workgroup_id_x 1
		.amdhsa_system_sgpr_workgroup_id_y 0
		.amdhsa_system_sgpr_workgroup_id_z 0
		.amdhsa_system_sgpr_workgroup_info 0
		.amdhsa_system_vgpr_workitem_id 0
		.amdhsa_next_free_vgpr 14
		.amdhsa_next_free_sgpr 16
		.amdhsa_reserve_vcc 1
		.amdhsa_float_round_mode_32 0
		.amdhsa_float_round_mode_16_64 0
		.amdhsa_float_denorm_mode_32 3
		.amdhsa_float_denorm_mode_16_64 3
		.amdhsa_dx10_clamp 1
		.amdhsa_ieee_mode 1
		.amdhsa_fp16_overflow 0
		.amdhsa_workgroup_processor_mode 1
		.amdhsa_memory_ordered 1
		.amdhsa_forward_progress 0
		.amdhsa_shared_vgpr_count 0
		.amdhsa_exception_fp_ieee_invalid_op 0
		.amdhsa_exception_fp_denorm_src 0
		.amdhsa_exception_fp_ieee_div_zero 0
		.amdhsa_exception_fp_ieee_overflow 0
		.amdhsa_exception_fp_ieee_underflow 0
		.amdhsa_exception_fp_ieee_inexact 0
		.amdhsa_exception_int_div_zero 0
	.end_amdhsa_kernel
	.section	.text._ZN7rocprim17ROCPRIM_304000_NS6detail45device_block_merge_mergepath_partition_kernelINS1_37wrapped_merge_sort_block_merge_configINS0_14default_configEhN2at4cuda3cub6detail10OpaqueTypeILi8EEEEEPhjNS1_19radix_merge_compareILb0ELb0EhNS0_19identity_decomposerEEEEEvT0_T1_jPSH_T2_SH_,"axG",@progbits,_ZN7rocprim17ROCPRIM_304000_NS6detail45device_block_merge_mergepath_partition_kernelINS1_37wrapped_merge_sort_block_merge_configINS0_14default_configEhN2at4cuda3cub6detail10OpaqueTypeILi8EEEEEPhjNS1_19radix_merge_compareILb0ELb0EhNS0_19identity_decomposerEEEEEvT0_T1_jPSH_T2_SH_,comdat
.Lfunc_end17:
	.size	_ZN7rocprim17ROCPRIM_304000_NS6detail45device_block_merge_mergepath_partition_kernelINS1_37wrapped_merge_sort_block_merge_configINS0_14default_configEhN2at4cuda3cub6detail10OpaqueTypeILi8EEEEEPhjNS1_19radix_merge_compareILb0ELb0EhNS0_19identity_decomposerEEEEEvT0_T1_jPSH_T2_SH_, .Lfunc_end17-_ZN7rocprim17ROCPRIM_304000_NS6detail45device_block_merge_mergepath_partition_kernelINS1_37wrapped_merge_sort_block_merge_configINS0_14default_configEhN2at4cuda3cub6detail10OpaqueTypeILi8EEEEEPhjNS1_19radix_merge_compareILb0ELb0EhNS0_19identity_decomposerEEEEEvT0_T1_jPSH_T2_SH_
                                        ; -- End function
	.section	.AMDGPU.csdata,"",@progbits
; Kernel info:
; codeLenInByte = 412
; NumSgprs: 18
; NumVgprs: 14
; ScratchSize: 0
; MemoryBound: 0
; FloatMode: 240
; IeeeMode: 1
; LDSByteSize: 0 bytes/workgroup (compile time only)
; SGPRBlocks: 2
; VGPRBlocks: 1
; NumSGPRsForWavesPerEU: 18
; NumVGPRsForWavesPerEU: 14
; Occupancy: 16
; WaveLimiterHint : 0
; COMPUTE_PGM_RSRC2:SCRATCH_EN: 0
; COMPUTE_PGM_RSRC2:USER_SGPR: 15
; COMPUTE_PGM_RSRC2:TRAP_HANDLER: 0
; COMPUTE_PGM_RSRC2:TGID_X_EN: 1
; COMPUTE_PGM_RSRC2:TGID_Y_EN: 0
; COMPUTE_PGM_RSRC2:TGID_Z_EN: 0
; COMPUTE_PGM_RSRC2:TIDIG_COMP_CNT: 0
	.section	.text._ZN7rocprim17ROCPRIM_304000_NS6detail35device_block_merge_mergepath_kernelINS1_37wrapped_merge_sort_block_merge_configINS0_14default_configEhN2at4cuda3cub6detail10OpaqueTypeILi8EEEEEPhSC_PSA_SD_jNS1_19radix_merge_compareILb0ELb0EhNS0_19identity_decomposerEEEEEvT0_T1_T2_T3_T4_SL_jT5_PKSL_NS1_7vsmem_tE,"axG",@progbits,_ZN7rocprim17ROCPRIM_304000_NS6detail35device_block_merge_mergepath_kernelINS1_37wrapped_merge_sort_block_merge_configINS0_14default_configEhN2at4cuda3cub6detail10OpaqueTypeILi8EEEEEPhSC_PSA_SD_jNS1_19radix_merge_compareILb0ELb0EhNS0_19identity_decomposerEEEEEvT0_T1_T2_T3_T4_SL_jT5_PKSL_NS1_7vsmem_tE,comdat
	.protected	_ZN7rocprim17ROCPRIM_304000_NS6detail35device_block_merge_mergepath_kernelINS1_37wrapped_merge_sort_block_merge_configINS0_14default_configEhN2at4cuda3cub6detail10OpaqueTypeILi8EEEEEPhSC_PSA_SD_jNS1_19radix_merge_compareILb0ELb0EhNS0_19identity_decomposerEEEEEvT0_T1_T2_T3_T4_SL_jT5_PKSL_NS1_7vsmem_tE ; -- Begin function _ZN7rocprim17ROCPRIM_304000_NS6detail35device_block_merge_mergepath_kernelINS1_37wrapped_merge_sort_block_merge_configINS0_14default_configEhN2at4cuda3cub6detail10OpaqueTypeILi8EEEEEPhSC_PSA_SD_jNS1_19radix_merge_compareILb0ELb0EhNS0_19identity_decomposerEEEEEvT0_T1_T2_T3_T4_SL_jT5_PKSL_NS1_7vsmem_tE
	.globl	_ZN7rocprim17ROCPRIM_304000_NS6detail35device_block_merge_mergepath_kernelINS1_37wrapped_merge_sort_block_merge_configINS0_14default_configEhN2at4cuda3cub6detail10OpaqueTypeILi8EEEEEPhSC_PSA_SD_jNS1_19radix_merge_compareILb0ELb0EhNS0_19identity_decomposerEEEEEvT0_T1_T2_T3_T4_SL_jT5_PKSL_NS1_7vsmem_tE
	.p2align	8
	.type	_ZN7rocprim17ROCPRIM_304000_NS6detail35device_block_merge_mergepath_kernelINS1_37wrapped_merge_sort_block_merge_configINS0_14default_configEhN2at4cuda3cub6detail10OpaqueTypeILi8EEEEEPhSC_PSA_SD_jNS1_19radix_merge_compareILb0ELb0EhNS0_19identity_decomposerEEEEEvT0_T1_T2_T3_T4_SL_jT5_PKSL_NS1_7vsmem_tE,@function
_ZN7rocprim17ROCPRIM_304000_NS6detail35device_block_merge_mergepath_kernelINS1_37wrapped_merge_sort_block_merge_configINS0_14default_configEhN2at4cuda3cub6detail10OpaqueTypeILi8EEEEEPhSC_PSA_SD_jNS1_19radix_merge_compareILb0ELb0EhNS0_19identity_decomposerEEEEEvT0_T1_T2_T3_T4_SL_jT5_PKSL_NS1_7vsmem_tE: ; @_ZN7rocprim17ROCPRIM_304000_NS6detail35device_block_merge_mergepath_kernelINS1_37wrapped_merge_sort_block_merge_configINS0_14default_configEhN2at4cuda3cub6detail10OpaqueTypeILi8EEEEEPhSC_PSA_SD_jNS1_19radix_merge_compareILb0ELb0EhNS0_19identity_decomposerEEEEEvT0_T1_T2_T3_T4_SL_jT5_PKSL_NS1_7vsmem_tE
; %bb.0:
	s_clause 0x1
	s_load_b64 s[22:23], s[0:1], 0x40
	s_load_b128 s[16:19], s[0:1], 0x20
	s_add_u32 s20, s0, 64
	s_addc_u32 s21, s1, 0
	s_waitcnt lgkmcnt(0)
	s_mul_i32 s2, s23, s15
	s_delay_alu instid0(SALU_CYCLE_1) | instskip(NEXT) | instid1(SALU_CYCLE_1)
	s_add_i32 s2, s2, s14
	s_mul_i32 s2, s2, s22
	s_delay_alu instid0(SALU_CYCLE_1) | instskip(NEXT) | instid1(SALU_CYCLE_1)
	s_add_i32 s2, s2, s13
	s_cmp_ge_u32 s2, s18
	s_cbranch_scc1 .LBB18_53
; %bb.1:
	v_mov_b32_e32 v1, 0
	s_load_b64 s[4:5], s[0:1], 0x30
	s_lshr_b32 s26, s16, 10
	s_mov_b32 s15, 0
	s_cmp_lg_u32 s2, s26
	global_load_b32 v2, v1, s[20:21] offset:14
	s_mov_b32 s3, s15
	s_cselect_b32 s18, -1, 0
	s_lshl_b64 s[6:7], s[2:3], 2
	s_waitcnt lgkmcnt(0)
	s_add_u32 s4, s4, s6
	s_addc_u32 s5, s5, s7
	s_lshr_b32 s3, s17, 9
	s_load_b64 s[24:25], s[4:5], 0x0
	s_and_b32 s3, s3, 0x7ffffe
	s_load_b256 s[4:11], s[0:1], 0x0
	s_sub_i32 s0, 0, s3
	s_lshl_b32 s3, s2, 10
	s_and_b32 s1, s2, s0
	s_or_b32 s0, s2, s0
	s_lshl_b32 s12, s1, 11
	s_lshl_b32 s1, s1, 10
	s_add_i32 s12, s12, s17
	s_sub_i32 s14, s3, s1
	s_sub_i32 s1, s12, s1
	s_add_i32 s12, s12, s14
	s_min_u32 s14, s16, s1
	s_add_i32 s1, s1, s17
	s_waitcnt lgkmcnt(0)
	s_sub_i32 s17, s12, s24
	s_sub_i32 s19, s12, s25
	s_min_u32 s12, s16, s17
	s_addk_i32 s19, 0x400
	s_cmp_eq_u32 s0, -1
	s_cselect_b32 s0, s1, s19
	s_cselect_b32 s1, s14, s25
	s_min_u32 s0, s0, s16
	s_sub_i32 s17, s1, s24
	s_sub_i32 s19, s0, s12
	s_add_u32 s1, s4, s24
	s_addc_u32 s23, s5, 0
	s_mov_b32 s14, s24
	s_add_u32 s24, s4, s12
	s_addc_u32 s5, s5, 0
	s_cmp_lt_u32 s13, s22
	v_cmp_gt_u32_e32 vcc_lo, s17, v0
	s_cselect_b32 s0, 12, 18
	s_mov_b32 s13, s15
	s_add_u32 s20, s20, s0
	s_addc_u32 s21, s21, 0
	s_mov_b32 s0, -1
	s_cmp_eq_u32 s2, s26
	s_waitcnt vmcnt(0)
	v_lshrrev_b32_e32 v3, 16, v2
	v_and_b32_e32 v2, 0xffff, v2
	global_load_u16 v1, v1, s[20:21]
	v_mul_lo_u32 v2, v2, v3
	s_waitcnt vmcnt(0)
	s_delay_alu instid0(VALU_DEP_1) | instskip(NEXT) | instid1(VALU_DEP_1)
	v_mul_lo_u32 v1, v2, v1
	v_add_nc_u32_e32 v1, v1, v0
	s_cbranch_scc1 .LBB18_3
; %bb.2:
	v_subrev_nc_u32_e32 v2, s17, v0
	v_add_co_u32 v4, s0, s1, v0
	s_delay_alu instid0(VALU_DEP_3) | instskip(SKIP_1) | instid1(VALU_DEP_4)
	v_subrev_nc_u32_e32 v6, s17, v1
	v_add_co_ci_u32_e64 v3, null, s23, 0, s0
	v_add_co_u32 v2, s0, s24, v2
	s_delay_alu instid0(VALU_DEP_1) | instskip(SKIP_1) | instid1(VALU_DEP_1)
	v_add_co_ci_u32_e64 v5, null, s5, 0, s0
	v_add_co_u32 v8, s0, s1, v1
	v_add_co_ci_u32_e64 v7, null, s23, 0, s0
	v_add_co_u32 v6, s0, s24, v6
	s_delay_alu instid0(VALU_DEP_1) | instskip(SKIP_3) | instid1(VALU_DEP_2)
	v_add_co_ci_u32_e64 v9, null, s5, 0, s0
	v_cmp_gt_u32_e64 s0, s17, v1
	v_dual_cndmask_b32 v3, v5, v3 :: v_dual_cndmask_b32 v2, v2, v4
	s_add_i32 s4, s19, s17
	v_cndmask_b32_e64 v7, v9, v7, s0
	v_cndmask_b32_e64 v6, v6, v8, s0
	global_load_u8 v5, v[2:3], off
	global_load_u8 v7, v[6:7], off
	s_mov_b32 s0, s15
	s_delay_alu instid0(SALU_CYCLE_1)
	s_and_not1_b32 vcc_lo, exec_lo, s0
	s_cbranch_vccz .LBB18_4
	s_branch .LBB18_9
.LBB18_3:
                                        ; implicit-def: $vgpr5
                                        ; implicit-def: $vgpr7
                                        ; implicit-def: $sgpr4
	s_and_not1_b32 vcc_lo, exec_lo, s0
	s_cbranch_vccnz .LBB18_9
.LBB18_4:
	s_add_i32 s4, s19, s17
	s_mov_b32 s0, exec_lo
                                        ; implicit-def: $vgpr5
	v_cmpx_gt_u32_e64 s4, v0
	s_cbranch_execz .LBB18_6
; %bb.5:
	v_subrev_nc_u32_e32 v2, s17, v0
	v_add_co_u32 v4, s2, s1, v0
	s_delay_alu instid0(VALU_DEP_1) | instskip(NEXT) | instid1(VALU_DEP_3)
	v_add_co_ci_u32_e64 v3, null, s23, 0, s2
	v_add_co_u32 v2, s2, s24, v2
	s_waitcnt vmcnt(1)
	v_add_co_ci_u32_e64 v5, null, s5, 0, s2
	v_cmp_gt_u32_e32 vcc_lo, s17, v0
	s_delay_alu instid0(VALU_DEP_2)
	v_dual_cndmask_b32 v3, v5, v3 :: v_dual_cndmask_b32 v2, v2, v4
	global_load_u8 v5, v[2:3], off
.LBB18_6:
	s_or_b32 exec_lo, exec_lo, s0
	s_delay_alu instid0(SALU_CYCLE_1)
	s_mov_b32 s0, exec_lo
                                        ; implicit-def: $vgpr7
	v_cmpx_gt_u32_e64 s4, v1
	s_cbranch_execz .LBB18_8
; %bb.7:
	v_subrev_nc_u32_e32 v2, s17, v1
	v_add_co_u32 v3, s1, s1, v1
	s_delay_alu instid0(VALU_DEP_1) | instskip(NEXT) | instid1(VALU_DEP_3)
	v_add_co_ci_u32_e64 v4, null, s23, 0, s1
	v_add_co_u32 v6, s1, s24, v2
	s_delay_alu instid0(VALU_DEP_1) | instskip(SKIP_1) | instid1(VALU_DEP_3)
	v_add_co_ci_u32_e64 v2, null, s5, 0, s1
	v_cmp_gt_u32_e32 vcc_lo, s17, v1
	v_cndmask_b32_e32 v1, v6, v3, vcc_lo
	s_delay_alu instid0(VALU_DEP_3)
	v_cndmask_b32_e32 v2, v2, v4, vcc_lo
	global_load_u8 v7, v[1:2], off
.LBB18_8:
	s_or_b32 exec_lo, exec_lo, s0
.LBB18_9:
	v_lshlrev_b32_e32 v6, 1, v0
	s_mov_b32 s0, exec_lo
	s_waitcnt vmcnt(0)
	ds_store_b8 v0, v5
	ds_store_b8 v0, v7 offset:512
	s_waitcnt lgkmcnt(0)
	s_barrier
	v_min_u32_e32 v2, s4, v6
	buffer_gl0_inv
	v_sub_nc_u32_e64 v1, v2, s19 clamp
	v_min_u32_e32 v3, s17, v2
	s_delay_alu instid0(VALU_DEP_1)
	v_cmpx_lt_u32_e64 v1, v3
	s_cbranch_execz .LBB18_13
; %bb.10:
	v_add_nc_u32_e32 v4, s17, v2
	s_mov_b32 s1, 0
.LBB18_11:                              ; =>This Inner Loop Header: Depth=1
	v_add_nc_u32_e32 v8, v3, v1
	s_delay_alu instid0(VALU_DEP_1) | instskip(NEXT) | instid1(VALU_DEP_1)
	v_lshrrev_b32_e32 v8, 1, v8
	v_xad_u32 v9, v8, -1, v4
	v_add_nc_u32_e32 v11, 1, v8
	ds_load_u8 v10, v8
	ds_load_u8 v9, v9
	s_waitcnt lgkmcnt(0)
	v_cmp_gt_u16_e32 vcc_lo, v10, v9
	v_cndmask_b32_e32 v3, v3, v8, vcc_lo
	v_cndmask_b32_e32 v1, v11, v1, vcc_lo
	s_delay_alu instid0(VALU_DEP_1) | instskip(SKIP_1) | instid1(SALU_CYCLE_1)
	v_cmp_ge_u32_e32 vcc_lo, v1, v3
	s_or_b32 s1, vcc_lo, s1
	s_and_not1_b32 exec_lo, exec_lo, s1
	s_cbranch_execnz .LBB18_11
; %bb.12:
	s_or_b32 exec_lo, exec_lo, s1
.LBB18_13:
	s_delay_alu instid0(SALU_CYCLE_1) | instskip(SKIP_2) | instid1(VALU_DEP_2)
	s_or_b32 exec_lo, exec_lo, s0
	v_sub_nc_u32_e32 v2, v2, v1
	v_cmp_ge_u32_e32 vcc_lo, s17, v1
                                        ; implicit-def: $vgpr9
                                        ; implicit-def: $vgpr10
	v_add_nc_u32_e32 v2, s17, v2
	s_delay_alu instid0(VALU_DEP_1) | instskip(NEXT) | instid1(VALU_DEP_1)
	v_cmp_ge_u32_e64 s0, s4, v2
	s_or_b32 s0, vcc_lo, s0
	s_delay_alu instid0(SALU_CYCLE_1)
	s_and_saveexec_b32 s5, s0
	s_cbranch_execz .LBB18_19
; %bb.14:
	v_cmp_gt_u32_e32 vcc_lo, s17, v1
                                        ; implicit-def: $vgpr3
	s_and_saveexec_b32 s0, vcc_lo
	s_cbranch_execz .LBB18_16
; %bb.15:
	ds_load_u8 v3, v1
.LBB18_16:
	s_or_b32 exec_lo, exec_lo, s0
	v_cmp_le_u32_e64 s0, s4, v2
	s_mov_b32 s2, exec_lo
                                        ; implicit-def: $vgpr4
	v_cmpx_gt_u32_e64 s4, v2
	s_cbranch_execz .LBB18_18
; %bb.17:
	ds_load_u8 v4, v2
.LBB18_18:
	s_or_b32 exec_lo, exec_lo, s2
	s_waitcnt lgkmcnt(0)
	v_and_b32_e32 v5, 0xff, v4
	v_and_b32_e32 v7, 0xff, v3
	s_delay_alu instid0(VALU_DEP_1) | instskip(NEXT) | instid1(VALU_DEP_1)
	v_cmp_le_u16_e64 s1, v7, v5
	s_and_b32 s1, vcc_lo, s1
	s_delay_alu instid0(SALU_CYCLE_1) | instskip(SKIP_1) | instid1(VALU_DEP_1)
	s_or_b32 vcc_lo, s0, s1
	v_cndmask_b32_e32 v10, v2, v1, vcc_lo
	v_add_nc_u32_e32 v7, 1, v10
	s_delay_alu instid0(VALU_DEP_1) | instskip(NEXT) | instid1(VALU_DEP_1)
	v_dual_mov_b32 v5, s17 :: v_dual_cndmask_b32 v2, v7, v2
	v_cndmask_b32_e32 v5, s4, v5, vcc_lo
	v_cndmask_b32_e32 v1, v1, v7, vcc_lo
	s_delay_alu instid0(VALU_DEP_3) | instskip(NEXT) | instid1(VALU_DEP_3)
	v_cmp_le_u32_e64 s2, s4, v2
	v_add_nc_u32_e32 v5, -1, v5
	s_delay_alu instid0(VALU_DEP_3) | instskip(NEXT) | instid1(VALU_DEP_2)
	v_cmp_gt_u32_e64 s0, s17, v1
	v_min_u32_e32 v5, v7, v5
	ds_load_u8 v5, v5
	s_waitcnt lgkmcnt(0)
	v_dual_cndmask_b32 v8, v5, v4 :: v_dual_cndmask_b32 v11, v3, v5
	s_delay_alu instid0(VALU_DEP_1) | instskip(NEXT) | instid1(VALU_DEP_2)
	v_and_b32_e32 v5, 0xff, v8
	v_and_b32_e32 v9, 0xff, v11
	s_delay_alu instid0(VALU_DEP_1) | instskip(SKIP_1) | instid1(VALU_DEP_2)
	v_cmp_le_u16_e64 s1, v9, v5
	v_cndmask_b32_e32 v5, v4, v3, vcc_lo
	s_and_b32 s0, s0, s1
	s_delay_alu instid0(SALU_CYCLE_1)
	s_or_b32 vcc_lo, s2, s0
	v_cndmask_b32_e32 v9, v2, v1, vcc_lo
	v_cndmask_b32_e32 v7, v8, v11, vcc_lo
.LBB18_19:
	s_or_b32 exec_lo, exec_lo, s5
	s_lshl_b64 s[0:1], s[14:15], 3
	v_or_b32_e32 v8, 0x200, v0
	s_add_u32 s2, s8, s0
	s_addc_u32 s5, s9, s1
	s_lshl_b64 s[12:13], s[12:13], 3
	v_cmp_gt_u32_e64 s1, s17, v0
	v_cmp_le_u32_e64 s0, s17, v0
	s_add_u32 s8, s8, s12
	s_mov_b32 s14, 0
	s_addc_u32 s9, s9, s13
	s_and_not1_b32 vcc_lo, exec_lo, s18
	s_barrier
	buffer_gl0_inv
	s_cbranch_vccnz .LBB18_21
; %bb.20:
	v_subrev_nc_u32_e32 v1, s17, v0
	v_dual_mov_b32 v2, 0 :: v_dual_lshlrev_b32 v13, 3, v0
	s_mov_b32 s14, -1
	s_delay_alu instid0(VALU_DEP_1) | instskip(NEXT) | instid1(VALU_DEP_2)
	v_lshlrev_b64 v[3:4], 3, v[1:2]
	v_add_co_u32 v14, s12, s2, v13
	s_delay_alu instid0(VALU_DEP_1) | instskip(NEXT) | instid1(VALU_DEP_3)
	v_add_co_ci_u32_e64 v15, null, s5, 0, s12
	v_add_co_u32 v1, vcc_lo, s8, v3
	s_delay_alu instid0(VALU_DEP_4) | instskip(NEXT) | instid1(VALU_DEP_1)
	v_add_co_ci_u32_e32 v3, vcc_lo, s9, v4, vcc_lo
	v_cndmask_b32_e64 v4, v3, v15, s1
	s_delay_alu instid0(VALU_DEP_3)
	v_cndmask_b32_e64 v3, v1, v14, s1
	v_subrev_nc_u32_e32 v1, s17, v8
	global_load_b64 v[11:12], v[3:4], off
	v_lshlrev_b64 v[1:2], 3, v[1:2]
	v_add_co_u32 v3, vcc_lo, 0x1000, v14
	v_add_co_ci_u32_e32 v4, vcc_lo, 0, v15, vcc_lo
	s_delay_alu instid0(VALU_DEP_3) | instskip(NEXT) | instid1(VALU_DEP_4)
	v_add_co_u32 v1, vcc_lo, s8, v1
	v_add_co_ci_u32_e32 v2, vcc_lo, s9, v2, vcc_lo
	v_cmp_gt_u32_e32 vcc_lo, s17, v8
	s_delay_alu instid0(VALU_DEP_2)
	v_dual_cndmask_b32 v2, v2, v4 :: v_dual_cndmask_b32 v1, v1, v3
	v_or_b32_e32 v4, 0x1000, v13
	s_waitcnt vmcnt(0)
	ds_store_b64 v13, v[11:12]
	s_cbranch_execz .LBB18_22
	s_branch .LBB18_33
.LBB18_21:
                                        ; implicit-def: $vgpr4
                                        ; implicit-def: $vgpr1_vgpr2
.LBB18_22:
	s_mov_b32 s1, 0
                                        ; implicit-def: $vgpr1_vgpr2
	s_and_saveexec_b32 s12, s0
	s_delay_alu instid0(SALU_CYCLE_1)
	s_xor_b32 s0, exec_lo, s12
	s_cbranch_execnz .LBB18_54
; %bb.23:
	s_and_not1_saveexec_b32 s0, s0
	s_cbranch_execnz .LBB18_57
.LBB18_24:
	s_or_b32 exec_lo, exec_lo, s0
	s_and_saveexec_b32 s0, s1
	s_cbranch_execz .LBB18_26
.LBB18_25:
	global_load_b64 v[1:2], v[1:2], off
	v_mad_u32_u24 v3, v0, 7, v0
	s_waitcnt vmcnt(0)
	ds_store_b64 v3, v[1:2]
.LBB18_26:
	s_or_b32 exec_lo, exec_lo, s0
	s_delay_alu instid0(SALU_CYCLE_1)
	s_mov_b32 s0, exec_lo
                                        ; implicit-def: $vgpr4
                                        ; implicit-def: $vgpr1_vgpr2
	v_cmpx_le_u32_e64 s17, v8
	s_xor_b32 s0, exec_lo, s0
	s_cbranch_execz .LBB18_30
; %bb.27:
	v_subrev_nc_u32_e32 v3, s17, v8
	s_mov_b32 s12, s14
	s_mov_b32 s1, exec_lo
                                        ; implicit-def: $vgpr4
                                        ; implicit-def: $vgpr1_vgpr2
	s_delay_alu instid0(VALU_DEP_1)
	v_cmpx_gt_u32_e64 s19, v3
; %bb.28:
	v_mov_b32_e32 v4, 0
	v_mul_u32_u24_e32 v11, 7, v0
	s_or_b32 s12, s14, exec_lo
	s_delay_alu instid0(VALU_DEP_2) | instskip(NEXT) | instid1(VALU_DEP_2)
	v_lshlrev_b64 v[1:2], 3, v[3:4]
	v_add3_u32 v4, v0, v11, 0x1000
	s_delay_alu instid0(VALU_DEP_2) | instskip(NEXT) | instid1(VALU_DEP_3)
	v_add_co_u32 v1, vcc_lo, s8, v1
	v_add_co_ci_u32_e32 v2, vcc_lo, s9, v2, vcc_lo
; %bb.29:
	s_or_b32 exec_lo, exec_lo, s1
	s_delay_alu instid0(SALU_CYCLE_1) | instskip(SKIP_1) | instid1(SALU_CYCLE_1)
	s_and_not1_b32 s1, s14, exec_lo
	s_and_b32 s8, s12, exec_lo
	s_or_b32 s14, s1, s8
.LBB18_30:
	s_and_not1_saveexec_b32 s0, s0
; %bb.31:
	v_lshlrev_b32_e32 v1, 3, v8
	v_mul_u32_u24_e32 v3, 7, v0
	s_or_b32 s14, s14, exec_lo
	s_delay_alu instid0(VALU_DEP_2) | instskip(NEXT) | instid1(VALU_DEP_1)
	v_add_co_u32 v1, s1, s2, v1
	v_add_co_ci_u32_e64 v2, null, s5, 0, s1
	s_delay_alu instid0(VALU_DEP_3)
	v_add3_u32 v4, v0, v3, 0x1000
; %bb.32:
	s_or_b32 exec_lo, exec_lo, s0
.LBB18_33:
	s_and_saveexec_b32 s0, s14
	s_cbranch_execz .LBB18_35
; %bb.34:
	global_load_b64 v[1:2], v[1:2], off
	s_waitcnt vmcnt(0)
	ds_store_b64 v4, v[1:2]
.LBB18_35:
	s_or_b32 exec_lo, exec_lo, s0
	v_add_nc_u32_e32 v1, s3, v6
	s_and_not1_b32 vcc_lo, exec_lo, s18
	s_waitcnt lgkmcnt(0)
	s_barrier
	buffer_gl0_inv
	s_cbranch_vccnz .LBB18_37
; %bb.36:
	v_lshlrev_b32_e32 v2, 3, v10
	s_mov_b32 s0, -1
	ds_load_b64 v[3:4], v2
	v_mov_b32_e32 v2, 0
	s_delay_alu instid0(VALU_DEP_1) | instskip(NEXT) | instid1(VALU_DEP_1)
	v_lshlrev_b64 v[11:12], 3, v[1:2]
	v_add_co_u32 v11, vcc_lo, s10, v11
	s_delay_alu instid0(VALU_DEP_2)
	v_add_co_ci_u32_e32 v12, vcc_lo, s11, v12, vcc_lo
	s_waitcnt lgkmcnt(0)
	global_store_b64 v[11:12], v[3:4], off
	s_cbranch_execz .LBB18_38
	s_branch .LBB18_43
.LBB18_37:
	s_mov_b32 s0, 0
.LBB18_38:
	s_mov_b32 s1, exec_lo
	v_cmpx_gt_u32_e64 s4, v6
	s_cbranch_execz .LBB18_40
; %bb.39:
	v_lshlrev_b32_e32 v2, 3, v10
	ds_load_b64 v[3:4], v2
	v_mov_b32_e32 v2, 0
	s_delay_alu instid0(VALU_DEP_1) | instskip(NEXT) | instid1(VALU_DEP_1)
	v_lshlrev_b64 v[10:11], 3, v[1:2]
	v_add_co_u32 v10, vcc_lo, s10, v10
	s_delay_alu instid0(VALU_DEP_2)
	v_add_co_ci_u32_e32 v11, vcc_lo, s11, v11, vcc_lo
	s_waitcnt lgkmcnt(0)
	global_store_b64 v[10:11], v[3:4], off
.LBB18_40:
	s_or_b32 exec_lo, exec_lo, s1
	v_or_b32_e32 v2, 1, v6
	s_mov_b32 s1, exec_lo
	s_delay_alu instid0(VALU_DEP_1)
	v_cmpx_gt_u32_e64 s4, v2
; %bb.41:
	v_mov_b32_e32 v2, 0
	s_or_b32 s0, s0, exec_lo
; %bb.42:
	s_or_b32 exec_lo, exec_lo, s1
.LBB18_43:
	s_and_saveexec_b32 s1, s0
	s_cbranch_execz .LBB18_45
; %bb.44:
	v_lshlrev_b32_e32 v3, 3, v9
	v_lshlrev_b64 v[1:2], 3, v[1:2]
	ds_load_b64 v[3:4], v3
	v_add_co_u32 v1, vcc_lo, s10, v1
	v_add_co_ci_u32_e32 v2, vcc_lo, s11, v2, vcc_lo
	s_waitcnt lgkmcnt(0)
	global_store_b64 v[1:2], v[3:4], off offset:8
.LBB18_45:
	s_or_b32 exec_lo, exec_lo, s1
	v_lshrrev_b32_e32 v1, 4, v0
	v_and_b32_e32 v2, 0xff, v5
	v_lshlrev_b16 v3, 8, v7
	v_lshrrev_b32_e32 v4, 5, v8
	s_add_u32 s1, s6, s3
	v_and_b32_e32 v1, 28, v1
	s_waitcnt_vscnt null, 0x0
	v_or_b32_e32 v2, v2, v3
	v_lshrrev_b32_e32 v3, 5, v0
	v_and_b32_e32 v4, 28, v4
	v_add_nc_u32_e32 v1, v1, v6
	s_barrier
	buffer_gl0_inv
	s_barrier
	buffer_gl0_inv
	s_addc_u32 s2, s7, 0
	ds_store_b16 v1, v2
	v_add_co_u32 v1, s1, s1, v0
	v_and_b32_e32 v3, 12, v3
	v_add_co_ci_u32_e64 v2, null, s2, 0, s1
	v_add_nc_u32_e32 v5, v0, v4
	s_mov_b32 s0, 0
	s_and_b32 vcc_lo, exec_lo, s18
	s_waitcnt lgkmcnt(0)
	s_cbranch_vccz .LBB18_47
; %bb.46:
	v_add_nc_u32_e32 v4, v0, v3
	s_barrier
	buffer_gl0_inv
	s_mov_b32 s0, -1
	ds_load_u8 v6, v4
	ds_load_u8 v4, v5 offset:512
	s_waitcnt lgkmcnt(1)
	global_store_b8 v[1:2], v6, off
	s_cbranch_execz .LBB18_48
	s_branch .LBB18_51
.LBB18_47:
                                        ; implicit-def: $vgpr4
.LBB18_48:
	s_waitcnt lgkmcnt(0)
	s_waitcnt_vscnt null, 0x0
	s_barrier
	buffer_gl0_inv
	ds_load_u8 v4, v5 offset:512
	s_sub_i32 s0, s16, s3
	s_mov_b32 s1, exec_lo
	v_cmpx_gt_u32_e64 s0, v0
	s_cbranch_execz .LBB18_50
; %bb.49:
	v_add_nc_u32_e32 v0, v0, v3
	ds_load_u8 v0, v0
	s_waitcnt lgkmcnt(0)
	global_store_b8 v[1:2], v0, off
.LBB18_50:
	s_or_b32 exec_lo, exec_lo, s1
	v_cmp_gt_u32_e64 s0, s0, v8
.LBB18_51:
	s_delay_alu instid0(VALU_DEP_1)
	s_and_saveexec_b32 s1, s0
	s_cbranch_execz .LBB18_53
; %bb.52:
	s_waitcnt lgkmcnt(0)
	global_store_b8 v[1:2], v4, off offset:512
.LBB18_53:
	s_nop 0
	s_sendmsg sendmsg(MSG_DEALLOC_VGPRS)
	s_endpgm
.LBB18_54:
	v_subrev_nc_u32_e32 v3, s17, v0
	s_mov_b32 s12, exec_lo
                                        ; implicit-def: $vgpr1_vgpr2
	s_delay_alu instid0(VALU_DEP_1)
	v_cmpx_gt_u32_e64 s19, v3
	s_xor_b32 s12, exec_lo, s12
; %bb.55:
	v_mov_b32_e32 v4, 0
	s_mov_b32 s1, exec_lo
	s_delay_alu instid0(VALU_DEP_1) | instskip(NEXT) | instid1(VALU_DEP_1)
	v_lshlrev_b64 v[1:2], 3, v[3:4]
	v_add_co_u32 v1, vcc_lo, s8, v1
	s_delay_alu instid0(VALU_DEP_2)
	v_add_co_ci_u32_e32 v2, vcc_lo, s9, v2, vcc_lo
; %bb.56:
	s_or_b32 exec_lo, exec_lo, s12
	s_delay_alu instid0(SALU_CYCLE_1)
	s_and_b32 s1, s1, exec_lo
	s_and_not1_saveexec_b32 s0, s0
	s_cbranch_execz .LBB18_24
.LBB18_57:
	v_lshlrev_b32_e32 v1, 3, v0
	s_or_b32 s1, s1, exec_lo
	s_delay_alu instid0(VALU_DEP_1) | instskip(NEXT) | instid1(VALU_DEP_1)
	v_add_co_u32 v1, s12, s2, v1
	v_add_co_ci_u32_e64 v2, null, s5, 0, s12
	s_or_b32 exec_lo, exec_lo, s0
	s_and_saveexec_b32 s0, s1
	s_cbranch_execnz .LBB18_25
	s_branch .LBB18_26
	.section	.rodata,"a",@progbits
	.p2align	6, 0x0
	.amdhsa_kernel _ZN7rocprim17ROCPRIM_304000_NS6detail35device_block_merge_mergepath_kernelINS1_37wrapped_merge_sort_block_merge_configINS0_14default_configEhN2at4cuda3cub6detail10OpaqueTypeILi8EEEEEPhSC_PSA_SD_jNS1_19radix_merge_compareILb0ELb0EhNS0_19identity_decomposerEEEEEvT0_T1_T2_T3_T4_SL_jT5_PKSL_NS1_7vsmem_tE
		.amdhsa_group_segment_fixed_size 8208
		.amdhsa_private_segment_fixed_size 0
		.amdhsa_kernarg_size 320
		.amdhsa_user_sgpr_count 13
		.amdhsa_user_sgpr_dispatch_ptr 0
		.amdhsa_user_sgpr_queue_ptr 0
		.amdhsa_user_sgpr_kernarg_segment_ptr 1
		.amdhsa_user_sgpr_dispatch_id 0
		.amdhsa_user_sgpr_private_segment_size 0
		.amdhsa_wavefront_size32 1
		.amdhsa_uses_dynamic_stack 0
		.amdhsa_enable_private_segment 0
		.amdhsa_system_sgpr_workgroup_id_x 1
		.amdhsa_system_sgpr_workgroup_id_y 1
		.amdhsa_system_sgpr_workgroup_id_z 1
		.amdhsa_system_sgpr_workgroup_info 0
		.amdhsa_system_vgpr_workitem_id 0
		.amdhsa_next_free_vgpr 16
		.amdhsa_next_free_sgpr 27
		.amdhsa_reserve_vcc 1
		.amdhsa_float_round_mode_32 0
		.amdhsa_float_round_mode_16_64 0
		.amdhsa_float_denorm_mode_32 3
		.amdhsa_float_denorm_mode_16_64 3
		.amdhsa_dx10_clamp 1
		.amdhsa_ieee_mode 1
		.amdhsa_fp16_overflow 0
		.amdhsa_workgroup_processor_mode 1
		.amdhsa_memory_ordered 1
		.amdhsa_forward_progress 0
		.amdhsa_shared_vgpr_count 0
		.amdhsa_exception_fp_ieee_invalid_op 0
		.amdhsa_exception_fp_denorm_src 0
		.amdhsa_exception_fp_ieee_div_zero 0
		.amdhsa_exception_fp_ieee_overflow 0
		.amdhsa_exception_fp_ieee_underflow 0
		.amdhsa_exception_fp_ieee_inexact 0
		.amdhsa_exception_int_div_zero 0
	.end_amdhsa_kernel
	.section	.text._ZN7rocprim17ROCPRIM_304000_NS6detail35device_block_merge_mergepath_kernelINS1_37wrapped_merge_sort_block_merge_configINS0_14default_configEhN2at4cuda3cub6detail10OpaqueTypeILi8EEEEEPhSC_PSA_SD_jNS1_19radix_merge_compareILb0ELb0EhNS0_19identity_decomposerEEEEEvT0_T1_T2_T3_T4_SL_jT5_PKSL_NS1_7vsmem_tE,"axG",@progbits,_ZN7rocprim17ROCPRIM_304000_NS6detail35device_block_merge_mergepath_kernelINS1_37wrapped_merge_sort_block_merge_configINS0_14default_configEhN2at4cuda3cub6detail10OpaqueTypeILi8EEEEEPhSC_PSA_SD_jNS1_19radix_merge_compareILb0ELb0EhNS0_19identity_decomposerEEEEEvT0_T1_T2_T3_T4_SL_jT5_PKSL_NS1_7vsmem_tE,comdat
.Lfunc_end18:
	.size	_ZN7rocprim17ROCPRIM_304000_NS6detail35device_block_merge_mergepath_kernelINS1_37wrapped_merge_sort_block_merge_configINS0_14default_configEhN2at4cuda3cub6detail10OpaqueTypeILi8EEEEEPhSC_PSA_SD_jNS1_19radix_merge_compareILb0ELb0EhNS0_19identity_decomposerEEEEEvT0_T1_T2_T3_T4_SL_jT5_PKSL_NS1_7vsmem_tE, .Lfunc_end18-_ZN7rocprim17ROCPRIM_304000_NS6detail35device_block_merge_mergepath_kernelINS1_37wrapped_merge_sort_block_merge_configINS0_14default_configEhN2at4cuda3cub6detail10OpaqueTypeILi8EEEEEPhSC_PSA_SD_jNS1_19radix_merge_compareILb0ELb0EhNS0_19identity_decomposerEEEEEvT0_T1_T2_T3_T4_SL_jT5_PKSL_NS1_7vsmem_tE
                                        ; -- End function
	.section	.AMDGPU.csdata,"",@progbits
; Kernel info:
; codeLenInByte = 2376
; NumSgprs: 29
; NumVgprs: 16
; ScratchSize: 0
; MemoryBound: 1
; FloatMode: 240
; IeeeMode: 1
; LDSByteSize: 8208 bytes/workgroup (compile time only)
; SGPRBlocks: 3
; VGPRBlocks: 1
; NumSGPRsForWavesPerEU: 29
; NumVGPRsForWavesPerEU: 16
; Occupancy: 16
; WaveLimiterHint : 1
; COMPUTE_PGM_RSRC2:SCRATCH_EN: 0
; COMPUTE_PGM_RSRC2:USER_SGPR: 13
; COMPUTE_PGM_RSRC2:TRAP_HANDLER: 0
; COMPUTE_PGM_RSRC2:TGID_X_EN: 1
; COMPUTE_PGM_RSRC2:TGID_Y_EN: 1
; COMPUTE_PGM_RSRC2:TGID_Z_EN: 1
; COMPUTE_PGM_RSRC2:TIDIG_COMP_CNT: 0
	.section	.text._ZN7rocprim17ROCPRIM_304000_NS6detail33device_block_merge_oddeven_kernelINS1_37wrapped_merge_sort_block_merge_configINS0_14default_configEhN2at4cuda3cub6detail10OpaqueTypeILi8EEEEEPhSC_PSA_SD_jNS1_19radix_merge_compareILb0ELb0EhNS0_19identity_decomposerEEEEEvT0_T1_T2_T3_T4_SL_T5_,"axG",@progbits,_ZN7rocprim17ROCPRIM_304000_NS6detail33device_block_merge_oddeven_kernelINS1_37wrapped_merge_sort_block_merge_configINS0_14default_configEhN2at4cuda3cub6detail10OpaqueTypeILi8EEEEEPhSC_PSA_SD_jNS1_19radix_merge_compareILb0ELb0EhNS0_19identity_decomposerEEEEEvT0_T1_T2_T3_T4_SL_T5_,comdat
	.protected	_ZN7rocprim17ROCPRIM_304000_NS6detail33device_block_merge_oddeven_kernelINS1_37wrapped_merge_sort_block_merge_configINS0_14default_configEhN2at4cuda3cub6detail10OpaqueTypeILi8EEEEEPhSC_PSA_SD_jNS1_19radix_merge_compareILb0ELb0EhNS0_19identity_decomposerEEEEEvT0_T1_T2_T3_T4_SL_T5_ ; -- Begin function _ZN7rocprim17ROCPRIM_304000_NS6detail33device_block_merge_oddeven_kernelINS1_37wrapped_merge_sort_block_merge_configINS0_14default_configEhN2at4cuda3cub6detail10OpaqueTypeILi8EEEEEPhSC_PSA_SD_jNS1_19radix_merge_compareILb0ELb0EhNS0_19identity_decomposerEEEEEvT0_T1_T2_T3_T4_SL_T5_
	.globl	_ZN7rocprim17ROCPRIM_304000_NS6detail33device_block_merge_oddeven_kernelINS1_37wrapped_merge_sort_block_merge_configINS0_14default_configEhN2at4cuda3cub6detail10OpaqueTypeILi8EEEEEPhSC_PSA_SD_jNS1_19radix_merge_compareILb0ELb0EhNS0_19identity_decomposerEEEEEvT0_T1_T2_T3_T4_SL_T5_
	.p2align	8
	.type	_ZN7rocprim17ROCPRIM_304000_NS6detail33device_block_merge_oddeven_kernelINS1_37wrapped_merge_sort_block_merge_configINS0_14default_configEhN2at4cuda3cub6detail10OpaqueTypeILi8EEEEEPhSC_PSA_SD_jNS1_19radix_merge_compareILb0ELb0EhNS0_19identity_decomposerEEEEEvT0_T1_T2_T3_T4_SL_T5_,@function
_ZN7rocprim17ROCPRIM_304000_NS6detail33device_block_merge_oddeven_kernelINS1_37wrapped_merge_sort_block_merge_configINS0_14default_configEhN2at4cuda3cub6detail10OpaqueTypeILi8EEEEEPhSC_PSA_SD_jNS1_19radix_merge_compareILb0ELb0EhNS0_19identity_decomposerEEEEEvT0_T1_T2_T3_T4_SL_T5_: ; @_ZN7rocprim17ROCPRIM_304000_NS6detail33device_block_merge_oddeven_kernelINS1_37wrapped_merge_sort_block_merge_configINS0_14default_configEhN2at4cuda3cub6detail10OpaqueTypeILi8EEEEEPhSC_PSA_SD_jNS1_19radix_merge_compareILb0ELb0EhNS0_19identity_decomposerEEEEEvT0_T1_T2_T3_T4_SL_T5_
; %bb.0:
	s_load_b64 s[16:17], s[0:1], 0x20
	s_waitcnt lgkmcnt(0)
	s_lshr_b32 s2, s16, 8
	s_delay_alu instid0(SALU_CYCLE_1) | instskip(SKIP_4) | instid1(SALU_CYCLE_1)
	s_cmp_lg_u32 s15, s2
	s_cselect_b32 s4, -1, 0
	s_cmp_eq_u32 s15, s2
	s_cselect_b32 s3, -1, 0
	s_lshl_b32 s12, s15, 8
	s_sub_i32 s2, s16, s12
	s_delay_alu instid0(SALU_CYCLE_1) | instskip(NEXT) | instid1(VALU_DEP_1)
	v_cmp_gt_u32_e64 s2, s2, v0
	s_or_b32 s4, s4, s2
	s_delay_alu instid0(SALU_CYCLE_1)
	s_and_saveexec_b32 s5, s4
	s_cbranch_execz .LBB19_26
; %bb.1:
	s_load_b256 s[4:11], s[0:1], 0x0
	s_mov_b32 s13, 0
	v_lshlrev_b32_e32 v1, 3, v0
	v_add_nc_u32_e32 v5, s12, v0
	s_waitcnt lgkmcnt(0)
	s_add_u32 s0, s4, s12
	s_addc_u32 s1, s5, 0
	s_lshl_b64 s[18:19], s[12:13], 3
	s_delay_alu instid0(SALU_CYCLE_1) | instskip(SKIP_4) | instid1(SALU_CYCLE_1)
	s_add_u32 s8, s8, s18
	s_addc_u32 s9, s9, s19
	global_load_b64 v[1:2], v1, s[8:9]
	global_load_u8 v7, v0, s[0:1]
	s_lshr_b32 s0, s17, 8
	s_sub_i32 s1, 0, s0
	s_delay_alu instid0(SALU_CYCLE_1) | instskip(NEXT) | instid1(SALU_CYCLE_1)
	s_and_b32 s1, s15, s1
	s_and_b32 s0, s1, s0
	s_lshl_b32 s9, s1, 8
	s_sub_i32 s1, 0, s17
	s_cmp_eq_u32 s0, 0
	s_cselect_b32 s0, -1, 0
	s_delay_alu instid0(SALU_CYCLE_1) | instskip(SKIP_1) | instid1(SALU_CYCLE_1)
	s_and_b32 s8, s0, exec_lo
	s_cselect_b32 s1, s17, s1
	s_add_i32 s1, s1, s9
	s_delay_alu instid0(SALU_CYCLE_1)
	s_cmp_lt_u32 s1, s16
	s_cbranch_scc1 .LBB19_6
; %bb.2:
	s_and_b32 vcc_lo, exec_lo, s3
	s_cbranch_vccz .LBB19_7
; %bb.3:
	s_mov_b32 s8, 0
	s_mov_b32 s12, exec_lo
                                        ; implicit-def: $vgpr3_vgpr4
	v_cmpx_gt_u32_e64 s16, v5
	s_cbranch_execz .LBB19_5
; %bb.4:
	v_mov_b32_e32 v6, 0
	s_mov_b32 s13, exec_lo
	s_waitcnt vmcnt(0)
	global_store_b8 v5, v7, s[6:7]
	v_lshlrev_b64 v[3:4], 3, v[5:6]
	s_delay_alu instid0(VALU_DEP_1) | instskip(NEXT) | instid1(VALU_DEP_2)
	v_add_co_u32 v3, vcc_lo, s10, v3
	v_add_co_ci_u32_e32 v4, vcc_lo, s11, v4, vcc_lo
.LBB19_5:
	s_or_b32 exec_lo, exec_lo, s12
	s_delay_alu instid0(SALU_CYCLE_1)
	s_and_b32 vcc_lo, exec_lo, s8
	s_cbranch_vccnz .LBB19_8
	s_branch .LBB19_9
.LBB19_6:
                                        ; implicit-def: $vgpr3_vgpr4
	s_cbranch_execnz .LBB19_10
	s_branch .LBB19_24
.LBB19_7:
                                        ; implicit-def: $vgpr3_vgpr4
	s_cbranch_execz .LBB19_9
.LBB19_8:
	v_mov_b32_e32 v6, 0
	s_or_b32 s13, s13, exec_lo
	s_waitcnt vmcnt(0)
	global_store_b8 v5, v7, s[6:7]
	v_lshlrev_b64 v[3:4], 3, v[5:6]
	s_delay_alu instid0(VALU_DEP_1) | instskip(NEXT) | instid1(VALU_DEP_2)
	v_add_co_u32 v3, vcc_lo, s10, v3
	v_add_co_ci_u32_e32 v4, vcc_lo, s11, v4, vcc_lo
.LBB19_9:
	s_branch .LBB19_24
.LBB19_10:
	s_min_u32 s8, s1, s16
	s_and_b32 vcc_lo, exec_lo, s3
	s_add_i32 s12, s9, s8
	s_min_u32 s9, s9, s8
	v_subrev_nc_u32_e32 v0, s12, v5
	s_add_i32 s12, s8, s17
	s_delay_alu instid0(SALU_CYCLE_1) | instskip(NEXT) | instid1(VALU_DEP_1)
	s_min_u32 s3, s12, s16
	v_add_nc_u32_e32 v0, s9, v0
	s_cbranch_vccz .LBB19_18
; %bb.11:
                                        ; implicit-def: $vgpr3_vgpr4
	s_and_saveexec_b32 s9, s2
	s_cbranch_execz .LBB19_17
; %bb.12:
	v_mov_b32_e32 v3, s8
	s_cmp_ge_u32 s1, s3
	s_cbranch_scc1 .LBB19_16
; %bb.13:
	v_dual_mov_b32 v4, s3 :: v_dual_mov_b32 v3, s8
	s_waitcnt vmcnt(0)
	v_and_b32_e32 v5, 0xff, v7
	s_mov_b32 s2, 0
	.p2align	6
.LBB19_14:                              ; =>This Inner Loop Header: Depth=1
	s_delay_alu instid0(VALU_DEP_2) | instskip(NEXT) | instid1(VALU_DEP_1)
	v_add_nc_u32_e32 v6, v3, v4
	v_lshrrev_b32_e32 v6, 1, v6
	global_load_u8 v8, v6, s[4:5]
	s_waitcnt vmcnt(0)
	v_cmp_gt_u16_e32 vcc_lo, v5, v8
	v_cndmask_b32_e64 v9, 0, 1, vcc_lo
	v_cmp_le_u16_e32 vcc_lo, v8, v5
	v_cndmask_b32_e64 v8, 0, 1, vcc_lo
	s_delay_alu instid0(VALU_DEP_1) | instskip(SKIP_1) | instid1(VALU_DEP_2)
	v_cndmask_b32_e64 v8, v8, v9, s0
	v_add_nc_u32_e32 v9, 1, v6
	v_and_b32_e32 v8, 1, v8
	s_delay_alu instid0(VALU_DEP_1) | instskip(NEXT) | instid1(VALU_DEP_3)
	v_cmp_eq_u32_e32 vcc_lo, 1, v8
	v_dual_cndmask_b32 v4, v6, v4 :: v_dual_cndmask_b32 v3, v3, v9
	s_delay_alu instid0(VALU_DEP_1) | instskip(SKIP_1) | instid1(SALU_CYCLE_1)
	v_cmp_ge_u32_e32 vcc_lo, v3, v4
	s_or_b32 s2, vcc_lo, s2
	s_and_not1_b32 exec_lo, exec_lo, s2
	s_cbranch_execnz .LBB19_14
; %bb.15:
	s_or_b32 exec_lo, exec_lo, s2
.LBB19_16:
	s_delay_alu instid0(VALU_DEP_1) | instskip(SKIP_4) | instid1(VALU_DEP_1)
	v_dual_mov_b32 v6, 0 :: v_dual_add_nc_u32 v5, v3, v0
	s_or_b32 s13, s13, exec_lo
	s_waitcnt vmcnt(0)
	global_store_b8 v5, v7, s[6:7]
	v_lshlrev_b64 v[3:4], 3, v[5:6]
	v_add_co_u32 v3, vcc_lo, s10, v3
	s_delay_alu instid0(VALU_DEP_2)
	v_add_co_ci_u32_e32 v4, vcc_lo, s11, v4, vcc_lo
.LBB19_17:
	s_or_b32 exec_lo, exec_lo, s9
	s_branch .LBB19_24
.LBB19_18:
                                        ; implicit-def: $vgpr3_vgpr4
	s_cbranch_execz .LBB19_24
; %bb.19:
	v_mov_b32_e32 v3, s8
	s_cmp_ge_u32 s1, s3
	s_cbranch_scc1 .LBB19_23
; %bb.20:
	v_dual_mov_b32 v4, s3 :: v_dual_mov_b32 v3, s8
	s_waitcnt vmcnt(0)
	v_and_b32_e32 v5, 0xff, v7
	s_mov_b32 s1, 0
	.p2align	6
.LBB19_21:                              ; =>This Inner Loop Header: Depth=1
	s_delay_alu instid0(VALU_DEP_2) | instskip(NEXT) | instid1(VALU_DEP_1)
	v_add_nc_u32_e32 v6, v3, v4
	v_lshrrev_b32_e32 v6, 1, v6
	global_load_u8 v8, v6, s[4:5]
	s_waitcnt vmcnt(0)
	v_cmp_gt_u16_e32 vcc_lo, v5, v8
	v_cndmask_b32_e64 v9, 0, 1, vcc_lo
	v_cmp_le_u16_e32 vcc_lo, v8, v5
	v_cndmask_b32_e64 v8, 0, 1, vcc_lo
	s_delay_alu instid0(VALU_DEP_1) | instskip(SKIP_1) | instid1(VALU_DEP_2)
	v_cndmask_b32_e64 v8, v8, v9, s0
	v_add_nc_u32_e32 v9, 1, v6
	v_and_b32_e32 v8, 1, v8
	s_delay_alu instid0(VALU_DEP_1) | instskip(NEXT) | instid1(VALU_DEP_3)
	v_cmp_eq_u32_e32 vcc_lo, 1, v8
	v_dual_cndmask_b32 v4, v6, v4 :: v_dual_cndmask_b32 v3, v3, v9
	s_delay_alu instid0(VALU_DEP_1) | instskip(SKIP_1) | instid1(SALU_CYCLE_1)
	v_cmp_ge_u32_e32 vcc_lo, v3, v4
	s_or_b32 s1, vcc_lo, s1
	s_and_not1_b32 exec_lo, exec_lo, s1
	s_cbranch_execnz .LBB19_21
; %bb.22:
	s_or_b32 exec_lo, exec_lo, s1
.LBB19_23:
	s_delay_alu instid0(VALU_DEP_1) | instskip(SKIP_4) | instid1(VALU_DEP_1)
	v_dual_mov_b32 v6, 0 :: v_dual_add_nc_u32 v5, v3, v0
	s_mov_b32 s13, -1
	s_waitcnt vmcnt(0)
	global_store_b8 v5, v7, s[6:7]
	v_lshlrev_b64 v[3:4], 3, v[5:6]
	v_add_co_u32 v3, vcc_lo, s10, v3
	s_delay_alu instid0(VALU_DEP_2)
	v_add_co_ci_u32_e32 v4, vcc_lo, s11, v4, vcc_lo
.LBB19_24:
	s_and_b32 exec_lo, exec_lo, s13
	s_cbranch_execz .LBB19_26
; %bb.25:
	s_waitcnt vmcnt(1)
	global_store_b64 v[3:4], v[1:2], off
.LBB19_26:
	s_nop 0
	s_sendmsg sendmsg(MSG_DEALLOC_VGPRS)
	s_endpgm
	.section	.rodata,"a",@progbits
	.p2align	6, 0x0
	.amdhsa_kernel _ZN7rocprim17ROCPRIM_304000_NS6detail33device_block_merge_oddeven_kernelINS1_37wrapped_merge_sort_block_merge_configINS0_14default_configEhN2at4cuda3cub6detail10OpaqueTypeILi8EEEEEPhSC_PSA_SD_jNS1_19radix_merge_compareILb0ELb0EhNS0_19identity_decomposerEEEEEvT0_T1_T2_T3_T4_SL_T5_
		.amdhsa_group_segment_fixed_size 0
		.amdhsa_private_segment_fixed_size 0
		.amdhsa_kernarg_size 44
		.amdhsa_user_sgpr_count 15
		.amdhsa_user_sgpr_dispatch_ptr 0
		.amdhsa_user_sgpr_queue_ptr 0
		.amdhsa_user_sgpr_kernarg_segment_ptr 1
		.amdhsa_user_sgpr_dispatch_id 0
		.amdhsa_user_sgpr_private_segment_size 0
		.amdhsa_wavefront_size32 1
		.amdhsa_uses_dynamic_stack 0
		.amdhsa_enable_private_segment 0
		.amdhsa_system_sgpr_workgroup_id_x 1
		.amdhsa_system_sgpr_workgroup_id_y 0
		.amdhsa_system_sgpr_workgroup_id_z 0
		.amdhsa_system_sgpr_workgroup_info 0
		.amdhsa_system_vgpr_workitem_id 0
		.amdhsa_next_free_vgpr 10
		.amdhsa_next_free_sgpr 20
		.amdhsa_reserve_vcc 1
		.amdhsa_float_round_mode_32 0
		.amdhsa_float_round_mode_16_64 0
		.amdhsa_float_denorm_mode_32 3
		.amdhsa_float_denorm_mode_16_64 3
		.amdhsa_dx10_clamp 1
		.amdhsa_ieee_mode 1
		.amdhsa_fp16_overflow 0
		.amdhsa_workgroup_processor_mode 1
		.amdhsa_memory_ordered 1
		.amdhsa_forward_progress 0
		.amdhsa_shared_vgpr_count 0
		.amdhsa_exception_fp_ieee_invalid_op 0
		.amdhsa_exception_fp_denorm_src 0
		.amdhsa_exception_fp_ieee_div_zero 0
		.amdhsa_exception_fp_ieee_overflow 0
		.amdhsa_exception_fp_ieee_underflow 0
		.amdhsa_exception_fp_ieee_inexact 0
		.amdhsa_exception_int_div_zero 0
	.end_amdhsa_kernel
	.section	.text._ZN7rocprim17ROCPRIM_304000_NS6detail33device_block_merge_oddeven_kernelINS1_37wrapped_merge_sort_block_merge_configINS0_14default_configEhN2at4cuda3cub6detail10OpaqueTypeILi8EEEEEPhSC_PSA_SD_jNS1_19radix_merge_compareILb0ELb0EhNS0_19identity_decomposerEEEEEvT0_T1_T2_T3_T4_SL_T5_,"axG",@progbits,_ZN7rocprim17ROCPRIM_304000_NS6detail33device_block_merge_oddeven_kernelINS1_37wrapped_merge_sort_block_merge_configINS0_14default_configEhN2at4cuda3cub6detail10OpaqueTypeILi8EEEEEPhSC_PSA_SD_jNS1_19radix_merge_compareILb0ELb0EhNS0_19identity_decomposerEEEEEvT0_T1_T2_T3_T4_SL_T5_,comdat
.Lfunc_end19:
	.size	_ZN7rocprim17ROCPRIM_304000_NS6detail33device_block_merge_oddeven_kernelINS1_37wrapped_merge_sort_block_merge_configINS0_14default_configEhN2at4cuda3cub6detail10OpaqueTypeILi8EEEEEPhSC_PSA_SD_jNS1_19radix_merge_compareILb0ELb0EhNS0_19identity_decomposerEEEEEvT0_T1_T2_T3_T4_SL_T5_, .Lfunc_end19-_ZN7rocprim17ROCPRIM_304000_NS6detail33device_block_merge_oddeven_kernelINS1_37wrapped_merge_sort_block_merge_configINS0_14default_configEhN2at4cuda3cub6detail10OpaqueTypeILi8EEEEEPhSC_PSA_SD_jNS1_19radix_merge_compareILb0ELb0EhNS0_19identity_decomposerEEEEEvT0_T1_T2_T3_T4_SL_T5_
                                        ; -- End function
	.section	.AMDGPU.csdata,"",@progbits
; Kernel info:
; codeLenInByte = 836
; NumSgprs: 22
; NumVgprs: 10
; ScratchSize: 0
; MemoryBound: 0
; FloatMode: 240
; IeeeMode: 1
; LDSByteSize: 0 bytes/workgroup (compile time only)
; SGPRBlocks: 2
; VGPRBlocks: 1
; NumSGPRsForWavesPerEU: 22
; NumVGPRsForWavesPerEU: 10
; Occupancy: 16
; WaveLimiterHint : 0
; COMPUTE_PGM_RSRC2:SCRATCH_EN: 0
; COMPUTE_PGM_RSRC2:USER_SGPR: 15
; COMPUTE_PGM_RSRC2:TRAP_HANDLER: 0
; COMPUTE_PGM_RSRC2:TGID_X_EN: 1
; COMPUTE_PGM_RSRC2:TGID_Y_EN: 0
; COMPUTE_PGM_RSRC2:TGID_Z_EN: 0
; COMPUTE_PGM_RSRC2:TIDIG_COMP_CNT: 0
	.section	.text._ZN7rocprim17ROCPRIM_304000_NS6detail45device_block_merge_mergepath_partition_kernelINS1_37wrapped_merge_sort_block_merge_configINS0_14default_configEhN2at4cuda3cub6detail10OpaqueTypeILi8EEEEEPhjNS1_19radix_merge_compareILb0ELb1EhNS0_19identity_decomposerEEEEEvT0_T1_jPSH_T2_SH_,"axG",@progbits,_ZN7rocprim17ROCPRIM_304000_NS6detail45device_block_merge_mergepath_partition_kernelINS1_37wrapped_merge_sort_block_merge_configINS0_14default_configEhN2at4cuda3cub6detail10OpaqueTypeILi8EEEEEPhjNS1_19radix_merge_compareILb0ELb1EhNS0_19identity_decomposerEEEEEvT0_T1_jPSH_T2_SH_,comdat
	.protected	_ZN7rocprim17ROCPRIM_304000_NS6detail45device_block_merge_mergepath_partition_kernelINS1_37wrapped_merge_sort_block_merge_configINS0_14default_configEhN2at4cuda3cub6detail10OpaqueTypeILi8EEEEEPhjNS1_19radix_merge_compareILb0ELb1EhNS0_19identity_decomposerEEEEEvT0_T1_jPSH_T2_SH_ ; -- Begin function _ZN7rocprim17ROCPRIM_304000_NS6detail45device_block_merge_mergepath_partition_kernelINS1_37wrapped_merge_sort_block_merge_configINS0_14default_configEhN2at4cuda3cub6detail10OpaqueTypeILi8EEEEEPhjNS1_19radix_merge_compareILb0ELb1EhNS0_19identity_decomposerEEEEEvT0_T1_jPSH_T2_SH_
	.globl	_ZN7rocprim17ROCPRIM_304000_NS6detail45device_block_merge_mergepath_partition_kernelINS1_37wrapped_merge_sort_block_merge_configINS0_14default_configEhN2at4cuda3cub6detail10OpaqueTypeILi8EEEEEPhjNS1_19radix_merge_compareILb0ELb1EhNS0_19identity_decomposerEEEEEvT0_T1_jPSH_T2_SH_
	.p2align	8
	.type	_ZN7rocprim17ROCPRIM_304000_NS6detail45device_block_merge_mergepath_partition_kernelINS1_37wrapped_merge_sort_block_merge_configINS0_14default_configEhN2at4cuda3cub6detail10OpaqueTypeILi8EEEEEPhjNS1_19radix_merge_compareILb0ELb1EhNS0_19identity_decomposerEEEEEvT0_T1_jPSH_T2_SH_,@function
_ZN7rocprim17ROCPRIM_304000_NS6detail45device_block_merge_mergepath_partition_kernelINS1_37wrapped_merge_sort_block_merge_configINS0_14default_configEhN2at4cuda3cub6detail10OpaqueTypeILi8EEEEEPhjNS1_19radix_merge_compareILb0ELb1EhNS0_19identity_decomposerEEEEEvT0_T1_jPSH_T2_SH_: ; @_ZN7rocprim17ROCPRIM_304000_NS6detail45device_block_merge_mergepath_partition_kernelINS1_37wrapped_merge_sort_block_merge_configINS0_14default_configEhN2at4cuda3cub6detail10OpaqueTypeILi8EEEEEPhjNS1_19radix_merge_compareILb0ELb1EhNS0_19identity_decomposerEEEEEvT0_T1_jPSH_T2_SH_
; %bb.0:
	s_load_b64 s[4:5], s[0:1], 0x8
	v_lshl_or_b32 v0, s15, 7, v0
	s_mov_b32 s2, exec_lo
	s_waitcnt lgkmcnt(0)
	s_delay_alu instid0(VALU_DEP_1)
	v_cmpx_gt_u32_e64 s5, v0
	s_cbranch_execz .LBB20_6
; %bb.1:
	s_load_b64 s[2:3], s[0:1], 0x18
	s_waitcnt lgkmcnt(0)
	s_lshr_b32 s5, s3, 9
	s_delay_alu instid0(SALU_CYCLE_1) | instskip(NEXT) | instid1(SALU_CYCLE_1)
	s_and_b32 s5, s5, 0x7ffffe
	s_sub_i32 s6, 0, s5
	s_add_i32 s5, s5, -1
	v_and_b32_e32 v1, s6, v0
	v_and_b32_e32 v4, s5, v0
	s_delay_alu instid0(VALU_DEP_2) | instskip(NEXT) | instid1(VALU_DEP_1)
	v_lshlrev_b32_e32 v1, 10, v1
	v_add_nc_u32_e32 v2, s3, v1
	s_delay_alu instid0(VALU_DEP_1) | instskip(SKIP_1) | instid1(VALU_DEP_2)
	v_min_u32_e32 v7, s4, v2
	v_min_u32_e32 v2, s4, v1
	v_add_nc_u32_e32 v3, s3, v7
	s_mov_b32 s3, exec_lo
	s_delay_alu instid0(VALU_DEP_1) | instskip(SKIP_1) | instid1(VALU_DEP_2)
	v_min_u32_e32 v1, s4, v3
	v_lshlrev_b32_e32 v3, 10, v4
	v_sub_nc_u32_e32 v4, v1, v2
	v_sub_nc_u32_e32 v5, v1, v7
	s_delay_alu instid0(VALU_DEP_2) | instskip(SKIP_1) | instid1(VALU_DEP_2)
	v_min_u32_e32 v1, v4, v3
	v_sub_nc_u32_e32 v4, v7, v2
	v_sub_nc_u32_e64 v3, v1, v5 clamp
	s_delay_alu instid0(VALU_DEP_2) | instskip(NEXT) | instid1(VALU_DEP_1)
	v_min_u32_e32 v4, v1, v4
	v_cmpx_lt_u32_e64 v3, v4
	s_cbranch_execz .LBB20_5
; %bb.2:
	s_load_b64 s[4:5], s[0:1], 0x0
	s_waitcnt lgkmcnt(0)
	v_add_co_u32 v5, s6, s4, v2
	v_add_co_u32 v7, s4, s4, v7
	v_add_co_ci_u32_e64 v6, null, s5, 0, s6
	v_add_co_ci_u32_e64 v8, null, s5, 0, s4
	s_mov_b32 s4, 0
	.p2align	6
.LBB20_3:                               ; =>This Inner Loop Header: Depth=1
	v_add_nc_u32_e32 v9, v4, v3
	s_delay_alu instid0(VALU_DEP_1) | instskip(NEXT) | instid1(VALU_DEP_1)
	v_lshrrev_b32_e32 v13, 1, v9
	v_xad_u32 v11, v13, -1, v1
	v_add_co_u32 v9, vcc_lo, v5, v13
	v_add_co_ci_u32_e32 v10, vcc_lo, 0, v6, vcc_lo
	s_delay_alu instid0(VALU_DEP_3)
	v_add_co_u32 v11, vcc_lo, v7, v11
	v_add_co_ci_u32_e32 v12, vcc_lo, 0, v8, vcc_lo
	s_clause 0x1
	global_load_u8 v9, v[9:10], off
	global_load_u8 v10, v[11:12], off
	v_add_nc_u32_e32 v11, 1, v13
	s_waitcnt vmcnt(1)
	v_and_b32_e32 v9, s2, v9
	s_waitcnt vmcnt(0)
	v_and_b32_e32 v10, s2, v10
	s_delay_alu instid0(VALU_DEP_2) | instskip(NEXT) | instid1(VALU_DEP_2)
	v_and_b32_e32 v9, 0xff, v9
	v_and_b32_e32 v10, 0xff, v10
	s_delay_alu instid0(VALU_DEP_1) | instskip(SKIP_1) | instid1(VALU_DEP_1)
	v_cmp_gt_u16_e32 vcc_lo, v9, v10
	v_dual_cndmask_b32 v3, v11, v3 :: v_dual_cndmask_b32 v4, v4, v13
	v_cmp_ge_u32_e32 vcc_lo, v3, v4
	s_or_b32 s4, vcc_lo, s4
	s_delay_alu instid0(SALU_CYCLE_1)
	s_and_not1_b32 exec_lo, exec_lo, s4
	s_cbranch_execnz .LBB20_3
; %bb.4:
	s_or_b32 exec_lo, exec_lo, s4
.LBB20_5:
	s_delay_alu instid0(SALU_CYCLE_1) | instskip(SKIP_2) | instid1(VALU_DEP_1)
	s_or_b32 exec_lo, exec_lo, s3
	s_load_b64 s[0:1], s[0:1], 0x10
	v_dual_mov_b32 v1, 0 :: v_dual_add_nc_u32 v2, v3, v2
	v_lshlrev_b64 v[0:1], 2, v[0:1]
	s_waitcnt lgkmcnt(0)
	s_delay_alu instid0(VALU_DEP_1) | instskip(NEXT) | instid1(VALU_DEP_2)
	v_add_co_u32 v0, vcc_lo, s0, v0
	v_add_co_ci_u32_e32 v1, vcc_lo, s1, v1, vcc_lo
	global_store_b32 v[0:1], v2, off
.LBB20_6:
	s_nop 0
	s_sendmsg sendmsg(MSG_DEALLOC_VGPRS)
	s_endpgm
	.section	.rodata,"a",@progbits
	.p2align	6, 0x0
	.amdhsa_kernel _ZN7rocprim17ROCPRIM_304000_NS6detail45device_block_merge_mergepath_partition_kernelINS1_37wrapped_merge_sort_block_merge_configINS0_14default_configEhN2at4cuda3cub6detail10OpaqueTypeILi8EEEEEPhjNS1_19radix_merge_compareILb0ELb1EhNS0_19identity_decomposerEEEEEvT0_T1_jPSH_T2_SH_
		.amdhsa_group_segment_fixed_size 0
		.amdhsa_private_segment_fixed_size 0
		.amdhsa_kernarg_size 32
		.amdhsa_user_sgpr_count 15
		.amdhsa_user_sgpr_dispatch_ptr 0
		.amdhsa_user_sgpr_queue_ptr 0
		.amdhsa_user_sgpr_kernarg_segment_ptr 1
		.amdhsa_user_sgpr_dispatch_id 0
		.amdhsa_user_sgpr_private_segment_size 0
		.amdhsa_wavefront_size32 1
		.amdhsa_uses_dynamic_stack 0
		.amdhsa_enable_private_segment 0
		.amdhsa_system_sgpr_workgroup_id_x 1
		.amdhsa_system_sgpr_workgroup_id_y 0
		.amdhsa_system_sgpr_workgroup_id_z 0
		.amdhsa_system_sgpr_workgroup_info 0
		.amdhsa_system_vgpr_workitem_id 0
		.amdhsa_next_free_vgpr 14
		.amdhsa_next_free_sgpr 16
		.amdhsa_reserve_vcc 1
		.amdhsa_float_round_mode_32 0
		.amdhsa_float_round_mode_16_64 0
		.amdhsa_float_denorm_mode_32 3
		.amdhsa_float_denorm_mode_16_64 3
		.amdhsa_dx10_clamp 1
		.amdhsa_ieee_mode 1
		.amdhsa_fp16_overflow 0
		.amdhsa_workgroup_processor_mode 1
		.amdhsa_memory_ordered 1
		.amdhsa_forward_progress 0
		.amdhsa_shared_vgpr_count 0
		.amdhsa_exception_fp_ieee_invalid_op 0
		.amdhsa_exception_fp_denorm_src 0
		.amdhsa_exception_fp_ieee_div_zero 0
		.amdhsa_exception_fp_ieee_overflow 0
		.amdhsa_exception_fp_ieee_underflow 0
		.amdhsa_exception_fp_ieee_inexact 0
		.amdhsa_exception_int_div_zero 0
	.end_amdhsa_kernel
	.section	.text._ZN7rocprim17ROCPRIM_304000_NS6detail45device_block_merge_mergepath_partition_kernelINS1_37wrapped_merge_sort_block_merge_configINS0_14default_configEhN2at4cuda3cub6detail10OpaqueTypeILi8EEEEEPhjNS1_19radix_merge_compareILb0ELb1EhNS0_19identity_decomposerEEEEEvT0_T1_jPSH_T2_SH_,"axG",@progbits,_ZN7rocprim17ROCPRIM_304000_NS6detail45device_block_merge_mergepath_partition_kernelINS1_37wrapped_merge_sort_block_merge_configINS0_14default_configEhN2at4cuda3cub6detail10OpaqueTypeILi8EEEEEPhjNS1_19radix_merge_compareILb0ELb1EhNS0_19identity_decomposerEEEEEvT0_T1_jPSH_T2_SH_,comdat
.Lfunc_end20:
	.size	_ZN7rocprim17ROCPRIM_304000_NS6detail45device_block_merge_mergepath_partition_kernelINS1_37wrapped_merge_sort_block_merge_configINS0_14default_configEhN2at4cuda3cub6detail10OpaqueTypeILi8EEEEEPhjNS1_19radix_merge_compareILb0ELb1EhNS0_19identity_decomposerEEEEEvT0_T1_jPSH_T2_SH_, .Lfunc_end20-_ZN7rocprim17ROCPRIM_304000_NS6detail45device_block_merge_mergepath_partition_kernelINS1_37wrapped_merge_sort_block_merge_configINS0_14default_configEhN2at4cuda3cub6detail10OpaqueTypeILi8EEEEEPhjNS1_19radix_merge_compareILb0ELb1EhNS0_19identity_decomposerEEEEEvT0_T1_jPSH_T2_SH_
                                        ; -- End function
	.section	.AMDGPU.csdata,"",@progbits
; Kernel info:
; codeLenInByte = 444
; NumSgprs: 18
; NumVgprs: 14
; ScratchSize: 0
; MemoryBound: 0
; FloatMode: 240
; IeeeMode: 1
; LDSByteSize: 0 bytes/workgroup (compile time only)
; SGPRBlocks: 2
; VGPRBlocks: 1
; NumSGPRsForWavesPerEU: 18
; NumVGPRsForWavesPerEU: 14
; Occupancy: 16
; WaveLimiterHint : 0
; COMPUTE_PGM_RSRC2:SCRATCH_EN: 0
; COMPUTE_PGM_RSRC2:USER_SGPR: 15
; COMPUTE_PGM_RSRC2:TRAP_HANDLER: 0
; COMPUTE_PGM_RSRC2:TGID_X_EN: 1
; COMPUTE_PGM_RSRC2:TGID_Y_EN: 0
; COMPUTE_PGM_RSRC2:TGID_Z_EN: 0
; COMPUTE_PGM_RSRC2:TIDIG_COMP_CNT: 0
	.section	.text._ZN7rocprim17ROCPRIM_304000_NS6detail35device_block_merge_mergepath_kernelINS1_37wrapped_merge_sort_block_merge_configINS0_14default_configEhN2at4cuda3cub6detail10OpaqueTypeILi8EEEEEPhSC_PSA_SD_jNS1_19radix_merge_compareILb0ELb1EhNS0_19identity_decomposerEEEEEvT0_T1_T2_T3_T4_SL_jT5_PKSL_NS1_7vsmem_tE,"axG",@progbits,_ZN7rocprim17ROCPRIM_304000_NS6detail35device_block_merge_mergepath_kernelINS1_37wrapped_merge_sort_block_merge_configINS0_14default_configEhN2at4cuda3cub6detail10OpaqueTypeILi8EEEEEPhSC_PSA_SD_jNS1_19radix_merge_compareILb0ELb1EhNS0_19identity_decomposerEEEEEvT0_T1_T2_T3_T4_SL_jT5_PKSL_NS1_7vsmem_tE,comdat
	.protected	_ZN7rocprim17ROCPRIM_304000_NS6detail35device_block_merge_mergepath_kernelINS1_37wrapped_merge_sort_block_merge_configINS0_14default_configEhN2at4cuda3cub6detail10OpaqueTypeILi8EEEEEPhSC_PSA_SD_jNS1_19radix_merge_compareILb0ELb1EhNS0_19identity_decomposerEEEEEvT0_T1_T2_T3_T4_SL_jT5_PKSL_NS1_7vsmem_tE ; -- Begin function _ZN7rocprim17ROCPRIM_304000_NS6detail35device_block_merge_mergepath_kernelINS1_37wrapped_merge_sort_block_merge_configINS0_14default_configEhN2at4cuda3cub6detail10OpaqueTypeILi8EEEEEPhSC_PSA_SD_jNS1_19radix_merge_compareILb0ELb1EhNS0_19identity_decomposerEEEEEvT0_T1_T2_T3_T4_SL_jT5_PKSL_NS1_7vsmem_tE
	.globl	_ZN7rocprim17ROCPRIM_304000_NS6detail35device_block_merge_mergepath_kernelINS1_37wrapped_merge_sort_block_merge_configINS0_14default_configEhN2at4cuda3cub6detail10OpaqueTypeILi8EEEEEPhSC_PSA_SD_jNS1_19radix_merge_compareILb0ELb1EhNS0_19identity_decomposerEEEEEvT0_T1_T2_T3_T4_SL_jT5_PKSL_NS1_7vsmem_tE
	.p2align	8
	.type	_ZN7rocprim17ROCPRIM_304000_NS6detail35device_block_merge_mergepath_kernelINS1_37wrapped_merge_sort_block_merge_configINS0_14default_configEhN2at4cuda3cub6detail10OpaqueTypeILi8EEEEEPhSC_PSA_SD_jNS1_19radix_merge_compareILb0ELb1EhNS0_19identity_decomposerEEEEEvT0_T1_T2_T3_T4_SL_jT5_PKSL_NS1_7vsmem_tE,@function
_ZN7rocprim17ROCPRIM_304000_NS6detail35device_block_merge_mergepath_kernelINS1_37wrapped_merge_sort_block_merge_configINS0_14default_configEhN2at4cuda3cub6detail10OpaqueTypeILi8EEEEEPhSC_PSA_SD_jNS1_19radix_merge_compareILb0ELb1EhNS0_19identity_decomposerEEEEEvT0_T1_T2_T3_T4_SL_jT5_PKSL_NS1_7vsmem_tE: ; @_ZN7rocprim17ROCPRIM_304000_NS6detail35device_block_merge_mergepath_kernelINS1_37wrapped_merge_sort_block_merge_configINS0_14default_configEhN2at4cuda3cub6detail10OpaqueTypeILi8EEEEEPhSC_PSA_SD_jNS1_19radix_merge_compareILb0ELb1EhNS0_19identity_decomposerEEEEEvT0_T1_T2_T3_T4_SL_jT5_PKSL_NS1_7vsmem_tE
; %bb.0:
	s_clause 0x1
	s_load_b64 s[22:23], s[0:1], 0x40
	s_load_b128 s[16:19], s[0:1], 0x20
	s_add_u32 s20, s0, 64
	s_addc_u32 s21, s1, 0
	s_waitcnt lgkmcnt(0)
	s_mul_i32 s2, s23, s15
	s_delay_alu instid0(SALU_CYCLE_1) | instskip(NEXT) | instid1(SALU_CYCLE_1)
	s_add_i32 s2, s2, s14
	s_mul_i32 s2, s2, s22
	s_delay_alu instid0(SALU_CYCLE_1) | instskip(NEXT) | instid1(SALU_CYCLE_1)
	s_add_i32 s2, s2, s13
	s_cmp_ge_u32 s2, s18
	s_cbranch_scc1 .LBB21_53
; %bb.1:
	v_mov_b32_e32 v1, 0
	s_load_b64 s[4:5], s[0:1], 0x30
	s_lshr_b32 s26, s16, 10
	s_mov_b32 s15, 0
	s_cmp_lg_u32 s2, s26
	global_load_b32 v2, v1, s[20:21] offset:14
	s_mov_b32 s3, s15
	s_cselect_b32 s18, -1, 0
	s_lshl_b64 s[6:7], s[2:3], 2
	s_waitcnt lgkmcnt(0)
	s_add_u32 s4, s4, s6
	s_addc_u32 s5, s5, s7
	s_lshr_b32 s3, s17, 9
	s_load_b64 s[24:25], s[4:5], 0x0
	s_and_b32 s3, s3, 0x7ffffe
	s_load_b256 s[4:11], s[0:1], 0x0
	s_sub_i32 s0, 0, s3
	s_lshl_b32 s3, s2, 10
	s_and_b32 s1, s2, s0
	s_or_b32 s0, s2, s0
	s_lshl_b32 s12, s1, 11
	s_lshl_b32 s1, s1, 10
	s_add_i32 s12, s12, s17
	s_sub_i32 s14, s3, s1
	s_sub_i32 s1, s12, s1
	s_add_i32 s12, s12, s14
	s_min_u32 s14, s16, s1
	s_add_i32 s1, s1, s17
	s_waitcnt lgkmcnt(0)
	s_sub_i32 s17, s12, s24
	s_sub_i32 s23, s12, s25
	s_min_u32 s12, s16, s17
	s_addk_i32 s23, 0x400
	s_cmp_eq_u32 s0, -1
	s_cselect_b32 s0, s1, s23
	s_cselect_b32 s1, s14, s25
	s_min_u32 s0, s0, s16
	s_sub_i32 s17, s1, s24
	s_sub_i32 s23, s0, s12
	s_add_u32 s1, s4, s24
	s_mov_b32 s14, s24
	s_addc_u32 s24, s5, 0
	s_add_u32 s25, s4, s12
	s_addc_u32 s5, s5, 0
	s_cmp_lt_u32 s13, s22
	v_cmp_gt_u32_e32 vcc_lo, s17, v0
	s_cselect_b32 s0, 12, 18
	s_mov_b32 s13, s15
	s_add_u32 s20, s20, s0
	s_addc_u32 s21, s21, 0
	s_mov_b32 s0, -1
	s_cmp_eq_u32 s2, s26
	s_waitcnt vmcnt(0)
	v_lshrrev_b32_e32 v3, 16, v2
	v_and_b32_e32 v2, 0xffff, v2
	global_load_u16 v1, v1, s[20:21]
	v_mul_lo_u32 v2, v2, v3
	s_waitcnt vmcnt(0)
	s_delay_alu instid0(VALU_DEP_1) | instskip(NEXT) | instid1(VALU_DEP_1)
	v_mul_lo_u32 v1, v2, v1
	v_add_nc_u32_e32 v1, v1, v0
	s_cbranch_scc1 .LBB21_3
; %bb.2:
	v_subrev_nc_u32_e32 v2, s17, v0
	v_add_co_u32 v4, s0, s1, v0
	s_delay_alu instid0(VALU_DEP_3) | instskip(SKIP_1) | instid1(VALU_DEP_4)
	v_subrev_nc_u32_e32 v6, s17, v1
	v_add_co_ci_u32_e64 v3, null, s24, 0, s0
	v_add_co_u32 v2, s0, s25, v2
	s_delay_alu instid0(VALU_DEP_1) | instskip(SKIP_1) | instid1(VALU_DEP_1)
	v_add_co_ci_u32_e64 v5, null, s5, 0, s0
	v_add_co_u32 v8, s0, s1, v1
	v_add_co_ci_u32_e64 v7, null, s24, 0, s0
	v_add_co_u32 v6, s0, s25, v6
	s_delay_alu instid0(VALU_DEP_1) | instskip(SKIP_3) | instid1(VALU_DEP_2)
	v_add_co_ci_u32_e64 v9, null, s5, 0, s0
	v_cmp_gt_u32_e64 s0, s17, v1
	v_dual_cndmask_b32 v3, v5, v3 :: v_dual_cndmask_b32 v2, v2, v4
	s_add_i32 s4, s23, s17
	v_cndmask_b32_e64 v7, v9, v7, s0
	v_cndmask_b32_e64 v6, v6, v8, s0
	global_load_u8 v5, v[2:3], off
	global_load_u8 v7, v[6:7], off
	s_mov_b32 s0, s15
	s_delay_alu instid0(SALU_CYCLE_1)
	s_and_not1_b32 vcc_lo, exec_lo, s0
	s_cbranch_vccz .LBB21_4
	s_branch .LBB21_9
.LBB21_3:
                                        ; implicit-def: $vgpr5
                                        ; implicit-def: $vgpr7
                                        ; implicit-def: $sgpr4
	s_and_not1_b32 vcc_lo, exec_lo, s0
	s_cbranch_vccnz .LBB21_9
.LBB21_4:
	s_add_i32 s4, s23, s17
	s_mov_b32 s0, exec_lo
                                        ; implicit-def: $vgpr5
	v_cmpx_gt_u32_e64 s4, v0
	s_cbranch_execz .LBB21_6
; %bb.5:
	v_subrev_nc_u32_e32 v2, s17, v0
	v_add_co_u32 v4, s2, s1, v0
	s_delay_alu instid0(VALU_DEP_1) | instskip(NEXT) | instid1(VALU_DEP_3)
	v_add_co_ci_u32_e64 v3, null, s24, 0, s2
	v_add_co_u32 v2, s2, s25, v2
	s_waitcnt vmcnt(1)
	v_add_co_ci_u32_e64 v5, null, s5, 0, s2
	v_cmp_gt_u32_e32 vcc_lo, s17, v0
	s_delay_alu instid0(VALU_DEP_2)
	v_dual_cndmask_b32 v3, v5, v3 :: v_dual_cndmask_b32 v2, v2, v4
	global_load_u8 v5, v[2:3], off
.LBB21_6:
	s_or_b32 exec_lo, exec_lo, s0
	s_delay_alu instid0(SALU_CYCLE_1)
	s_mov_b32 s0, exec_lo
                                        ; implicit-def: $vgpr7
	v_cmpx_gt_u32_e64 s4, v1
	s_cbranch_execz .LBB21_8
; %bb.7:
	v_subrev_nc_u32_e32 v2, s17, v1
	v_add_co_u32 v3, s1, s1, v1
	s_delay_alu instid0(VALU_DEP_1) | instskip(NEXT) | instid1(VALU_DEP_3)
	v_add_co_ci_u32_e64 v4, null, s24, 0, s1
	v_add_co_u32 v6, s1, s25, v2
	s_delay_alu instid0(VALU_DEP_1) | instskip(SKIP_1) | instid1(VALU_DEP_3)
	v_add_co_ci_u32_e64 v2, null, s5, 0, s1
	v_cmp_gt_u32_e32 vcc_lo, s17, v1
	v_cndmask_b32_e32 v1, v6, v3, vcc_lo
	s_delay_alu instid0(VALU_DEP_3)
	v_cndmask_b32_e32 v2, v2, v4, vcc_lo
	global_load_u8 v7, v[1:2], off
.LBB21_8:
	s_or_b32 exec_lo, exec_lo, s0
.LBB21_9:
	v_lshlrev_b32_e32 v6, 1, v0
	s_mov_b32 s0, exec_lo
	s_waitcnt vmcnt(0)
	ds_store_b8 v0, v5
	ds_store_b8 v0, v7 offset:512
	s_waitcnt lgkmcnt(0)
	s_barrier
	v_min_u32_e32 v2, s4, v6
	buffer_gl0_inv
	v_sub_nc_u32_e64 v1, v2, s23 clamp
	v_min_u32_e32 v3, s17, v2
	s_delay_alu instid0(VALU_DEP_1)
	v_cmpx_lt_u32_e64 v1, v3
	s_cbranch_execz .LBB21_13
; %bb.10:
	v_add_nc_u32_e32 v4, s17, v2
	s_mov_b32 s1, 0
	.p2align	6
.LBB21_11:                              ; =>This Inner Loop Header: Depth=1
	v_add_nc_u32_e32 v8, v3, v1
	s_delay_alu instid0(VALU_DEP_1) | instskip(NEXT) | instid1(VALU_DEP_1)
	v_lshrrev_b32_e32 v8, 1, v8
	v_xad_u32 v9, v8, -1, v4
	v_add_nc_u32_e32 v11, 1, v8
	ds_load_u8 v10, v8
	ds_load_u8 v9, v9
	s_waitcnt lgkmcnt(1)
	v_and_b32_e32 v10, s19, v10
	s_waitcnt lgkmcnt(0)
	v_and_b32_e32 v9, s19, v9
	s_delay_alu instid0(VALU_DEP_2) | instskip(NEXT) | instid1(VALU_DEP_2)
	v_and_b32_e32 v10, 0xff, v10
	v_and_b32_e32 v9, 0xff, v9
	s_delay_alu instid0(VALU_DEP_1) | instskip(SKIP_2) | instid1(VALU_DEP_1)
	v_cmp_gt_u16_e32 vcc_lo, v10, v9
	v_cndmask_b32_e32 v1, v11, v1, vcc_lo
	v_cndmask_b32_e32 v3, v3, v8, vcc_lo
	v_cmp_ge_u32_e32 vcc_lo, v1, v3
	s_or_b32 s1, vcc_lo, s1
	s_delay_alu instid0(SALU_CYCLE_1)
	s_and_not1_b32 exec_lo, exec_lo, s1
	s_cbranch_execnz .LBB21_11
; %bb.12:
	s_or_b32 exec_lo, exec_lo, s1
.LBB21_13:
	s_delay_alu instid0(SALU_CYCLE_1) | instskip(SKIP_2) | instid1(VALU_DEP_2)
	s_or_b32 exec_lo, exec_lo, s0
	v_sub_nc_u32_e32 v2, v2, v1
	v_cmp_ge_u32_e32 vcc_lo, s17, v1
                                        ; implicit-def: $vgpr9
                                        ; implicit-def: $vgpr10
	v_add_nc_u32_e32 v2, s17, v2
	s_delay_alu instid0(VALU_DEP_1) | instskip(NEXT) | instid1(VALU_DEP_1)
	v_cmp_ge_u32_e64 s0, s4, v2
	s_or_b32 s0, vcc_lo, s0
	s_delay_alu instid0(SALU_CYCLE_1)
	s_and_saveexec_b32 s5, s0
	s_cbranch_execz .LBB21_19
; %bb.14:
	v_cmp_gt_u32_e32 vcc_lo, s17, v1
                                        ; implicit-def: $vgpr3
	s_and_saveexec_b32 s0, vcc_lo
	s_cbranch_execz .LBB21_16
; %bb.15:
	ds_load_u8 v3, v1
.LBB21_16:
	s_or_b32 exec_lo, exec_lo, s0
	v_cmp_le_u32_e64 s0, s4, v2
	s_mov_b32 s2, exec_lo
                                        ; implicit-def: $vgpr4
	v_cmpx_gt_u32_e64 s4, v2
	s_cbranch_execz .LBB21_18
; %bb.17:
	ds_load_u8 v4, v2
.LBB21_18:
	s_or_b32 exec_lo, exec_lo, s2
	s_waitcnt lgkmcnt(0)
	v_and_b32_e32 v5, s19, v4
	v_and_b32_e32 v7, s19, v3
	s_delay_alu instid0(VALU_DEP_2) | instskip(NEXT) | instid1(VALU_DEP_2)
	v_and_b32_e32 v5, 0xff, v5
	v_and_b32_e32 v7, 0xff, v7
	s_delay_alu instid0(VALU_DEP_1) | instskip(SKIP_1) | instid1(VALU_DEP_2)
	v_cmp_le_u16_e64 s1, v7, v5
	v_mov_b32_e32 v5, s17
	s_and_b32 s1, vcc_lo, s1
	s_delay_alu instid0(SALU_CYCLE_1) | instskip(SKIP_1) | instid1(VALU_DEP_2)
	s_or_b32 vcc_lo, s0, s1
	v_cndmask_b32_e32 v10, v2, v1, vcc_lo
	v_cndmask_b32_e32 v5, s4, v5, vcc_lo
	s_delay_alu instid0(VALU_DEP_2) | instskip(NEXT) | instid1(VALU_DEP_1)
	v_add_nc_u32_e32 v7, 1, v10
	v_dual_cndmask_b32 v2, v7, v2 :: v_dual_add_nc_u32 v5, -1, v5
	s_delay_alu instid0(VALU_DEP_1) | instskip(SKIP_1) | instid1(VALU_DEP_3)
	v_min_u32_e32 v5, v7, v5
	v_cndmask_b32_e32 v1, v1, v7, vcc_lo
	v_cmp_le_u32_e64 s2, s4, v2
	ds_load_u8 v5, v5
	v_cmp_gt_u32_e64 s0, s17, v1
	s_waitcnt lgkmcnt(0)
	v_dual_cndmask_b32 v8, v5, v4 :: v_dual_cndmask_b32 v11, v3, v5
	s_delay_alu instid0(VALU_DEP_1) | instskip(NEXT) | instid1(VALU_DEP_2)
	v_and_b32_e32 v5, s19, v8
	v_and_b32_e32 v9, s19, v11
	s_delay_alu instid0(VALU_DEP_2) | instskip(NEXT) | instid1(VALU_DEP_2)
	v_and_b32_e32 v5, 0xff, v5
	v_and_b32_e32 v9, 0xff, v9
	s_delay_alu instid0(VALU_DEP_1) | instskip(SKIP_1) | instid1(VALU_DEP_2)
	v_cmp_le_u16_e64 s1, v9, v5
	v_cndmask_b32_e32 v5, v4, v3, vcc_lo
	s_and_b32 s0, s0, s1
	s_delay_alu instid0(SALU_CYCLE_1)
	s_or_b32 vcc_lo, s2, s0
	v_cndmask_b32_e32 v9, v2, v1, vcc_lo
	v_cndmask_b32_e32 v7, v8, v11, vcc_lo
.LBB21_19:
	s_or_b32 exec_lo, exec_lo, s5
	s_lshl_b64 s[0:1], s[14:15], 3
	v_or_b32_e32 v8, 0x200, v0
	s_add_u32 s2, s8, s0
	s_addc_u32 s5, s9, s1
	s_lshl_b64 s[12:13], s[12:13], 3
	v_cmp_gt_u32_e64 s1, s17, v0
	v_cmp_le_u32_e64 s0, s17, v0
	s_add_u32 s8, s8, s12
	s_mov_b32 s14, 0
	s_addc_u32 s9, s9, s13
	s_and_not1_b32 vcc_lo, exec_lo, s18
	s_barrier
	buffer_gl0_inv
	s_cbranch_vccnz .LBB21_21
; %bb.20:
	v_subrev_nc_u32_e32 v1, s17, v0
	v_dual_mov_b32 v2, 0 :: v_dual_lshlrev_b32 v13, 3, v0
	s_mov_b32 s14, -1
	s_delay_alu instid0(VALU_DEP_1) | instskip(NEXT) | instid1(VALU_DEP_2)
	v_lshlrev_b64 v[3:4], 3, v[1:2]
	v_add_co_u32 v14, s12, s2, v13
	s_delay_alu instid0(VALU_DEP_1) | instskip(NEXT) | instid1(VALU_DEP_3)
	v_add_co_ci_u32_e64 v15, null, s5, 0, s12
	v_add_co_u32 v1, vcc_lo, s8, v3
	s_delay_alu instid0(VALU_DEP_4) | instskip(NEXT) | instid1(VALU_DEP_1)
	v_add_co_ci_u32_e32 v3, vcc_lo, s9, v4, vcc_lo
	v_cndmask_b32_e64 v4, v3, v15, s1
	s_delay_alu instid0(VALU_DEP_3)
	v_cndmask_b32_e64 v3, v1, v14, s1
	v_subrev_nc_u32_e32 v1, s17, v8
	global_load_b64 v[11:12], v[3:4], off
	v_lshlrev_b64 v[1:2], 3, v[1:2]
	v_add_co_u32 v3, vcc_lo, 0x1000, v14
	v_add_co_ci_u32_e32 v4, vcc_lo, 0, v15, vcc_lo
	s_delay_alu instid0(VALU_DEP_3) | instskip(NEXT) | instid1(VALU_DEP_4)
	v_add_co_u32 v1, vcc_lo, s8, v1
	v_add_co_ci_u32_e32 v2, vcc_lo, s9, v2, vcc_lo
	v_cmp_gt_u32_e32 vcc_lo, s17, v8
	s_delay_alu instid0(VALU_DEP_2)
	v_dual_cndmask_b32 v2, v2, v4 :: v_dual_cndmask_b32 v1, v1, v3
	v_or_b32_e32 v4, 0x1000, v13
	s_waitcnt vmcnt(0)
	ds_store_b64 v13, v[11:12]
	s_cbranch_execz .LBB21_22
	s_branch .LBB21_33
.LBB21_21:
                                        ; implicit-def: $vgpr4
                                        ; implicit-def: $vgpr1_vgpr2
.LBB21_22:
	s_mov_b32 s1, 0
                                        ; implicit-def: $vgpr1_vgpr2
	s_and_saveexec_b32 s12, s0
	s_delay_alu instid0(SALU_CYCLE_1)
	s_xor_b32 s0, exec_lo, s12
	s_cbranch_execnz .LBB21_54
; %bb.23:
	s_and_not1_saveexec_b32 s0, s0
	s_cbranch_execnz .LBB21_57
.LBB21_24:
	s_or_b32 exec_lo, exec_lo, s0
	s_and_saveexec_b32 s0, s1
	s_cbranch_execz .LBB21_26
.LBB21_25:
	global_load_b64 v[1:2], v[1:2], off
	v_mad_u32_u24 v3, v0, 7, v0
	s_waitcnt vmcnt(0)
	ds_store_b64 v3, v[1:2]
.LBB21_26:
	s_or_b32 exec_lo, exec_lo, s0
	s_delay_alu instid0(SALU_CYCLE_1)
	s_mov_b32 s0, exec_lo
                                        ; implicit-def: $vgpr4
                                        ; implicit-def: $vgpr1_vgpr2
	v_cmpx_le_u32_e64 s17, v8
	s_xor_b32 s0, exec_lo, s0
	s_cbranch_execz .LBB21_30
; %bb.27:
	v_subrev_nc_u32_e32 v3, s17, v8
	s_mov_b32 s12, s14
	s_mov_b32 s1, exec_lo
                                        ; implicit-def: $vgpr4
                                        ; implicit-def: $vgpr1_vgpr2
	s_delay_alu instid0(VALU_DEP_1)
	v_cmpx_gt_u32_e64 s23, v3
; %bb.28:
	v_mov_b32_e32 v4, 0
	v_mul_u32_u24_e32 v11, 7, v0
	s_or_b32 s12, s14, exec_lo
	s_delay_alu instid0(VALU_DEP_2) | instskip(NEXT) | instid1(VALU_DEP_2)
	v_lshlrev_b64 v[1:2], 3, v[3:4]
	v_add3_u32 v4, v0, v11, 0x1000
	s_delay_alu instid0(VALU_DEP_2) | instskip(NEXT) | instid1(VALU_DEP_3)
	v_add_co_u32 v1, vcc_lo, s8, v1
	v_add_co_ci_u32_e32 v2, vcc_lo, s9, v2, vcc_lo
; %bb.29:
	s_or_b32 exec_lo, exec_lo, s1
	s_delay_alu instid0(SALU_CYCLE_1) | instskip(SKIP_1) | instid1(SALU_CYCLE_1)
	s_and_not1_b32 s1, s14, exec_lo
	s_and_b32 s8, s12, exec_lo
	s_or_b32 s14, s1, s8
.LBB21_30:
	s_and_not1_saveexec_b32 s0, s0
; %bb.31:
	v_lshlrev_b32_e32 v1, 3, v8
	v_mul_u32_u24_e32 v3, 7, v0
	s_or_b32 s14, s14, exec_lo
	s_delay_alu instid0(VALU_DEP_2) | instskip(NEXT) | instid1(VALU_DEP_1)
	v_add_co_u32 v1, s1, s2, v1
	v_add_co_ci_u32_e64 v2, null, s5, 0, s1
	s_delay_alu instid0(VALU_DEP_3)
	v_add3_u32 v4, v0, v3, 0x1000
; %bb.32:
	s_or_b32 exec_lo, exec_lo, s0
.LBB21_33:
	s_and_saveexec_b32 s0, s14
	s_cbranch_execz .LBB21_35
; %bb.34:
	global_load_b64 v[1:2], v[1:2], off
	s_waitcnt vmcnt(0)
	ds_store_b64 v4, v[1:2]
.LBB21_35:
	s_or_b32 exec_lo, exec_lo, s0
	v_add_nc_u32_e32 v1, s3, v6
	s_and_not1_b32 vcc_lo, exec_lo, s18
	s_waitcnt lgkmcnt(0)
	s_barrier
	buffer_gl0_inv
	s_cbranch_vccnz .LBB21_37
; %bb.36:
	v_lshlrev_b32_e32 v2, 3, v10
	s_mov_b32 s0, -1
	ds_load_b64 v[3:4], v2
	v_mov_b32_e32 v2, 0
	s_delay_alu instid0(VALU_DEP_1) | instskip(NEXT) | instid1(VALU_DEP_1)
	v_lshlrev_b64 v[11:12], 3, v[1:2]
	v_add_co_u32 v11, vcc_lo, s10, v11
	s_delay_alu instid0(VALU_DEP_2)
	v_add_co_ci_u32_e32 v12, vcc_lo, s11, v12, vcc_lo
	s_waitcnt lgkmcnt(0)
	global_store_b64 v[11:12], v[3:4], off
	s_cbranch_execz .LBB21_38
	s_branch .LBB21_43
.LBB21_37:
	s_mov_b32 s0, 0
.LBB21_38:
	s_mov_b32 s1, exec_lo
	v_cmpx_gt_u32_e64 s4, v6
	s_cbranch_execz .LBB21_40
; %bb.39:
	v_lshlrev_b32_e32 v2, 3, v10
	ds_load_b64 v[3:4], v2
	v_mov_b32_e32 v2, 0
	s_delay_alu instid0(VALU_DEP_1) | instskip(NEXT) | instid1(VALU_DEP_1)
	v_lshlrev_b64 v[10:11], 3, v[1:2]
	v_add_co_u32 v10, vcc_lo, s10, v10
	s_delay_alu instid0(VALU_DEP_2)
	v_add_co_ci_u32_e32 v11, vcc_lo, s11, v11, vcc_lo
	s_waitcnt lgkmcnt(0)
	global_store_b64 v[10:11], v[3:4], off
.LBB21_40:
	s_or_b32 exec_lo, exec_lo, s1
	v_or_b32_e32 v2, 1, v6
	s_mov_b32 s1, exec_lo
	s_delay_alu instid0(VALU_DEP_1)
	v_cmpx_gt_u32_e64 s4, v2
; %bb.41:
	v_mov_b32_e32 v2, 0
	s_or_b32 s0, s0, exec_lo
; %bb.42:
	s_or_b32 exec_lo, exec_lo, s1
.LBB21_43:
	s_and_saveexec_b32 s1, s0
	s_cbranch_execz .LBB21_45
; %bb.44:
	v_lshlrev_b32_e32 v3, 3, v9
	v_lshlrev_b64 v[1:2], 3, v[1:2]
	ds_load_b64 v[3:4], v3
	v_add_co_u32 v1, vcc_lo, s10, v1
	v_add_co_ci_u32_e32 v2, vcc_lo, s11, v2, vcc_lo
	s_waitcnt lgkmcnt(0)
	global_store_b64 v[1:2], v[3:4], off offset:8
.LBB21_45:
	s_or_b32 exec_lo, exec_lo, s1
	v_lshrrev_b32_e32 v1, 4, v0
	v_and_b32_e32 v2, 0xff, v5
	v_lshlrev_b16 v3, 8, v7
	v_lshrrev_b32_e32 v4, 5, v8
	s_add_u32 s1, s6, s3
	v_and_b32_e32 v1, 28, v1
	s_waitcnt_vscnt null, 0x0
	v_or_b32_e32 v2, v2, v3
	v_lshrrev_b32_e32 v3, 5, v0
	v_and_b32_e32 v4, 28, v4
	v_add_nc_u32_e32 v1, v1, v6
	s_barrier
	buffer_gl0_inv
	s_barrier
	buffer_gl0_inv
	s_addc_u32 s2, s7, 0
	ds_store_b16 v1, v2
	v_add_co_u32 v1, s1, s1, v0
	v_and_b32_e32 v3, 12, v3
	v_add_co_ci_u32_e64 v2, null, s2, 0, s1
	v_add_nc_u32_e32 v5, v0, v4
	s_mov_b32 s0, 0
	s_and_b32 vcc_lo, exec_lo, s18
	s_waitcnt lgkmcnt(0)
	s_cbranch_vccz .LBB21_47
; %bb.46:
	v_add_nc_u32_e32 v4, v0, v3
	s_barrier
	buffer_gl0_inv
	s_mov_b32 s0, -1
	ds_load_u8 v6, v4
	ds_load_u8 v4, v5 offset:512
	s_waitcnt lgkmcnt(1)
	global_store_b8 v[1:2], v6, off
	s_cbranch_execz .LBB21_48
	s_branch .LBB21_51
.LBB21_47:
                                        ; implicit-def: $vgpr4
.LBB21_48:
	s_waitcnt lgkmcnt(0)
	s_waitcnt_vscnt null, 0x0
	s_barrier
	buffer_gl0_inv
	ds_load_u8 v4, v5 offset:512
	s_sub_i32 s0, s16, s3
	s_mov_b32 s1, exec_lo
	v_cmpx_gt_u32_e64 s0, v0
	s_cbranch_execz .LBB21_50
; %bb.49:
	v_add_nc_u32_e32 v0, v0, v3
	ds_load_u8 v0, v0
	s_waitcnt lgkmcnt(0)
	global_store_b8 v[1:2], v0, off
.LBB21_50:
	s_or_b32 exec_lo, exec_lo, s1
	v_cmp_gt_u32_e64 s0, s0, v8
.LBB21_51:
	s_delay_alu instid0(VALU_DEP_1)
	s_and_saveexec_b32 s1, s0
	s_cbranch_execz .LBB21_53
; %bb.52:
	s_waitcnt lgkmcnt(0)
	global_store_b8 v[1:2], v4, off offset:512
.LBB21_53:
	s_nop 0
	s_sendmsg sendmsg(MSG_DEALLOC_VGPRS)
	s_endpgm
.LBB21_54:
	v_subrev_nc_u32_e32 v3, s17, v0
	s_mov_b32 s12, exec_lo
                                        ; implicit-def: $vgpr1_vgpr2
	s_delay_alu instid0(VALU_DEP_1)
	v_cmpx_gt_u32_e64 s23, v3
	s_xor_b32 s12, exec_lo, s12
; %bb.55:
	v_mov_b32_e32 v4, 0
	s_mov_b32 s1, exec_lo
	s_delay_alu instid0(VALU_DEP_1) | instskip(NEXT) | instid1(VALU_DEP_1)
	v_lshlrev_b64 v[1:2], 3, v[3:4]
	v_add_co_u32 v1, vcc_lo, s8, v1
	s_delay_alu instid0(VALU_DEP_2)
	v_add_co_ci_u32_e32 v2, vcc_lo, s9, v2, vcc_lo
; %bb.56:
	s_or_b32 exec_lo, exec_lo, s12
	s_delay_alu instid0(SALU_CYCLE_1)
	s_and_b32 s1, s1, exec_lo
	s_and_not1_saveexec_b32 s0, s0
	s_cbranch_execz .LBB21_24
.LBB21_57:
	v_lshlrev_b32_e32 v1, 3, v0
	s_or_b32 s1, s1, exec_lo
	s_delay_alu instid0(VALU_DEP_1) | instskip(NEXT) | instid1(VALU_DEP_1)
	v_add_co_u32 v1, s12, s2, v1
	v_add_co_ci_u32_e64 v2, null, s5, 0, s12
	s_or_b32 exec_lo, exec_lo, s0
	s_and_saveexec_b32 s0, s1
	s_cbranch_execnz .LBB21_25
	s_branch .LBB21_26
	.section	.rodata,"a",@progbits
	.p2align	6, 0x0
	.amdhsa_kernel _ZN7rocprim17ROCPRIM_304000_NS6detail35device_block_merge_mergepath_kernelINS1_37wrapped_merge_sort_block_merge_configINS0_14default_configEhN2at4cuda3cub6detail10OpaqueTypeILi8EEEEEPhSC_PSA_SD_jNS1_19radix_merge_compareILb0ELb1EhNS0_19identity_decomposerEEEEEvT0_T1_T2_T3_T4_SL_jT5_PKSL_NS1_7vsmem_tE
		.amdhsa_group_segment_fixed_size 8208
		.amdhsa_private_segment_fixed_size 0
		.amdhsa_kernarg_size 320
		.amdhsa_user_sgpr_count 13
		.amdhsa_user_sgpr_dispatch_ptr 0
		.amdhsa_user_sgpr_queue_ptr 0
		.amdhsa_user_sgpr_kernarg_segment_ptr 1
		.amdhsa_user_sgpr_dispatch_id 0
		.amdhsa_user_sgpr_private_segment_size 0
		.amdhsa_wavefront_size32 1
		.amdhsa_uses_dynamic_stack 0
		.amdhsa_enable_private_segment 0
		.amdhsa_system_sgpr_workgroup_id_x 1
		.amdhsa_system_sgpr_workgroup_id_y 1
		.amdhsa_system_sgpr_workgroup_id_z 1
		.amdhsa_system_sgpr_workgroup_info 0
		.amdhsa_system_vgpr_workitem_id 0
		.amdhsa_next_free_vgpr 16
		.amdhsa_next_free_sgpr 27
		.amdhsa_reserve_vcc 1
		.amdhsa_float_round_mode_32 0
		.amdhsa_float_round_mode_16_64 0
		.amdhsa_float_denorm_mode_32 3
		.amdhsa_float_denorm_mode_16_64 3
		.amdhsa_dx10_clamp 1
		.amdhsa_ieee_mode 1
		.amdhsa_fp16_overflow 0
		.amdhsa_workgroup_processor_mode 1
		.amdhsa_memory_ordered 1
		.amdhsa_forward_progress 0
		.amdhsa_shared_vgpr_count 0
		.amdhsa_exception_fp_ieee_invalid_op 0
		.amdhsa_exception_fp_denorm_src 0
		.amdhsa_exception_fp_ieee_div_zero 0
		.amdhsa_exception_fp_ieee_overflow 0
		.amdhsa_exception_fp_ieee_underflow 0
		.amdhsa_exception_fp_ieee_inexact 0
		.amdhsa_exception_int_div_zero 0
	.end_amdhsa_kernel
	.section	.text._ZN7rocprim17ROCPRIM_304000_NS6detail35device_block_merge_mergepath_kernelINS1_37wrapped_merge_sort_block_merge_configINS0_14default_configEhN2at4cuda3cub6detail10OpaqueTypeILi8EEEEEPhSC_PSA_SD_jNS1_19radix_merge_compareILb0ELb1EhNS0_19identity_decomposerEEEEEvT0_T1_T2_T3_T4_SL_jT5_PKSL_NS1_7vsmem_tE,"axG",@progbits,_ZN7rocprim17ROCPRIM_304000_NS6detail35device_block_merge_mergepath_kernelINS1_37wrapped_merge_sort_block_merge_configINS0_14default_configEhN2at4cuda3cub6detail10OpaqueTypeILi8EEEEEPhSC_PSA_SD_jNS1_19radix_merge_compareILb0ELb1EhNS0_19identity_decomposerEEEEEvT0_T1_T2_T3_T4_SL_jT5_PKSL_NS1_7vsmem_tE,comdat
.Lfunc_end21:
	.size	_ZN7rocprim17ROCPRIM_304000_NS6detail35device_block_merge_mergepath_kernelINS1_37wrapped_merge_sort_block_merge_configINS0_14default_configEhN2at4cuda3cub6detail10OpaqueTypeILi8EEEEEPhSC_PSA_SD_jNS1_19radix_merge_compareILb0ELb1EhNS0_19identity_decomposerEEEEEvT0_T1_T2_T3_T4_SL_jT5_PKSL_NS1_7vsmem_tE, .Lfunc_end21-_ZN7rocprim17ROCPRIM_304000_NS6detail35device_block_merge_mergepath_kernelINS1_37wrapped_merge_sort_block_merge_configINS0_14default_configEhN2at4cuda3cub6detail10OpaqueTypeILi8EEEEEPhSC_PSA_SD_jNS1_19radix_merge_compareILb0ELb1EhNS0_19identity_decomposerEEEEEvT0_T1_T2_T3_T4_SL_jT5_PKSL_NS1_7vsmem_tE
                                        ; -- End function
	.section	.AMDGPU.csdata,"",@progbits
; Kernel info:
; codeLenInByte = 2432
; NumSgprs: 29
; NumVgprs: 16
; ScratchSize: 0
; MemoryBound: 1
; FloatMode: 240
; IeeeMode: 1
; LDSByteSize: 8208 bytes/workgroup (compile time only)
; SGPRBlocks: 3
; VGPRBlocks: 1
; NumSGPRsForWavesPerEU: 29
; NumVGPRsForWavesPerEU: 16
; Occupancy: 16
; WaveLimiterHint : 1
; COMPUTE_PGM_RSRC2:SCRATCH_EN: 0
; COMPUTE_PGM_RSRC2:USER_SGPR: 13
; COMPUTE_PGM_RSRC2:TRAP_HANDLER: 0
; COMPUTE_PGM_RSRC2:TGID_X_EN: 1
; COMPUTE_PGM_RSRC2:TGID_Y_EN: 1
; COMPUTE_PGM_RSRC2:TGID_Z_EN: 1
; COMPUTE_PGM_RSRC2:TIDIG_COMP_CNT: 0
	.section	.text._ZN7rocprim17ROCPRIM_304000_NS6detail33device_block_merge_oddeven_kernelINS1_37wrapped_merge_sort_block_merge_configINS0_14default_configEhN2at4cuda3cub6detail10OpaqueTypeILi8EEEEEPhSC_PSA_SD_jNS1_19radix_merge_compareILb0ELb1EhNS0_19identity_decomposerEEEEEvT0_T1_T2_T3_T4_SL_T5_,"axG",@progbits,_ZN7rocprim17ROCPRIM_304000_NS6detail33device_block_merge_oddeven_kernelINS1_37wrapped_merge_sort_block_merge_configINS0_14default_configEhN2at4cuda3cub6detail10OpaqueTypeILi8EEEEEPhSC_PSA_SD_jNS1_19radix_merge_compareILb0ELb1EhNS0_19identity_decomposerEEEEEvT0_T1_T2_T3_T4_SL_T5_,comdat
	.protected	_ZN7rocprim17ROCPRIM_304000_NS6detail33device_block_merge_oddeven_kernelINS1_37wrapped_merge_sort_block_merge_configINS0_14default_configEhN2at4cuda3cub6detail10OpaqueTypeILi8EEEEEPhSC_PSA_SD_jNS1_19radix_merge_compareILb0ELb1EhNS0_19identity_decomposerEEEEEvT0_T1_T2_T3_T4_SL_T5_ ; -- Begin function _ZN7rocprim17ROCPRIM_304000_NS6detail33device_block_merge_oddeven_kernelINS1_37wrapped_merge_sort_block_merge_configINS0_14default_configEhN2at4cuda3cub6detail10OpaqueTypeILi8EEEEEPhSC_PSA_SD_jNS1_19radix_merge_compareILb0ELb1EhNS0_19identity_decomposerEEEEEvT0_T1_T2_T3_T4_SL_T5_
	.globl	_ZN7rocprim17ROCPRIM_304000_NS6detail33device_block_merge_oddeven_kernelINS1_37wrapped_merge_sort_block_merge_configINS0_14default_configEhN2at4cuda3cub6detail10OpaqueTypeILi8EEEEEPhSC_PSA_SD_jNS1_19radix_merge_compareILb0ELb1EhNS0_19identity_decomposerEEEEEvT0_T1_T2_T3_T4_SL_T5_
	.p2align	8
	.type	_ZN7rocprim17ROCPRIM_304000_NS6detail33device_block_merge_oddeven_kernelINS1_37wrapped_merge_sort_block_merge_configINS0_14default_configEhN2at4cuda3cub6detail10OpaqueTypeILi8EEEEEPhSC_PSA_SD_jNS1_19radix_merge_compareILb0ELb1EhNS0_19identity_decomposerEEEEEvT0_T1_T2_T3_T4_SL_T5_,@function
_ZN7rocprim17ROCPRIM_304000_NS6detail33device_block_merge_oddeven_kernelINS1_37wrapped_merge_sort_block_merge_configINS0_14default_configEhN2at4cuda3cub6detail10OpaqueTypeILi8EEEEEPhSC_PSA_SD_jNS1_19radix_merge_compareILb0ELb1EhNS0_19identity_decomposerEEEEEvT0_T1_T2_T3_T4_SL_T5_: ; @_ZN7rocprim17ROCPRIM_304000_NS6detail33device_block_merge_oddeven_kernelINS1_37wrapped_merge_sort_block_merge_configINS0_14default_configEhN2at4cuda3cub6detail10OpaqueTypeILi8EEEEEPhSC_PSA_SD_jNS1_19radix_merge_compareILb0ELb1EhNS0_19identity_decomposerEEEEEvT0_T1_T2_T3_T4_SL_T5_
; %bb.0:
	s_load_b128 s[16:19], s[0:1], 0x20
	s_waitcnt lgkmcnt(0)
	s_lshr_b32 s2, s16, 8
	s_delay_alu instid0(SALU_CYCLE_1) | instskip(SKIP_4) | instid1(SALU_CYCLE_1)
	s_cmp_lg_u32 s15, s2
	s_cselect_b32 s4, -1, 0
	s_cmp_eq_u32 s15, s2
	s_cselect_b32 s3, -1, 0
	s_lshl_b32 s12, s15, 8
	s_sub_i32 s2, s16, s12
	s_delay_alu instid0(SALU_CYCLE_1) | instskip(NEXT) | instid1(VALU_DEP_1)
	v_cmp_gt_u32_e64 s2, s2, v0
	s_or_b32 s4, s4, s2
	s_delay_alu instid0(SALU_CYCLE_1)
	s_and_saveexec_b32 s5, s4
	s_cbranch_execz .LBB22_26
; %bb.1:
	s_load_b256 s[4:11], s[0:1], 0x0
	s_mov_b32 s13, 0
	v_lshlrev_b32_e32 v1, 3, v0
	v_add_nc_u32_e32 v5, s12, v0
	s_waitcnt lgkmcnt(0)
	s_add_u32 s0, s4, s12
	s_addc_u32 s1, s5, 0
	s_lshl_b64 s[20:21], s[12:13], 3
	s_delay_alu instid0(SALU_CYCLE_1) | instskip(SKIP_4) | instid1(SALU_CYCLE_1)
	s_add_u32 s8, s8, s20
	s_addc_u32 s9, s9, s21
	global_load_b64 v[1:2], v1, s[8:9]
	global_load_u8 v7, v0, s[0:1]
	s_lshr_b32 s0, s17, 8
	s_sub_i32 s1, 0, s0
	s_delay_alu instid0(SALU_CYCLE_1) | instskip(NEXT) | instid1(SALU_CYCLE_1)
	s_and_b32 s1, s15, s1
	s_and_b32 s0, s1, s0
	s_lshl_b32 s9, s1, 8
	s_sub_i32 s1, 0, s17
	s_cmp_eq_u32 s0, 0
	s_cselect_b32 s0, -1, 0
	s_delay_alu instid0(SALU_CYCLE_1) | instskip(SKIP_1) | instid1(SALU_CYCLE_1)
	s_and_b32 s8, s0, exec_lo
	s_cselect_b32 s1, s17, s1
	s_add_i32 s1, s1, s9
	s_delay_alu instid0(SALU_CYCLE_1)
	s_cmp_lt_u32 s1, s16
	s_cbranch_scc1 .LBB22_6
; %bb.2:
	s_and_b32 vcc_lo, exec_lo, s3
	s_cbranch_vccz .LBB22_7
; %bb.3:
	s_mov_b32 s8, 0
	s_mov_b32 s12, exec_lo
                                        ; implicit-def: $vgpr3_vgpr4
	v_cmpx_gt_u32_e64 s16, v5
	s_cbranch_execz .LBB22_5
; %bb.4:
	v_mov_b32_e32 v6, 0
	s_mov_b32 s13, exec_lo
	s_waitcnt vmcnt(0)
	global_store_b8 v5, v7, s[6:7]
	v_lshlrev_b64 v[3:4], 3, v[5:6]
	s_delay_alu instid0(VALU_DEP_1) | instskip(NEXT) | instid1(VALU_DEP_2)
	v_add_co_u32 v3, vcc_lo, s10, v3
	v_add_co_ci_u32_e32 v4, vcc_lo, s11, v4, vcc_lo
.LBB22_5:
	s_or_b32 exec_lo, exec_lo, s12
	s_delay_alu instid0(SALU_CYCLE_1)
	s_and_b32 vcc_lo, exec_lo, s8
	s_cbranch_vccnz .LBB22_8
	s_branch .LBB22_9
.LBB22_6:
                                        ; implicit-def: $vgpr3_vgpr4
	s_cbranch_execnz .LBB22_10
	s_branch .LBB22_24
.LBB22_7:
                                        ; implicit-def: $vgpr3_vgpr4
	s_cbranch_execz .LBB22_9
.LBB22_8:
	v_mov_b32_e32 v6, 0
	s_or_b32 s13, s13, exec_lo
	s_waitcnt vmcnt(0)
	global_store_b8 v5, v7, s[6:7]
	v_lshlrev_b64 v[3:4], 3, v[5:6]
	s_delay_alu instid0(VALU_DEP_1) | instskip(NEXT) | instid1(VALU_DEP_2)
	v_add_co_u32 v3, vcc_lo, s10, v3
	v_add_co_ci_u32_e32 v4, vcc_lo, s11, v4, vcc_lo
.LBB22_9:
	s_branch .LBB22_24
.LBB22_10:
	s_min_u32 s8, s1, s16
	s_and_b32 vcc_lo, exec_lo, s3
	s_add_i32 s12, s9, s8
	s_min_u32 s9, s9, s8
	v_subrev_nc_u32_e32 v0, s12, v5
	s_add_i32 s12, s8, s17
	s_delay_alu instid0(SALU_CYCLE_1) | instskip(NEXT) | instid1(VALU_DEP_1)
	s_min_u32 s3, s12, s16
	v_add_nc_u32_e32 v0, s9, v0
	s_cbranch_vccz .LBB22_18
; %bb.11:
                                        ; implicit-def: $vgpr3_vgpr4
	s_and_saveexec_b32 s9, s2
	s_cbranch_execz .LBB22_17
; %bb.12:
	v_mov_b32_e32 v3, s8
	s_cmp_ge_u32 s1, s3
	s_cbranch_scc1 .LBB22_16
; %bb.13:
	s_waitcnt vmcnt(0)
	v_dual_mov_b32 v3, s8 :: v_dual_and_b32 v6, s18, v7
	v_mov_b32_e32 v4, s3
	v_and_b32_e64 v5, 0xff, s18
	s_mov_b32 s2, 0
	s_delay_alu instid0(VALU_DEP_3)
	v_and_b32_e32 v6, 0xff, v6
	.p2align	6
.LBB22_14:                              ; =>This Inner Loop Header: Depth=1
	s_delay_alu instid0(VALU_DEP_3) | instskip(NEXT) | instid1(VALU_DEP_1)
	v_add_nc_u32_e32 v8, v3, v4
	v_lshrrev_b32_e32 v8, 1, v8
	global_load_u8 v9, v8, s[4:5]
	s_waitcnt vmcnt(0)
	v_and_b32_e32 v9, v9, v5
	s_delay_alu instid0(VALU_DEP_1) | instskip(SKIP_3) | instid1(VALU_DEP_1)
	v_cmp_gt_u16_e32 vcc_lo, v6, v9
	v_cndmask_b32_e64 v10, 0, 1, vcc_lo
	v_cmp_le_u16_e32 vcc_lo, v9, v6
	v_cndmask_b32_e64 v9, 0, 1, vcc_lo
	v_cndmask_b32_e64 v9, v9, v10, s0
	v_add_nc_u32_e32 v10, 1, v8
	s_delay_alu instid0(VALU_DEP_2) | instskip(NEXT) | instid1(VALU_DEP_1)
	v_and_b32_e32 v9, 1, v9
	v_cmp_eq_u32_e32 vcc_lo, 1, v9
	s_delay_alu instid0(VALU_DEP_3) | instskip(NEXT) | instid1(VALU_DEP_1)
	v_dual_cndmask_b32 v4, v8, v4 :: v_dual_cndmask_b32 v3, v3, v10
	v_cmp_ge_u32_e32 vcc_lo, v3, v4
	s_or_b32 s2, vcc_lo, s2
	s_delay_alu instid0(SALU_CYCLE_1)
	s_and_not1_b32 exec_lo, exec_lo, s2
	s_cbranch_execnz .LBB22_14
; %bb.15:
	s_or_b32 exec_lo, exec_lo, s2
.LBB22_16:
	s_delay_alu instid0(VALU_DEP_1) | instskip(SKIP_4) | instid1(VALU_DEP_1)
	v_dual_mov_b32 v6, 0 :: v_dual_add_nc_u32 v5, v3, v0
	s_or_b32 s13, s13, exec_lo
	s_waitcnt vmcnt(0)
	global_store_b8 v5, v7, s[6:7]
	v_lshlrev_b64 v[3:4], 3, v[5:6]
	v_add_co_u32 v3, vcc_lo, s10, v3
	s_delay_alu instid0(VALU_DEP_2)
	v_add_co_ci_u32_e32 v4, vcc_lo, s11, v4, vcc_lo
.LBB22_17:
	s_or_b32 exec_lo, exec_lo, s9
	s_branch .LBB22_24
.LBB22_18:
                                        ; implicit-def: $vgpr3_vgpr4
	s_cbranch_execz .LBB22_24
; %bb.19:
	v_mov_b32_e32 v3, s8
	s_cmp_ge_u32 s1, s3
	s_cbranch_scc1 .LBB22_23
; %bb.20:
	s_waitcnt vmcnt(0)
	v_dual_mov_b32 v3, s8 :: v_dual_and_b32 v6, s18, v7
	v_mov_b32_e32 v4, s3
	v_and_b32_e64 v5, 0xff, s18
	s_mov_b32 s1, 0
	s_delay_alu instid0(VALU_DEP_3)
	v_and_b32_e32 v6, 0xff, v6
	.p2align	6
.LBB22_21:                              ; =>This Inner Loop Header: Depth=1
	s_delay_alu instid0(VALU_DEP_3) | instskip(NEXT) | instid1(VALU_DEP_1)
	v_add_nc_u32_e32 v8, v3, v4
	v_lshrrev_b32_e32 v8, 1, v8
	global_load_u8 v9, v8, s[4:5]
	s_waitcnt vmcnt(0)
	v_and_b32_e32 v9, v9, v5
	s_delay_alu instid0(VALU_DEP_1) | instskip(SKIP_3) | instid1(VALU_DEP_1)
	v_cmp_gt_u16_e32 vcc_lo, v6, v9
	v_cndmask_b32_e64 v10, 0, 1, vcc_lo
	v_cmp_le_u16_e32 vcc_lo, v9, v6
	v_cndmask_b32_e64 v9, 0, 1, vcc_lo
	v_cndmask_b32_e64 v9, v9, v10, s0
	v_add_nc_u32_e32 v10, 1, v8
	s_delay_alu instid0(VALU_DEP_2) | instskip(NEXT) | instid1(VALU_DEP_1)
	v_and_b32_e32 v9, 1, v9
	v_cmp_eq_u32_e32 vcc_lo, 1, v9
	s_delay_alu instid0(VALU_DEP_3) | instskip(NEXT) | instid1(VALU_DEP_1)
	v_dual_cndmask_b32 v4, v8, v4 :: v_dual_cndmask_b32 v3, v3, v10
	v_cmp_ge_u32_e32 vcc_lo, v3, v4
	s_or_b32 s1, vcc_lo, s1
	s_delay_alu instid0(SALU_CYCLE_1)
	s_and_not1_b32 exec_lo, exec_lo, s1
	s_cbranch_execnz .LBB22_21
; %bb.22:
	s_or_b32 exec_lo, exec_lo, s1
.LBB22_23:
	s_delay_alu instid0(VALU_DEP_1) | instskip(SKIP_4) | instid1(VALU_DEP_1)
	v_dual_mov_b32 v6, 0 :: v_dual_add_nc_u32 v5, v3, v0
	s_mov_b32 s13, -1
	s_waitcnt vmcnt(0)
	global_store_b8 v5, v7, s[6:7]
	v_lshlrev_b64 v[3:4], 3, v[5:6]
	v_add_co_u32 v3, vcc_lo, s10, v3
	s_delay_alu instid0(VALU_DEP_2)
	v_add_co_ci_u32_e32 v4, vcc_lo, s11, v4, vcc_lo
.LBB22_24:
	s_and_b32 exec_lo, exec_lo, s13
	s_cbranch_execz .LBB22_26
; %bb.25:
	s_waitcnt vmcnt(1)
	global_store_b64 v[3:4], v[1:2], off
.LBB22_26:
	s_nop 0
	s_sendmsg sendmsg(MSG_DEALLOC_VGPRS)
	s_endpgm
	.section	.rodata,"a",@progbits
	.p2align	6, 0x0
	.amdhsa_kernel _ZN7rocprim17ROCPRIM_304000_NS6detail33device_block_merge_oddeven_kernelINS1_37wrapped_merge_sort_block_merge_configINS0_14default_configEhN2at4cuda3cub6detail10OpaqueTypeILi8EEEEEPhSC_PSA_SD_jNS1_19radix_merge_compareILb0ELb1EhNS0_19identity_decomposerEEEEEvT0_T1_T2_T3_T4_SL_T5_
		.amdhsa_group_segment_fixed_size 0
		.amdhsa_private_segment_fixed_size 0
		.amdhsa_kernarg_size 44
		.amdhsa_user_sgpr_count 15
		.amdhsa_user_sgpr_dispatch_ptr 0
		.amdhsa_user_sgpr_queue_ptr 0
		.amdhsa_user_sgpr_kernarg_segment_ptr 1
		.amdhsa_user_sgpr_dispatch_id 0
		.amdhsa_user_sgpr_private_segment_size 0
		.amdhsa_wavefront_size32 1
		.amdhsa_uses_dynamic_stack 0
		.amdhsa_enable_private_segment 0
		.amdhsa_system_sgpr_workgroup_id_x 1
		.amdhsa_system_sgpr_workgroup_id_y 0
		.amdhsa_system_sgpr_workgroup_id_z 0
		.amdhsa_system_sgpr_workgroup_info 0
		.amdhsa_system_vgpr_workitem_id 0
		.amdhsa_next_free_vgpr 11
		.amdhsa_next_free_sgpr 22
		.amdhsa_reserve_vcc 1
		.amdhsa_float_round_mode_32 0
		.amdhsa_float_round_mode_16_64 0
		.amdhsa_float_denorm_mode_32 3
		.amdhsa_float_denorm_mode_16_64 3
		.amdhsa_dx10_clamp 1
		.amdhsa_ieee_mode 1
		.amdhsa_fp16_overflow 0
		.amdhsa_workgroup_processor_mode 1
		.amdhsa_memory_ordered 1
		.amdhsa_forward_progress 0
		.amdhsa_shared_vgpr_count 0
		.amdhsa_exception_fp_ieee_invalid_op 0
		.amdhsa_exception_fp_denorm_src 0
		.amdhsa_exception_fp_ieee_div_zero 0
		.amdhsa_exception_fp_ieee_overflow 0
		.amdhsa_exception_fp_ieee_underflow 0
		.amdhsa_exception_fp_ieee_inexact 0
		.amdhsa_exception_int_div_zero 0
	.end_amdhsa_kernel
	.section	.text._ZN7rocprim17ROCPRIM_304000_NS6detail33device_block_merge_oddeven_kernelINS1_37wrapped_merge_sort_block_merge_configINS0_14default_configEhN2at4cuda3cub6detail10OpaqueTypeILi8EEEEEPhSC_PSA_SD_jNS1_19radix_merge_compareILb0ELb1EhNS0_19identity_decomposerEEEEEvT0_T1_T2_T3_T4_SL_T5_,"axG",@progbits,_ZN7rocprim17ROCPRIM_304000_NS6detail33device_block_merge_oddeven_kernelINS1_37wrapped_merge_sort_block_merge_configINS0_14default_configEhN2at4cuda3cub6detail10OpaqueTypeILi8EEEEEPhSC_PSA_SD_jNS1_19radix_merge_compareILb0ELb1EhNS0_19identity_decomposerEEEEEvT0_T1_T2_T3_T4_SL_T5_,comdat
.Lfunc_end22:
	.size	_ZN7rocprim17ROCPRIM_304000_NS6detail33device_block_merge_oddeven_kernelINS1_37wrapped_merge_sort_block_merge_configINS0_14default_configEhN2at4cuda3cub6detail10OpaqueTypeILi8EEEEEPhSC_PSA_SD_jNS1_19radix_merge_compareILb0ELb1EhNS0_19identity_decomposerEEEEEvT0_T1_T2_T3_T4_SL_T5_, .Lfunc_end22-_ZN7rocprim17ROCPRIM_304000_NS6detail33device_block_merge_oddeven_kernelINS1_37wrapped_merge_sort_block_merge_configINS0_14default_configEhN2at4cuda3cub6detail10OpaqueTypeILi8EEEEEPhSC_PSA_SD_jNS1_19radix_merge_compareILb0ELb1EhNS0_19identity_decomposerEEEEEvT0_T1_T2_T3_T4_SL_T5_
                                        ; -- End function
	.section	.AMDGPU.csdata,"",@progbits
; Kernel info:
; codeLenInByte = 892
; NumSgprs: 24
; NumVgprs: 11
; ScratchSize: 0
; MemoryBound: 0
; FloatMode: 240
; IeeeMode: 1
; LDSByteSize: 0 bytes/workgroup (compile time only)
; SGPRBlocks: 2
; VGPRBlocks: 1
; NumSGPRsForWavesPerEU: 24
; NumVGPRsForWavesPerEU: 11
; Occupancy: 16
; WaveLimiterHint : 0
; COMPUTE_PGM_RSRC2:SCRATCH_EN: 0
; COMPUTE_PGM_RSRC2:USER_SGPR: 15
; COMPUTE_PGM_RSRC2:TRAP_HANDLER: 0
; COMPUTE_PGM_RSRC2:TGID_X_EN: 1
; COMPUTE_PGM_RSRC2:TGID_Y_EN: 0
; COMPUTE_PGM_RSRC2:TGID_Z_EN: 0
; COMPUTE_PGM_RSRC2:TIDIG_COMP_CNT: 0
	.section	.text._ZN7rocprim17ROCPRIM_304000_NS6detail26onesweep_histograms_kernelINS1_34wrapped_radix_sort_onesweep_configINS0_14default_configEhN2at4cuda3cub6detail10OpaqueTypeILi8EEEEELb0EPKhmNS0_19identity_decomposerEEEvT1_PT2_SG_SG_T3_jj,"axG",@progbits,_ZN7rocprim17ROCPRIM_304000_NS6detail26onesweep_histograms_kernelINS1_34wrapped_radix_sort_onesweep_configINS0_14default_configEhN2at4cuda3cub6detail10OpaqueTypeILi8EEEEELb0EPKhmNS0_19identity_decomposerEEEvT1_PT2_SG_SG_T3_jj,comdat
	.protected	_ZN7rocprim17ROCPRIM_304000_NS6detail26onesweep_histograms_kernelINS1_34wrapped_radix_sort_onesweep_configINS0_14default_configEhN2at4cuda3cub6detail10OpaqueTypeILi8EEEEELb0EPKhmNS0_19identity_decomposerEEEvT1_PT2_SG_SG_T3_jj ; -- Begin function _ZN7rocprim17ROCPRIM_304000_NS6detail26onesweep_histograms_kernelINS1_34wrapped_radix_sort_onesweep_configINS0_14default_configEhN2at4cuda3cub6detail10OpaqueTypeILi8EEEEELb0EPKhmNS0_19identity_decomposerEEEvT1_PT2_SG_SG_T3_jj
	.globl	_ZN7rocprim17ROCPRIM_304000_NS6detail26onesweep_histograms_kernelINS1_34wrapped_radix_sort_onesweep_configINS0_14default_configEhN2at4cuda3cub6detail10OpaqueTypeILi8EEEEELb0EPKhmNS0_19identity_decomposerEEEvT1_PT2_SG_SG_T3_jj
	.p2align	8
	.type	_ZN7rocprim17ROCPRIM_304000_NS6detail26onesweep_histograms_kernelINS1_34wrapped_radix_sort_onesweep_configINS0_14default_configEhN2at4cuda3cub6detail10OpaqueTypeILi8EEEEELb0EPKhmNS0_19identity_decomposerEEEvT1_PT2_SG_SG_T3_jj,@function
_ZN7rocprim17ROCPRIM_304000_NS6detail26onesweep_histograms_kernelINS1_34wrapped_radix_sort_onesweep_configINS0_14default_configEhN2at4cuda3cub6detail10OpaqueTypeILi8EEEEELb0EPKhmNS0_19identity_decomposerEEEvT1_PT2_SG_SG_T3_jj: ; @_ZN7rocprim17ROCPRIM_304000_NS6detail26onesweep_histograms_kernelINS1_34wrapped_radix_sort_onesweep_configINS0_14default_configEhN2at4cuda3cub6detail10OpaqueTypeILi8EEEEELb0EPKhmNS0_19identity_decomposerEEEvT1_PT2_SG_SG_T3_jj
; %bb.0:
	s_clause 0x1
	s_load_b256 s[20:27], s[0:1], 0x0
	s_load_b64 s[28:29], s[0:1], 0x24
	s_mov_b32 s2, s15
	s_mov_b32 s3, 0
	s_mul_i32 s1, s15, 0x1600
	s_waitcnt lgkmcnt(0)
	v_cmp_ge_u64_e64 s0, s[2:3], s[26:27]
	s_mul_hi_u32 s2, s15, 0x1600
	s_add_u32 s30, s20, s1
	s_addc_u32 s31, s21, s2
	s_delay_alu instid0(VALU_DEP_1)
	s_and_b32 vcc_lo, exec_lo, s0
	s_mov_b32 s0, -1
	s_cbranch_vccz .LBB23_142
; %bb.1:
	s_mul_i32 s21, s26, 0xffffea00
	v_add_co_u32 v1, s0, s30, v0
	s_add_i32 s21, s21, s24
	v_add_co_ci_u32_e64 v2, null, s31, 0, s0
	v_cmp_gt_u32_e64 s20, s21, v0
                                        ; implicit-def: $vgpr24
	s_delay_alu instid0(VALU_DEP_1)
	s_and_saveexec_b32 s0, s20
	s_cbranch_execz .LBB23_3
; %bb.2:
	global_load_u8 v24, v[1:2], off
.LBB23_3:
	s_or_b32 exec_lo, exec_lo, s0
	v_or_b32_e32 v3, 0x100, v0
                                        ; implicit-def: $vgpr23
	s_delay_alu instid0(VALU_DEP_1) | instskip(NEXT) | instid1(VALU_DEP_1)
	v_cmp_gt_u32_e64 s19, s21, v3
	s_and_saveexec_b32 s0, s19
	s_cbranch_execz .LBB23_5
; %bb.4:
	global_load_u8 v23, v[1:2], off offset:256
.LBB23_5:
	s_or_b32 exec_lo, exec_lo, s0
	v_or_b32_e32 v3, 0x200, v0
                                        ; implicit-def: $vgpr22
	s_delay_alu instid0(VALU_DEP_1) | instskip(NEXT) | instid1(VALU_DEP_1)
	v_cmp_gt_u32_e64 s18, s21, v3
	s_and_saveexec_b32 s0, s18
	s_cbranch_execz .LBB23_7
; %bb.6:
	global_load_u8 v22, v[1:2], off offset:512
.LBB23_7:
	s_or_b32 exec_lo, exec_lo, s0
	v_or_b32_e32 v3, 0x300, v0
                                        ; implicit-def: $vgpr21
	s_delay_alu instid0(VALU_DEP_1) | instskip(NEXT) | instid1(VALU_DEP_1)
	v_cmp_gt_u32_e64 s17, s21, v3
	s_and_saveexec_b32 s0, s17
	s_cbranch_execz .LBB23_9
; %bb.8:
	global_load_u8 v21, v[1:2], off offset:768
.LBB23_9:
	s_or_b32 exec_lo, exec_lo, s0
	v_or_b32_e32 v3, 0x400, v0
                                        ; implicit-def: $vgpr20
	s_delay_alu instid0(VALU_DEP_1) | instskip(NEXT) | instid1(VALU_DEP_1)
	v_cmp_gt_u32_e64 s16, s21, v3
	s_and_saveexec_b32 s0, s16
	s_cbranch_execz .LBB23_11
; %bb.10:
	global_load_u8 v20, v[1:2], off offset:1024
.LBB23_11:
	s_or_b32 exec_lo, exec_lo, s0
	v_or_b32_e32 v3, 0x500, v0
                                        ; implicit-def: $vgpr19
	s_delay_alu instid0(VALU_DEP_1) | instskip(NEXT) | instid1(VALU_DEP_1)
	v_cmp_gt_u32_e64 s15, s21, v3
	s_and_saveexec_b32 s0, s15
	s_cbranch_execz .LBB23_13
; %bb.12:
	global_load_u8 v19, v[1:2], off offset:1280
.LBB23_13:
	s_or_b32 exec_lo, exec_lo, s0
	v_or_b32_e32 v3, 0x600, v0
                                        ; implicit-def: $vgpr18
	s_delay_alu instid0(VALU_DEP_1) | instskip(NEXT) | instid1(VALU_DEP_1)
	v_cmp_gt_u32_e64 s14, s21, v3
	s_and_saveexec_b32 s0, s14
	s_cbranch_execz .LBB23_15
; %bb.14:
	global_load_u8 v18, v[1:2], off offset:1536
.LBB23_15:
	s_or_b32 exec_lo, exec_lo, s0
	v_or_b32_e32 v3, 0x700, v0
                                        ; implicit-def: $vgpr17
	s_delay_alu instid0(VALU_DEP_1) | instskip(NEXT) | instid1(VALU_DEP_1)
	v_cmp_gt_u32_e64 s13, s21, v3
	s_and_saveexec_b32 s0, s13
	s_cbranch_execz .LBB23_17
; %bb.16:
	global_load_u8 v17, v[1:2], off offset:1792
.LBB23_17:
	s_or_b32 exec_lo, exec_lo, s0
	v_or_b32_e32 v3, 0x800, v0
                                        ; implicit-def: $vgpr16
	s_delay_alu instid0(VALU_DEP_1) | instskip(NEXT) | instid1(VALU_DEP_1)
	v_cmp_gt_u32_e64 s12, s21, v3
	s_and_saveexec_b32 s0, s12
	s_cbranch_execz .LBB23_19
; %bb.18:
	global_load_u8 v16, v[1:2], off offset:2048
.LBB23_19:
	s_or_b32 exec_lo, exec_lo, s0
	v_or_b32_e32 v3, 0x900, v0
                                        ; implicit-def: $vgpr15
	s_delay_alu instid0(VALU_DEP_1) | instskip(NEXT) | instid1(VALU_DEP_1)
	v_cmp_gt_u32_e64 s11, s21, v3
	s_and_saveexec_b32 s0, s11
	s_cbranch_execz .LBB23_21
; %bb.20:
	global_load_u8 v15, v[1:2], off offset:2304
.LBB23_21:
	s_or_b32 exec_lo, exec_lo, s0
	v_or_b32_e32 v3, 0xa00, v0
                                        ; implicit-def: $vgpr14
	s_delay_alu instid0(VALU_DEP_1) | instskip(NEXT) | instid1(VALU_DEP_1)
	v_cmp_gt_u32_e64 s10, s21, v3
	s_and_saveexec_b32 s0, s10
	s_cbranch_execz .LBB23_23
; %bb.22:
	global_load_u8 v14, v[1:2], off offset:2560
.LBB23_23:
	s_or_b32 exec_lo, exec_lo, s0
	v_or_b32_e32 v3, 0xb00, v0
                                        ; implicit-def: $vgpr13
	s_delay_alu instid0(VALU_DEP_1) | instskip(NEXT) | instid1(VALU_DEP_1)
	v_cmp_gt_u32_e64 s9, s21, v3
	s_and_saveexec_b32 s0, s9
	s_cbranch_execz .LBB23_25
; %bb.24:
	global_load_u8 v13, v[1:2], off offset:2816
.LBB23_25:
	s_or_b32 exec_lo, exec_lo, s0
	v_or_b32_e32 v3, 0xc00, v0
                                        ; implicit-def: $vgpr12
	s_delay_alu instid0(VALU_DEP_1) | instskip(NEXT) | instid1(VALU_DEP_1)
	v_cmp_gt_u32_e64 s8, s21, v3
	s_and_saveexec_b32 s0, s8
	s_cbranch_execz .LBB23_27
; %bb.26:
	global_load_u8 v12, v[1:2], off offset:3072
.LBB23_27:
	s_or_b32 exec_lo, exec_lo, s0
	v_or_b32_e32 v3, 0xd00, v0
                                        ; implicit-def: $vgpr11
	s_delay_alu instid0(VALU_DEP_1) | instskip(NEXT) | instid1(VALU_DEP_1)
	v_cmp_gt_u32_e64 s7, s21, v3
	s_and_saveexec_b32 s0, s7
	s_cbranch_execz .LBB23_29
; %bb.28:
	global_load_u8 v11, v[1:2], off offset:3328
.LBB23_29:
	s_or_b32 exec_lo, exec_lo, s0
	v_or_b32_e32 v3, 0xe00, v0
                                        ; implicit-def: $vgpr10
	s_delay_alu instid0(VALU_DEP_1) | instskip(NEXT) | instid1(VALU_DEP_1)
	v_cmp_gt_u32_e64 s6, s21, v3
	s_and_saveexec_b32 s0, s6
	s_cbranch_execz .LBB23_31
; %bb.30:
	global_load_u8 v10, v[1:2], off offset:3584
.LBB23_31:
	s_or_b32 exec_lo, exec_lo, s0
	v_or_b32_e32 v3, 0xf00, v0
                                        ; implicit-def: $vgpr9
	s_delay_alu instid0(VALU_DEP_1) | instskip(NEXT) | instid1(VALU_DEP_1)
	v_cmp_gt_u32_e64 s5, s21, v3
	s_and_saveexec_b32 s0, s5
	s_cbranch_execz .LBB23_33
; %bb.32:
	global_load_u8 v9, v[1:2], off offset:3840
.LBB23_33:
	s_or_b32 exec_lo, exec_lo, s0
	v_or_b32_e32 v3, 0x1000, v0
                                        ; implicit-def: $vgpr8
	s_delay_alu instid0(VALU_DEP_1) | instskip(NEXT) | instid1(VALU_DEP_1)
	v_cmp_gt_u32_e64 s4, s21, v3
	s_and_saveexec_b32 s0, s4
	s_cbranch_execz .LBB23_35
; %bb.34:
	v_add_co_u32 v3, vcc_lo, 0x1000, v1
	v_add_co_ci_u32_e32 v4, vcc_lo, 0, v2, vcc_lo
	global_load_u8 v8, v[3:4], off
.LBB23_35:
	s_or_b32 exec_lo, exec_lo, s0
	v_or_b32_e32 v3, 0x1100, v0
                                        ; implicit-def: $vgpr7
	s_delay_alu instid0(VALU_DEP_1) | instskip(NEXT) | instid1(VALU_DEP_1)
	v_cmp_gt_u32_e64 s3, s21, v3
	s_and_saveexec_b32 s0, s3
	s_cbranch_execz .LBB23_37
; %bb.36:
	v_add_co_u32 v3, vcc_lo, 0x1000, v1
	v_add_co_ci_u32_e32 v4, vcc_lo, 0, v2, vcc_lo
	global_load_u8 v7, v[3:4], off offset:256
.LBB23_37:
	s_or_b32 exec_lo, exec_lo, s0
	v_or_b32_e32 v3, 0x1200, v0
                                        ; implicit-def: $vgpr6
	s_delay_alu instid0(VALU_DEP_1) | instskip(NEXT) | instid1(VALU_DEP_1)
	v_cmp_gt_u32_e64 s2, s21, v3
	s_and_saveexec_b32 s0, s2
	s_cbranch_execz .LBB23_39
; %bb.38:
	v_add_co_u32 v3, vcc_lo, 0x1000, v1
	v_add_co_ci_u32_e32 v4, vcc_lo, 0, v2, vcc_lo
	global_load_u8 v6, v[3:4], off offset:512
.LBB23_39:
	s_or_b32 exec_lo, exec_lo, s0
	v_or_b32_e32 v3, 0x1300, v0
                                        ; implicit-def: $vgpr5
	s_delay_alu instid0(VALU_DEP_1) | instskip(NEXT) | instid1(VALU_DEP_1)
	v_cmp_gt_u32_e64 s1, s21, v3
	s_and_saveexec_b32 s0, s1
	s_cbranch_execz .LBB23_41
; %bb.40:
	v_add_co_u32 v3, vcc_lo, 0x1000, v1
	v_add_co_ci_u32_e32 v4, vcc_lo, 0, v2, vcc_lo
	global_load_u8 v5, v[3:4], off offset:768
.LBB23_41:
	s_or_b32 exec_lo, exec_lo, s0
	v_or_b32_e32 v3, 0x1400, v0
                                        ; implicit-def: $vgpr4
	s_delay_alu instid0(VALU_DEP_1) | instskip(NEXT) | instid1(VALU_DEP_1)
	v_cmp_gt_u32_e64 s0, s21, v3
	s_and_saveexec_b32 s24, s0
	s_cbranch_execz .LBB23_43
; %bb.42:
	v_add_co_u32 v3, vcc_lo, 0x1000, v1
	v_add_co_ci_u32_e32 v4, vcc_lo, 0, v2, vcc_lo
	global_load_u8 v4, v[3:4], off offset:1024
.LBB23_43:
	s_or_b32 exec_lo, exec_lo, s24
	v_or_b32_e32 v3, 0x1500, v0
	s_delay_alu instid0(VALU_DEP_1)
	v_cmp_gt_u32_e32 vcc_lo, s21, v3
                                        ; implicit-def: $vgpr3
	s_and_saveexec_b32 s24, vcc_lo
	s_cbranch_execz .LBB23_45
; %bb.44:
	v_add_co_u32 v1, s21, 0x1000, v1
	s_delay_alu instid0(VALU_DEP_1)
	v_add_co_ci_u32_e64 v2, s21, 0, v2, s21
	global_load_u8 v3, v[1:2], off offset:1280
.LBB23_45:
	s_or_b32 exec_lo, exec_lo, s24
	v_or_b32_e32 v1, 0xffffff00, v0
	v_dual_mov_b32 v25, 0 :: v_dual_lshlrev_b32 v2, 2, v0
	s_mov_b32 s24, 0
.LBB23_46:                              ; =>This Inner Loop Header: Depth=1
	s_delay_alu instid0(VALU_DEP_2) | instskip(SKIP_3) | instid1(VALU_DEP_1)
	v_add_nc_u32_e32 v1, 0x100, v1
	ds_store_b32 v2, v25
	v_add_nc_u32_e32 v2, 0x400, v2
	v_cmp_lt_u32_e64 s21, 0x2ff, v1
	s_or_b32 s24, s21, s24
	s_delay_alu instid0(SALU_CYCLE_1)
	s_and_not1_b32 exec_lo, exec_lo, s24
	s_cbranch_execnz .LBB23_46
; %bb.47:
	s_or_b32 exec_lo, exec_lo, s24
	s_cmp_gt_u32 s29, s28
	s_waitcnt vmcnt(0) lgkmcnt(0)
	s_cselect_b32 s21, -1, 0
	s_cmp_le_u32 s29, s28
	s_barrier
	buffer_gl0_inv
	s_cbranch_scc1 .LBB23_136
; %bb.48:
	v_and_b32_e32 v1, 3, v0
	v_and_b32_e32 v2, 0xff, v24
	v_mov_b32_e32 v24, 1
	s_sub_i32 s24, s29, s28
	s_mov_b32 s26, s28
	v_lshlrev_b32_e32 v1, 2, v1
	s_mov_b32 s25, s24
	s_delay_alu instid0(VALU_DEP_1)
	v_mov_b32_e32 v25, v1
	s_branch .LBB23_50
	.p2align	6
.LBB23_49:                              ;   in Loop: Header=BB23_50 Depth=1
	s_or_b32 exec_lo, exec_lo, s27
	v_add_nc_u32_e32 v25, 0x1000, v25
	s_add_i32 s26, s26, 8
	s_add_i32 s25, s25, -8
	s_cmp_ge_u32 s26, s29
	s_cbranch_scc1 .LBB23_52
.LBB23_50:                              ; =>This Inner Loop Header: Depth=1
	s_and_saveexec_b32 s27, s20
	s_cbranch_execz .LBB23_49
; %bb.51:                               ;   in Loop: Header=BB23_50 Depth=1
	v_lshrrev_b32_e32 v26, s26, v2
	s_min_u32 s33, s25, 8
	s_delay_alu instid0(VALU_DEP_1) | instid1(SALU_CYCLE_1)
	v_bfe_u32 v26, v26, 0, s33
	s_delay_alu instid0(VALU_DEP_1)
	v_lshl_add_u32 v26, v26, 4, v25
	ds_add_u32 v26, v24
	s_branch .LBB23_49
.LBB23_52:
	v_dual_mov_b32 v23, 1 :: v_dual_and_b32 v2, 0xff, v23
	v_mov_b32_e32 v24, v1
	s_mov_b32 s20, s24
	s_mov_b32 s25, s28
	s_branch .LBB23_54
	.p2align	6
.LBB23_53:                              ;   in Loop: Header=BB23_54 Depth=1
	s_or_b32 exec_lo, exec_lo, s26
	v_add_nc_u32_e32 v24, 0x1000, v24
	s_add_i32 s25, s25, 8
	s_add_i32 s20, s20, -8
	s_cmp_lt_u32 s25, s29
	s_cbranch_scc0 .LBB23_56
.LBB23_54:                              ; =>This Inner Loop Header: Depth=1
	s_and_saveexec_b32 s26, s19
	s_cbranch_execz .LBB23_53
; %bb.55:                               ;   in Loop: Header=BB23_54 Depth=1
	v_lshrrev_b32_e32 v25, s25, v2
	s_min_u32 s27, s20, 8
	s_delay_alu instid0(VALU_DEP_1) | instid1(SALU_CYCLE_1)
	v_bfe_u32 v25, v25, 0, s27
	s_delay_alu instid0(VALU_DEP_1)
	v_lshl_add_u32 v25, v25, 4, v24
	ds_add_u32 v25, v23
	s_branch .LBB23_53
.LBB23_56:
	v_dual_mov_b32 v23, v1 :: v_dual_and_b32 v2, 0xff, v22
	v_mov_b32_e32 v22, 1
	s_mov_b32 s19, s24
	s_mov_b32 s20, s28
	s_branch .LBB23_58
	.p2align	6
.LBB23_57:                              ;   in Loop: Header=BB23_58 Depth=1
	s_or_b32 exec_lo, exec_lo, s25
	v_add_nc_u32_e32 v23, 0x1000, v23
	s_add_i32 s20, s20, 8
	s_add_i32 s19, s19, -8
	s_cmp_lt_u32 s20, s29
	s_cbranch_scc0 .LBB23_60
.LBB23_58:                              ; =>This Inner Loop Header: Depth=1
	s_and_saveexec_b32 s25, s18
	s_cbranch_execz .LBB23_57
; %bb.59:                               ;   in Loop: Header=BB23_58 Depth=1
	v_lshrrev_b32_e32 v24, s20, v2
	s_min_u32 s26, s19, 8
	s_delay_alu instid0(VALU_DEP_1) | instid1(SALU_CYCLE_1)
	v_bfe_u32 v24, v24, 0, s26
	s_delay_alu instid0(VALU_DEP_1)
	v_lshl_add_u32 v24, v24, 4, v23
	ds_add_u32 v24, v22
	s_branch .LBB23_57
.LBB23_60:
	v_dual_mov_b32 v21, 1 :: v_dual_and_b32 v2, 0xff, v21
	v_mov_b32_e32 v22, v1
	s_mov_b32 s18, s24
	s_mov_b32 s19, s28
	s_branch .LBB23_62
	.p2align	6
.LBB23_61:                              ;   in Loop: Header=BB23_62 Depth=1
	s_or_b32 exec_lo, exec_lo, s20
	v_add_nc_u32_e32 v22, 0x1000, v22
	s_add_i32 s19, s19, 8
	s_add_i32 s18, s18, -8
	s_cmp_lt_u32 s19, s29
	s_cbranch_scc0 .LBB23_64
.LBB23_62:                              ; =>This Inner Loop Header: Depth=1
	s_and_saveexec_b32 s20, s17
	s_cbranch_execz .LBB23_61
; %bb.63:                               ;   in Loop: Header=BB23_62 Depth=1
	v_lshrrev_b32_e32 v23, s19, v2
	s_min_u32 s25, s18, 8
	s_delay_alu instid0(VALU_DEP_1) | instid1(SALU_CYCLE_1)
	v_bfe_u32 v23, v23, 0, s25
	s_delay_alu instid0(VALU_DEP_1)
	v_lshl_add_u32 v23, v23, 4, v22
	ds_add_u32 v23, v21
	s_branch .LBB23_61
.LBB23_64:
	v_dual_mov_b32 v21, v1 :: v_dual_and_b32 v2, 0xff, v20
	v_mov_b32_e32 v20, 1
	s_mov_b32 s17, s24
	s_mov_b32 s18, s28
	s_branch .LBB23_66
	.p2align	6
.LBB23_65:                              ;   in Loop: Header=BB23_66 Depth=1
	s_or_b32 exec_lo, exec_lo, s19
	v_add_nc_u32_e32 v21, 0x1000, v21
	s_add_i32 s18, s18, 8
	s_add_i32 s17, s17, -8
	s_cmp_lt_u32 s18, s29
	s_cbranch_scc0 .LBB23_68
.LBB23_66:                              ; =>This Inner Loop Header: Depth=1
	s_and_saveexec_b32 s19, s16
	s_cbranch_execz .LBB23_65
; %bb.67:                               ;   in Loop: Header=BB23_66 Depth=1
	v_lshrrev_b32_e32 v22, s18, v2
	s_min_u32 s20, s17, 8
	s_delay_alu instid0(VALU_DEP_1) | instid1(SALU_CYCLE_1)
	v_bfe_u32 v22, v22, 0, s20
	s_delay_alu instid0(VALU_DEP_1)
	v_lshl_add_u32 v22, v22, 4, v21
	ds_add_u32 v22, v20
	s_branch .LBB23_65
.LBB23_68:
	v_dual_mov_b32 v19, 1 :: v_dual_and_b32 v2, 0xff, v19
	v_mov_b32_e32 v20, v1
	s_mov_b32 s16, s24
	s_mov_b32 s17, s28
	s_branch .LBB23_70
	.p2align	6
.LBB23_69:                              ;   in Loop: Header=BB23_70 Depth=1
	s_or_b32 exec_lo, exec_lo, s18
	v_add_nc_u32_e32 v20, 0x1000, v20
	s_add_i32 s17, s17, 8
	s_add_i32 s16, s16, -8
	s_cmp_lt_u32 s17, s29
	s_cbranch_scc0 .LBB23_72
.LBB23_70:                              ; =>This Inner Loop Header: Depth=1
	s_and_saveexec_b32 s18, s15
	s_cbranch_execz .LBB23_69
; %bb.71:                               ;   in Loop: Header=BB23_70 Depth=1
	v_lshrrev_b32_e32 v21, s17, v2
	s_min_u32 s19, s16, 8
	s_delay_alu instid0(VALU_DEP_1) | instid1(SALU_CYCLE_1)
	v_bfe_u32 v21, v21, 0, s19
	s_delay_alu instid0(VALU_DEP_1)
	v_lshl_add_u32 v21, v21, 4, v20
	ds_add_u32 v21, v19
	s_branch .LBB23_69
.LBB23_72:
	v_dual_mov_b32 v19, v1 :: v_dual_and_b32 v2, 0xff, v18
	v_mov_b32_e32 v18, 1
	s_mov_b32 s15, s24
	s_mov_b32 s16, s28
	s_branch .LBB23_74
	.p2align	6
.LBB23_73:                              ;   in Loop: Header=BB23_74 Depth=1
	s_or_b32 exec_lo, exec_lo, s17
	v_add_nc_u32_e32 v19, 0x1000, v19
	s_add_i32 s16, s16, 8
	s_add_i32 s15, s15, -8
	s_cmp_lt_u32 s16, s29
	s_cbranch_scc0 .LBB23_76
.LBB23_74:                              ; =>This Inner Loop Header: Depth=1
	s_and_saveexec_b32 s17, s14
	s_cbranch_execz .LBB23_73
; %bb.75:                               ;   in Loop: Header=BB23_74 Depth=1
	v_lshrrev_b32_e32 v20, s16, v2
	s_min_u32 s18, s15, 8
	s_delay_alu instid0(VALU_DEP_1) | instid1(SALU_CYCLE_1)
	v_bfe_u32 v20, v20, 0, s18
	s_delay_alu instid0(VALU_DEP_1)
	v_lshl_add_u32 v20, v20, 4, v19
	ds_add_u32 v20, v18
	s_branch .LBB23_73
.LBB23_76:
	v_dual_mov_b32 v17, 1 :: v_dual_and_b32 v2, 0xff, v17
	v_mov_b32_e32 v18, v1
	s_mov_b32 s14, s24
	s_mov_b32 s15, s28
	s_branch .LBB23_78
	.p2align	6
.LBB23_77:                              ;   in Loop: Header=BB23_78 Depth=1
	s_or_b32 exec_lo, exec_lo, s16
	v_add_nc_u32_e32 v18, 0x1000, v18
	s_add_i32 s15, s15, 8
	s_add_i32 s14, s14, -8
	s_cmp_lt_u32 s15, s29
	s_cbranch_scc0 .LBB23_80
.LBB23_78:                              ; =>This Inner Loop Header: Depth=1
	s_and_saveexec_b32 s16, s13
	s_cbranch_execz .LBB23_77
; %bb.79:                               ;   in Loop: Header=BB23_78 Depth=1
	v_lshrrev_b32_e32 v19, s15, v2
	s_min_u32 s17, s14, 8
	s_delay_alu instid0(VALU_DEP_1) | instid1(SALU_CYCLE_1)
	v_bfe_u32 v19, v19, 0, s17
	s_delay_alu instid0(VALU_DEP_1)
	v_lshl_add_u32 v19, v19, 4, v18
	ds_add_u32 v19, v17
	s_branch .LBB23_77
.LBB23_80:
	v_dual_mov_b32 v17, v1 :: v_dual_and_b32 v2, 0xff, v16
	v_mov_b32_e32 v16, 1
	s_mov_b32 s13, s24
	s_mov_b32 s14, s28
	s_branch .LBB23_82
	.p2align	6
.LBB23_81:                              ;   in Loop: Header=BB23_82 Depth=1
	s_or_b32 exec_lo, exec_lo, s15
	v_add_nc_u32_e32 v17, 0x1000, v17
	s_add_i32 s14, s14, 8
	s_add_i32 s13, s13, -8
	s_cmp_lt_u32 s14, s29
	s_cbranch_scc0 .LBB23_84
.LBB23_82:                              ; =>This Inner Loop Header: Depth=1
	s_and_saveexec_b32 s15, s12
	s_cbranch_execz .LBB23_81
; %bb.83:                               ;   in Loop: Header=BB23_82 Depth=1
	v_lshrrev_b32_e32 v18, s14, v2
	s_min_u32 s16, s13, 8
	s_delay_alu instid0(VALU_DEP_1) | instid1(SALU_CYCLE_1)
	v_bfe_u32 v18, v18, 0, s16
	s_delay_alu instid0(VALU_DEP_1)
	v_lshl_add_u32 v18, v18, 4, v17
	ds_add_u32 v18, v16
	s_branch .LBB23_81
.LBB23_84:
	v_dual_mov_b32 v15, 1 :: v_dual_and_b32 v2, 0xff, v15
	v_mov_b32_e32 v16, v1
	s_mov_b32 s12, s24
	s_mov_b32 s13, s28
	s_branch .LBB23_86
	.p2align	6
.LBB23_85:                              ;   in Loop: Header=BB23_86 Depth=1
	s_or_b32 exec_lo, exec_lo, s14
	v_add_nc_u32_e32 v16, 0x1000, v16
	s_add_i32 s13, s13, 8
	s_add_i32 s12, s12, -8
	s_cmp_lt_u32 s13, s29
	s_cbranch_scc0 .LBB23_88
.LBB23_86:                              ; =>This Inner Loop Header: Depth=1
	s_and_saveexec_b32 s14, s11
	s_cbranch_execz .LBB23_85
; %bb.87:                               ;   in Loop: Header=BB23_86 Depth=1
	v_lshrrev_b32_e32 v17, s13, v2
	s_min_u32 s15, s12, 8
	s_delay_alu instid0(VALU_DEP_1) | instid1(SALU_CYCLE_1)
	v_bfe_u32 v17, v17, 0, s15
	s_delay_alu instid0(VALU_DEP_1)
	v_lshl_add_u32 v17, v17, 4, v16
	ds_add_u32 v17, v15
	s_branch .LBB23_85
.LBB23_88:
	v_dual_mov_b32 v15, v1 :: v_dual_and_b32 v2, 0xff, v14
	v_mov_b32_e32 v14, 1
	s_mov_b32 s11, s24
	s_mov_b32 s12, s28
	s_branch .LBB23_90
	.p2align	6
.LBB23_89:                              ;   in Loop: Header=BB23_90 Depth=1
	s_or_b32 exec_lo, exec_lo, s13
	v_add_nc_u32_e32 v15, 0x1000, v15
	s_add_i32 s12, s12, 8
	s_add_i32 s11, s11, -8
	s_cmp_lt_u32 s12, s29
	s_cbranch_scc0 .LBB23_92
.LBB23_90:                              ; =>This Inner Loop Header: Depth=1
	s_and_saveexec_b32 s13, s10
	s_cbranch_execz .LBB23_89
; %bb.91:                               ;   in Loop: Header=BB23_90 Depth=1
	v_lshrrev_b32_e32 v16, s12, v2
	s_min_u32 s14, s11, 8
	s_delay_alu instid0(VALU_DEP_1) | instid1(SALU_CYCLE_1)
	v_bfe_u32 v16, v16, 0, s14
	s_delay_alu instid0(VALU_DEP_1)
	v_lshl_add_u32 v16, v16, 4, v15
	ds_add_u32 v16, v14
	s_branch .LBB23_89
.LBB23_92:
	v_dual_mov_b32 v13, 1 :: v_dual_and_b32 v2, 0xff, v13
	v_mov_b32_e32 v14, v1
	s_mov_b32 s10, s24
	s_mov_b32 s11, s28
	s_branch .LBB23_94
	.p2align	6
.LBB23_93:                              ;   in Loop: Header=BB23_94 Depth=1
	s_or_b32 exec_lo, exec_lo, s12
	v_add_nc_u32_e32 v14, 0x1000, v14
	s_add_i32 s11, s11, 8
	s_add_i32 s10, s10, -8
	s_cmp_lt_u32 s11, s29
	s_cbranch_scc0 .LBB23_96
.LBB23_94:                              ; =>This Inner Loop Header: Depth=1
	s_and_saveexec_b32 s12, s9
	s_cbranch_execz .LBB23_93
; %bb.95:                               ;   in Loop: Header=BB23_94 Depth=1
	v_lshrrev_b32_e32 v15, s11, v2
	s_min_u32 s13, s10, 8
	s_delay_alu instid0(VALU_DEP_1) | instid1(SALU_CYCLE_1)
	v_bfe_u32 v15, v15, 0, s13
	s_delay_alu instid0(VALU_DEP_1)
	v_lshl_add_u32 v15, v15, 4, v14
	ds_add_u32 v15, v13
	s_branch .LBB23_93
.LBB23_96:
	v_dual_mov_b32 v13, v1 :: v_dual_and_b32 v2, 0xff, v12
	v_mov_b32_e32 v12, 1
	s_mov_b32 s9, s24
	s_mov_b32 s10, s28
	s_branch .LBB23_98
	.p2align	6
.LBB23_97:                              ;   in Loop: Header=BB23_98 Depth=1
	s_or_b32 exec_lo, exec_lo, s11
	v_add_nc_u32_e32 v13, 0x1000, v13
	s_add_i32 s10, s10, 8
	s_add_i32 s9, s9, -8
	s_cmp_lt_u32 s10, s29
	s_cbranch_scc0 .LBB23_100
.LBB23_98:                              ; =>This Inner Loop Header: Depth=1
	s_and_saveexec_b32 s11, s8
	s_cbranch_execz .LBB23_97
; %bb.99:                               ;   in Loop: Header=BB23_98 Depth=1
	v_lshrrev_b32_e32 v14, s10, v2
	s_min_u32 s12, s9, 8
	s_delay_alu instid0(VALU_DEP_1) | instid1(SALU_CYCLE_1)
	v_bfe_u32 v14, v14, 0, s12
	s_delay_alu instid0(VALU_DEP_1)
	v_lshl_add_u32 v14, v14, 4, v13
	ds_add_u32 v14, v12
	s_branch .LBB23_97
.LBB23_100:
	v_dual_mov_b32 v11, 1 :: v_dual_and_b32 v2, 0xff, v11
	v_mov_b32_e32 v12, v1
	s_mov_b32 s8, s24
	s_mov_b32 s9, s28
	s_branch .LBB23_102
	.p2align	6
.LBB23_101:                             ;   in Loop: Header=BB23_102 Depth=1
	s_or_b32 exec_lo, exec_lo, s10
	v_add_nc_u32_e32 v12, 0x1000, v12
	s_add_i32 s9, s9, 8
	s_add_i32 s8, s8, -8
	s_cmp_lt_u32 s9, s29
	s_cbranch_scc0 .LBB23_104
.LBB23_102:                             ; =>This Inner Loop Header: Depth=1
	s_and_saveexec_b32 s10, s7
	s_cbranch_execz .LBB23_101
; %bb.103:                              ;   in Loop: Header=BB23_102 Depth=1
	v_lshrrev_b32_e32 v13, s9, v2
	s_min_u32 s11, s8, 8
	s_delay_alu instid0(VALU_DEP_1) | instid1(SALU_CYCLE_1)
	v_bfe_u32 v13, v13, 0, s11
	s_delay_alu instid0(VALU_DEP_1)
	v_lshl_add_u32 v13, v13, 4, v12
	ds_add_u32 v13, v11
	s_branch .LBB23_101
.LBB23_104:
	v_dual_mov_b32 v11, v1 :: v_dual_and_b32 v2, 0xff, v10
	v_mov_b32_e32 v10, 1
	s_mov_b32 s7, s24
	s_mov_b32 s8, s28
	s_branch .LBB23_106
	.p2align	6
.LBB23_105:                             ;   in Loop: Header=BB23_106 Depth=1
	s_or_b32 exec_lo, exec_lo, s9
	v_add_nc_u32_e32 v11, 0x1000, v11
	s_add_i32 s8, s8, 8
	s_add_i32 s7, s7, -8
	s_cmp_lt_u32 s8, s29
	s_cbranch_scc0 .LBB23_108
.LBB23_106:                             ; =>This Inner Loop Header: Depth=1
	s_and_saveexec_b32 s9, s6
	s_cbranch_execz .LBB23_105
; %bb.107:                              ;   in Loop: Header=BB23_106 Depth=1
	v_lshrrev_b32_e32 v12, s8, v2
	s_min_u32 s10, s7, 8
	s_delay_alu instid0(VALU_DEP_1) | instid1(SALU_CYCLE_1)
	v_bfe_u32 v12, v12, 0, s10
	s_delay_alu instid0(VALU_DEP_1)
	v_lshl_add_u32 v12, v12, 4, v11
	ds_add_u32 v12, v10
	s_branch .LBB23_105
.LBB23_108:
	v_dual_mov_b32 v9, 1 :: v_dual_and_b32 v2, 0xff, v9
	v_mov_b32_e32 v10, v1
	s_mov_b32 s6, s24
	s_mov_b32 s7, s28
	s_branch .LBB23_110
	.p2align	6
.LBB23_109:                             ;   in Loop: Header=BB23_110 Depth=1
	s_or_b32 exec_lo, exec_lo, s8
	v_add_nc_u32_e32 v10, 0x1000, v10
	s_add_i32 s7, s7, 8
	s_add_i32 s6, s6, -8
	s_cmp_lt_u32 s7, s29
	s_cbranch_scc0 .LBB23_112
.LBB23_110:                             ; =>This Inner Loop Header: Depth=1
	s_and_saveexec_b32 s8, s5
	s_cbranch_execz .LBB23_109
; %bb.111:                              ;   in Loop: Header=BB23_110 Depth=1
	v_lshrrev_b32_e32 v11, s7, v2
	s_min_u32 s9, s6, 8
	s_delay_alu instid0(VALU_DEP_1) | instid1(SALU_CYCLE_1)
	v_bfe_u32 v11, v11, 0, s9
	s_delay_alu instid0(VALU_DEP_1)
	v_lshl_add_u32 v11, v11, 4, v10
	ds_add_u32 v11, v9
	s_branch .LBB23_109
.LBB23_112:
	v_dual_mov_b32 v9, v1 :: v_dual_and_b32 v2, 0xff, v8
	v_mov_b32_e32 v8, 1
	s_mov_b32 s5, s24
	s_mov_b32 s6, s28
	s_branch .LBB23_114
	.p2align	6
.LBB23_113:                             ;   in Loop: Header=BB23_114 Depth=1
	s_or_b32 exec_lo, exec_lo, s7
	v_add_nc_u32_e32 v9, 0x1000, v9
	s_add_i32 s6, s6, 8
	s_add_i32 s5, s5, -8
	s_cmp_lt_u32 s6, s29
	s_cbranch_scc0 .LBB23_116
.LBB23_114:                             ; =>This Inner Loop Header: Depth=1
	s_and_saveexec_b32 s7, s4
	s_cbranch_execz .LBB23_113
; %bb.115:                              ;   in Loop: Header=BB23_114 Depth=1
	v_lshrrev_b32_e32 v10, s6, v2
	s_min_u32 s8, s5, 8
	s_delay_alu instid0(VALU_DEP_1) | instid1(SALU_CYCLE_1)
	v_bfe_u32 v10, v10, 0, s8
	s_delay_alu instid0(VALU_DEP_1)
	v_lshl_add_u32 v10, v10, 4, v9
	ds_add_u32 v10, v8
	s_branch .LBB23_113
.LBB23_116:
	v_dual_mov_b32 v7, 1 :: v_dual_and_b32 v2, 0xff, v7
	v_mov_b32_e32 v8, v1
	s_mov_b32 s4, s24
	s_mov_b32 s5, s28
	s_branch .LBB23_118
	.p2align	6
.LBB23_117:                             ;   in Loop: Header=BB23_118 Depth=1
	s_or_b32 exec_lo, exec_lo, s6
	v_add_nc_u32_e32 v8, 0x1000, v8
	s_add_i32 s5, s5, 8
	s_add_i32 s4, s4, -8
	s_cmp_lt_u32 s5, s29
	s_cbranch_scc0 .LBB23_120
.LBB23_118:                             ; =>This Inner Loop Header: Depth=1
	s_and_saveexec_b32 s6, s3
	s_cbranch_execz .LBB23_117
; %bb.119:                              ;   in Loop: Header=BB23_118 Depth=1
	v_lshrrev_b32_e32 v9, s5, v2
	s_min_u32 s7, s4, 8
	s_delay_alu instid0(VALU_DEP_1) | instid1(SALU_CYCLE_1)
	v_bfe_u32 v9, v9, 0, s7
	s_delay_alu instid0(VALU_DEP_1)
	v_lshl_add_u32 v9, v9, 4, v8
	ds_add_u32 v9, v7
	s_branch .LBB23_117
.LBB23_120:
	v_dual_mov_b32 v7, v1 :: v_dual_and_b32 v2, 0xff, v6
	v_mov_b32_e32 v6, 1
	s_mov_b32 s3, s24
	s_mov_b32 s4, s28
	s_branch .LBB23_122
	.p2align	6
.LBB23_121:                             ;   in Loop: Header=BB23_122 Depth=1
	s_or_b32 exec_lo, exec_lo, s5
	v_add_nc_u32_e32 v7, 0x1000, v7
	s_add_i32 s4, s4, 8
	s_add_i32 s3, s3, -8
	s_cmp_lt_u32 s4, s29
	s_cbranch_scc0 .LBB23_124
.LBB23_122:                             ; =>This Inner Loop Header: Depth=1
	s_and_saveexec_b32 s5, s2
	s_cbranch_execz .LBB23_121
; %bb.123:                              ;   in Loop: Header=BB23_122 Depth=1
	v_lshrrev_b32_e32 v8, s4, v2
	s_min_u32 s6, s3, 8
	s_delay_alu instid0(VALU_DEP_1) | instid1(SALU_CYCLE_1)
	v_bfe_u32 v8, v8, 0, s6
	s_delay_alu instid0(VALU_DEP_1)
	v_lshl_add_u32 v8, v8, 4, v7
	ds_add_u32 v8, v6
	s_branch .LBB23_121
.LBB23_124:
	v_dual_mov_b32 v5, 1 :: v_dual_and_b32 v2, 0xff, v5
	v_mov_b32_e32 v6, v1
	s_mov_b32 s2, s24
	s_mov_b32 s3, s28
	s_branch .LBB23_126
	.p2align	6
.LBB23_125:                             ;   in Loop: Header=BB23_126 Depth=1
	s_or_b32 exec_lo, exec_lo, s4
	v_add_nc_u32_e32 v6, 0x1000, v6
	s_add_i32 s3, s3, 8
	s_add_i32 s2, s2, -8
	s_cmp_lt_u32 s3, s29
	s_cbranch_scc0 .LBB23_128
.LBB23_126:                             ; =>This Inner Loop Header: Depth=1
	s_and_saveexec_b32 s4, s1
	s_cbranch_execz .LBB23_125
; %bb.127:                              ;   in Loop: Header=BB23_126 Depth=1
	v_lshrrev_b32_e32 v7, s3, v2
	s_min_u32 s5, s2, 8
	s_delay_alu instid0(VALU_DEP_1) | instid1(SALU_CYCLE_1)
	v_bfe_u32 v7, v7, 0, s5
	s_delay_alu instid0(VALU_DEP_1)
	v_lshl_add_u32 v7, v7, 4, v6
	ds_add_u32 v7, v5
	s_branch .LBB23_125
.LBB23_128:
	v_dual_mov_b32 v5, v1 :: v_dual_and_b32 v2, 0xff, v4
	v_mov_b32_e32 v4, 1
	s_mov_b32 s1, s24
	s_mov_b32 s2, s28
	s_branch .LBB23_130
	.p2align	6
.LBB23_129:                             ;   in Loop: Header=BB23_130 Depth=1
	s_or_b32 exec_lo, exec_lo, s3
	v_add_nc_u32_e32 v5, 0x1000, v5
	s_add_i32 s2, s2, 8
	s_add_i32 s1, s1, -8
	s_cmp_lt_u32 s2, s29
	s_cbranch_scc0 .LBB23_132
.LBB23_130:                             ; =>This Inner Loop Header: Depth=1
	s_and_saveexec_b32 s3, s0
	s_cbranch_execz .LBB23_129
; %bb.131:                              ;   in Loop: Header=BB23_130 Depth=1
	v_lshrrev_b32_e32 v6, s2, v2
	s_min_u32 s4, s1, 8
	s_delay_alu instid0(VALU_DEP_1) | instid1(SALU_CYCLE_1)
	v_bfe_u32 v6, v6, 0, s4
	s_delay_alu instid0(VALU_DEP_1)
	v_lshl_add_u32 v6, v6, 4, v5
	ds_add_u32 v6, v4
	s_branch .LBB23_129
.LBB23_132:
	v_dual_mov_b32 v3, 1 :: v_dual_and_b32 v2, 0xff, v3
	s_mov_b32 s0, s28
	s_branch .LBB23_134
	.p2align	6
.LBB23_133:                             ;   in Loop: Header=BB23_134 Depth=1
	s_or_b32 exec_lo, exec_lo, s1
	v_add_nc_u32_e32 v1, 0x1000, v1
	s_add_i32 s0, s0, 8
	s_add_i32 s24, s24, -8
	s_cmp_lt_u32 s0, s29
	s_cbranch_scc0 .LBB23_136
.LBB23_134:                             ; =>This Inner Loop Header: Depth=1
	s_and_saveexec_b32 s1, vcc_lo
	s_cbranch_execz .LBB23_133
; %bb.135:                              ;   in Loop: Header=BB23_134 Depth=1
	v_lshrrev_b32_e32 v4, s0, v2
	s_min_u32 s2, s24, 8
	s_delay_alu instid0(VALU_DEP_1) | instid1(SALU_CYCLE_1)
	v_bfe_u32 v4, v4, 0, s2
	s_delay_alu instid0(VALU_DEP_1)
	v_lshl_add_u32 v4, v4, 4, v1
	ds_add_u32 v4, v3
	s_branch .LBB23_133
.LBB23_136:
	s_and_b32 vcc_lo, exec_lo, s21
	s_waitcnt lgkmcnt(0)
	s_barrier
	buffer_gl0_inv
	s_cbranch_vccz .LBB23_141
; %bb.137:
	v_cmp_gt_u32_e32 vcc_lo, 0x100, v0
	v_dual_mov_b32 v2, 0 :: v_dual_lshlrev_b32 v3, 4, v0
	v_mov_b32_e32 v1, v0
	s_mov_b32 s1, s28
	s_set_inst_prefetch_distance 0x1
	s_branch .LBB23_139
	.p2align	6
.LBB23_138:                             ;   in Loop: Header=BB23_139 Depth=1
	s_or_b32 exec_lo, exec_lo, s2
	v_add_nc_u32_e32 v1, 0x100, v1
	v_add_nc_u32_e32 v3, 0x1000, v3
	s_add_i32 s1, s1, 8
	s_delay_alu instid0(SALU_CYCLE_1)
	s_cmp_lt_u32 s1, s29
	s_cbranch_scc0 .LBB23_141
.LBB23_139:                             ; =>This Inner Loop Header: Depth=1
	s_and_saveexec_b32 s2, vcc_lo
	s_cbranch_execz .LBB23_138
; %bb.140:                              ;   in Loop: Header=BB23_139 Depth=1
	ds_load_2addr_b32 v[4:5], v3 offset1:1
	ds_load_2addr_b32 v[6:7], v3 offset0:2 offset1:3
	v_lshlrev_b64 v[8:9], 3, v[1:2]
	s_waitcnt lgkmcnt(1)
	v_add_nc_u32_e32 v10, v5, v4
	s_delay_alu instid0(VALU_DEP_2) | instskip(NEXT) | instid1(VALU_DEP_1)
	v_add_co_u32 v4, s0, s22, v8
	v_add_co_ci_u32_e64 v5, s0, s23, v9, s0
	s_waitcnt lgkmcnt(0)
	s_delay_alu instid0(VALU_DEP_3)
	v_add3_u32 v6, v10, v6, v7
	v_mov_b32_e32 v7, v2
	global_atomic_add_u64 v[4:5], v[6:7], off
	s_branch .LBB23_138
.LBB23_141:
	s_set_inst_prefetch_distance 0x2
	s_mov_b32 s0, 0
.LBB23_142:
	s_delay_alu instid0(SALU_CYCLE_1)
	s_and_b32 vcc_lo, exec_lo, s0
	s_cbranch_vccz .LBB23_202
; %bb.143:
	v_add_co_u32 v1, s0, s30, v0
	s_delay_alu instid0(VALU_DEP_1)
	v_add_co_ci_u32_e64 v2, null, s31, 0, s0
	s_clause 0x8
	global_load_u8 v12, v0, s[30:31] offset:256
	global_load_u8 v13, v0, s[30:31] offset:512
	;; [unrolled: 1-line block ×9, first 2 shown]
	v_add_co_u32 v1, vcc_lo, 0x1000, v1
	v_add_co_ci_u32_e32 v2, vcc_lo, 0, v2, vcc_lo
	s_clause 0xc
	global_load_u8 v21, v0, s[30:31] offset:2560
	global_load_u8 v22, v0, s[30:31] offset:2816
	;; [unrolled: 1-line block ×6, first 2 shown]
	global_load_u8 v9, v[1:2], off
	global_load_u8 v10, v[1:2], off offset:256
	global_load_u8 v6, v[1:2], off offset:512
	;; [unrolled: 1-line block ×4, first 2 shown]
	global_load_u8 v25, v0, s[30:31]
	global_load_u8 v11, v[1:2], off offset:1280
	s_cmp_eq_u32 s28, 0
	v_mov_b32_e32 v1, 0
	s_cselect_b32 s1, -1, 0
	s_cmp_eq_u32 s29, 8
	v_or_b32_e32 v26, 0xffffff00, v0
	s_cselect_b32 s2, -1, 0
	v_lshlrev_b32_e32 v3, 2, v0
	s_and_b32 s1, s1, s2
	s_mov_b32 s0, 0
	s_and_b32 vcc_lo, exec_lo, s1
	s_mov_b32 s1, -1
	s_cbranch_vccnz .LBB23_197
; %bb.144:
	v_or_b32_e32 v2, 0xffffff00, v0
	v_lshlrev_b32_e32 v27, 2, v0
.LBB23_145:                             ; =>This Inner Loop Header: Depth=1
	s_delay_alu instid0(VALU_DEP_2) | instskip(SKIP_4) | instid1(SALU_CYCLE_1)
	v_add_nc_u32_e32 v2, 0x100, v2
	ds_store_b32 v27, v1
	v_add_nc_u32_e32 v27, 0x400, v27
	v_cmp_lt_u32_e32 vcc_lo, 0x2ff, v2
	s_or_b32 s0, vcc_lo, s0
	s_and_not1_b32 exec_lo, exec_lo, s0
	s_cbranch_execnz .LBB23_145
; %bb.146:
	s_or_b32 exec_lo, exec_lo, s0
	s_cmp_gt_u32 s29, s28
	s_waitcnt vmcnt(0) lgkmcnt(0)
	s_waitcnt_vscnt null, 0x0
	s_cselect_b32 s0, -1, 0
	s_cmp_le_u32 s29, s28
	s_barrier
	buffer_gl0_inv
	s_cbranch_scc1 .LBB23_191
; %bb.147:
	v_and_b32_e32 v1, 3, v0
	v_dual_mov_b32 v27, 1 :: v_dual_and_b32 v2, 0xff, v25
	s_sub_i32 s1, s29, s28
	s_mov_b32 s3, s28
	s_delay_alu instid0(VALU_DEP_2) | instskip(SKIP_1) | instid1(VALU_DEP_1)
	v_lshlrev_b32_e32 v1, 2, v1
	s_mov_b32 s2, s1
	v_mov_b32_e32 v28, v1
.LBB23_148:                             ; =>This Inner Loop Header: Depth=1
	v_lshrrev_b32_e32 v29, s3, v2
	s_min_u32 s4, s2, 8
	s_add_i32 s3, s3, 8
	s_add_i32 s2, s2, -8
	s_cmp_ge_u32 s3, s29
	v_bfe_u32 v29, v29, 0, s4
	s_delay_alu instid0(VALU_DEP_1)
	v_lshl_add_u32 v29, v29, 4, v28
	v_add_nc_u32_e32 v28, 0x1000, v28
	ds_add_u32 v29, v27
	s_cbranch_scc0 .LBB23_148
; %bb.149:
	v_dual_mov_b32 v27, 1 :: v_dual_and_b32 v2, 0xff, v12
	v_mov_b32_e32 v28, v1
	s_mov_b32 s2, s1
	s_mov_b32 s3, s28
.LBB23_150:                             ; =>This Inner Loop Header: Depth=1
	s_delay_alu instid0(VALU_DEP_2) | instid1(SALU_CYCLE_1)
	v_lshrrev_b32_e32 v29, s3, v2
	s_min_u32 s4, s2, 8
	s_add_i32 s3, s3, 8
	s_add_i32 s2, s2, -8
	s_cmp_lt_u32 s3, s29
	v_bfe_u32 v29, v29, 0, s4
	s_delay_alu instid0(VALU_DEP_1)
	v_lshl_add_u32 v29, v29, 4, v28
	v_add_nc_u32_e32 v28, 0x1000, v28
	ds_add_u32 v29, v27
	s_cbranch_scc1 .LBB23_150
; %bb.151:
	v_dual_mov_b32 v27, 1 :: v_dual_and_b32 v2, 0xff, v13
	v_mov_b32_e32 v28, v1
	s_mov_b32 s2, s1
	s_mov_b32 s3, s28
.LBB23_152:                             ; =>This Inner Loop Header: Depth=1
	s_delay_alu instid0(VALU_DEP_2) | instid1(SALU_CYCLE_1)
	v_lshrrev_b32_e32 v29, s3, v2
	s_min_u32 s4, s2, 8
	s_add_i32 s3, s3, 8
	s_add_i32 s2, s2, -8
	s_cmp_lt_u32 s3, s29
	v_bfe_u32 v29, v29, 0, s4
	s_delay_alu instid0(VALU_DEP_1)
	v_lshl_add_u32 v29, v29, 4, v28
	v_add_nc_u32_e32 v28, 0x1000, v28
	ds_add_u32 v29, v27
	s_cbranch_scc1 .LBB23_152
	;; [unrolled: 18-line block ×20, first 2 shown]
; %bb.189:
	v_dual_mov_b32 v27, 1 :: v_dual_and_b32 v2, 0xff, v11
	s_mov_b32 s2, s28
.LBB23_190:                             ; =>This Inner Loop Header: Depth=1
	s_delay_alu instid0(VALU_DEP_1) | instid1(SALU_CYCLE_1)
	v_lshrrev_b32_e32 v28, s2, v2
	s_min_u32 s3, s1, 8
	s_add_i32 s2, s2, 8
	s_add_i32 s1, s1, -8
	s_cmp_lt_u32 s2, s29
	v_bfe_u32 v28, v28, 0, s3
	s_delay_alu instid0(VALU_DEP_1)
	v_lshl_add_u32 v28, v28, 4, v1
	v_add_nc_u32_e32 v1, 0x1000, v1
	ds_add_u32 v28, v27
	s_cbranch_scc1 .LBB23_190
.LBB23_191:
	s_and_b32 vcc_lo, exec_lo, s0
	s_waitcnt lgkmcnt(0)
	s_barrier
	buffer_gl0_inv
	s_cbranch_vccz .LBB23_196
; %bb.192:
	v_cmp_gt_u32_e32 vcc_lo, 0x100, v0
	v_dual_mov_b32 v2, 0 :: v_dual_lshlrev_b32 v27, 4, v0
	v_mov_b32_e32 v1, v0
	s_set_inst_prefetch_distance 0x1
	s_branch .LBB23_194
	.p2align	6
.LBB23_193:                             ;   in Loop: Header=BB23_194 Depth=1
	s_or_b32 exec_lo, exec_lo, s1
	v_add_nc_u32_e32 v1, 0x100, v1
	v_add_nc_u32_e32 v27, 0x1000, v27
	s_add_i32 s28, s28, 8
	s_delay_alu instid0(SALU_CYCLE_1)
	s_cmp_ge_u32 s28, s29
	s_cbranch_scc1 .LBB23_196
.LBB23_194:                             ; =>This Inner Loop Header: Depth=1
	s_and_saveexec_b32 s1, vcc_lo
	s_cbranch_execz .LBB23_193
; %bb.195:                              ;   in Loop: Header=BB23_194 Depth=1
	ds_load_2addr_b32 v[28:29], v27 offset1:1
	ds_load_2addr_b32 v[30:31], v27 offset0:2 offset1:3
	v_lshlrev_b64 v[32:33], 3, v[1:2]
	s_waitcnt lgkmcnt(1)
	v_add_nc_u32_e32 v34, v29, v28
	s_delay_alu instid0(VALU_DEP_2) | instskip(NEXT) | instid1(VALU_DEP_1)
	v_add_co_u32 v28, s0, s22, v32
	v_add_co_ci_u32_e64 v29, s0, s23, v33, s0
	s_waitcnt lgkmcnt(0)
	s_delay_alu instid0(VALU_DEP_3)
	v_add3_u32 v30, v34, v30, v31
	v_mov_b32_e32 v31, v2
	global_atomic_add_u64 v[28:29], v[30:31], off
	s_branch .LBB23_193
.LBB23_196:
	s_set_inst_prefetch_distance 0x2
	s_mov_b32 s1, 0
.LBB23_197:
	s_delay_alu instid0(SALU_CYCLE_1)
	s_and_b32 vcc_lo, exec_lo, s1
	s_cbranch_vccz .LBB23_202
; %bb.198:
	v_dual_mov_b32 v1, 0 :: v_dual_mov_b32 v2, v3
	s_mov_b32 s0, 0
.LBB23_199:                             ; =>This Inner Loop Header: Depth=1
	v_add_nc_u32_e32 v26, 0x100, v26
	ds_store_b32 v2, v1
	v_add_nc_u32_e32 v2, 0x400, v2
	v_cmp_lt_u32_e32 vcc_lo, 0x2ff, v26
	s_or_b32 s0, vcc_lo, s0
	s_delay_alu instid0(SALU_CYCLE_1)
	s_and_not1_b32 exec_lo, exec_lo, s0
	s_cbranch_execnz .LBB23_199
; %bb.200:
	s_or_b32 exec_lo, exec_lo, s0
	s_waitcnt vmcnt(21)
	v_and_b32_e32 v2, 0xff, v12
	s_waitcnt vmcnt(20)
	v_and_b32_e32 v12, 0xff, v13
	;; [unrolled: 2-line block ×13, first 2 shown]
	v_and_b32_e32 v24, 3, v0
	s_waitcnt vmcnt(1)
	v_and_b32_e32 v1, 0xff, v25
	v_mov_b32_e32 v25, 1
	s_waitcnt vmcnt(0) lgkmcnt(0)
	s_waitcnt_vscnt null, 0x0
	s_barrier
	v_lshlrev_b32_e32 v24, 2, v24
	buffer_gl0_inv
	v_and_b32_e32 v4, 0xff, v4
	v_and_b32_e32 v5, 0xff, v5
	;; [unrolled: 1-line block ×3, first 2 shown]
	v_lshl_or_b32 v1, v1, 4, v24
	v_lshl_or_b32 v2, v2, 4, v24
	ds_add_u32 v1, v25
	ds_add_u32 v2, v25
	v_lshl_or_b32 v1, v12, 4, v24
	v_lshl_or_b32 v2, v13, 4, v24
	;; [unrolled: 1-line block ×5, first 2 shown]
	ds_add_u32 v1, v25
	ds_add_u32 v2, v25
	;; [unrolled: 1-line block ×5, first 2 shown]
	v_lshl_or_b32 v1, v17, 4, v24
	v_lshl_or_b32 v2, v18, 4, v24
	;; [unrolled: 1-line block ×5, first 2 shown]
	v_and_b32_e32 v10, 0xff, v10
	ds_add_u32 v1, v25
	ds_add_u32 v2, v25
	;; [unrolled: 1-line block ×5, first 2 shown]
	v_lshl_or_b32 v1, v22, 4, v24
	v_and_b32_e32 v6, 0xff, v6
	v_lshl_or_b32 v2, v23, 4, v24
	v_and_b32_e32 v7, 0xff, v7
	;; [unrolled: 2-line block ×4, first 2 shown]
	v_lshl_or_b32 v9, v9, 4, v24
	ds_add_u32 v1, v25
	ds_add_u32 v2, v25
	;; [unrolled: 1-line block ×5, first 2 shown]
	v_lshl_or_b32 v1, v10, 4, v24
	v_lshl_or_b32 v2, v6, 4, v24
	;; [unrolled: 1-line block ×5, first 2 shown]
	ds_add_u32 v1, v25
	ds_add_u32 v2, v25
	;; [unrolled: 1-line block ×5, first 2 shown]
	s_waitcnt lgkmcnt(0)
	s_barrier
	buffer_gl0_inv
	s_mov_b32 s0, exec_lo
	v_cmpx_gt_u32_e32 0x100, v0
	s_cbranch_execz .LBB23_202
; %bb.201:
	v_lshlrev_b32_e32 v3, 2, v3
	ds_load_2addr_b32 v[1:2], v3 offset1:1
	ds_load_2addr_b32 v[3:4], v3 offset0:2 offset1:3
	s_waitcnt lgkmcnt(1)
	v_add_nc_u32_e32 v1, v2, v1
	v_lshlrev_b32_e32 v2, 3, v0
	s_waitcnt lgkmcnt(0)
	s_delay_alu instid0(VALU_DEP_2)
	v_add3_u32 v0, v1, v3, v4
	v_mov_b32_e32 v1, 0
	global_atomic_add_u64 v2, v[0:1], s[22:23]
.LBB23_202:
	s_nop 0
	s_sendmsg sendmsg(MSG_DEALLOC_VGPRS)
	s_endpgm
	.section	.rodata,"a",@progbits
	.p2align	6, 0x0
	.amdhsa_kernel _ZN7rocprim17ROCPRIM_304000_NS6detail26onesweep_histograms_kernelINS1_34wrapped_radix_sort_onesweep_configINS0_14default_configEhN2at4cuda3cub6detail10OpaqueTypeILi8EEEEELb0EPKhmNS0_19identity_decomposerEEEvT1_PT2_SG_SG_T3_jj
		.amdhsa_group_segment_fixed_size 4096
		.amdhsa_private_segment_fixed_size 0
		.amdhsa_kernarg_size 44
		.amdhsa_user_sgpr_count 15
		.amdhsa_user_sgpr_dispatch_ptr 0
		.amdhsa_user_sgpr_queue_ptr 0
		.amdhsa_user_sgpr_kernarg_segment_ptr 1
		.amdhsa_user_sgpr_dispatch_id 0
		.amdhsa_user_sgpr_private_segment_size 0
		.amdhsa_wavefront_size32 1
		.amdhsa_uses_dynamic_stack 0
		.amdhsa_enable_private_segment 0
		.amdhsa_system_sgpr_workgroup_id_x 1
		.amdhsa_system_sgpr_workgroup_id_y 0
		.amdhsa_system_sgpr_workgroup_id_z 0
		.amdhsa_system_sgpr_workgroup_info 0
		.amdhsa_system_vgpr_workitem_id 0
		.amdhsa_next_free_vgpr 35
		.amdhsa_next_free_sgpr 34
		.amdhsa_reserve_vcc 1
		.amdhsa_float_round_mode_32 0
		.amdhsa_float_round_mode_16_64 0
		.amdhsa_float_denorm_mode_32 3
		.amdhsa_float_denorm_mode_16_64 3
		.amdhsa_dx10_clamp 1
		.amdhsa_ieee_mode 1
		.amdhsa_fp16_overflow 0
		.amdhsa_workgroup_processor_mode 1
		.amdhsa_memory_ordered 1
		.amdhsa_forward_progress 0
		.amdhsa_shared_vgpr_count 0
		.amdhsa_exception_fp_ieee_invalid_op 0
		.amdhsa_exception_fp_denorm_src 0
		.amdhsa_exception_fp_ieee_div_zero 0
		.amdhsa_exception_fp_ieee_overflow 0
		.amdhsa_exception_fp_ieee_underflow 0
		.amdhsa_exception_fp_ieee_inexact 0
		.amdhsa_exception_int_div_zero 0
	.end_amdhsa_kernel
	.section	.text._ZN7rocprim17ROCPRIM_304000_NS6detail26onesweep_histograms_kernelINS1_34wrapped_radix_sort_onesweep_configINS0_14default_configEhN2at4cuda3cub6detail10OpaqueTypeILi8EEEEELb0EPKhmNS0_19identity_decomposerEEEvT1_PT2_SG_SG_T3_jj,"axG",@progbits,_ZN7rocprim17ROCPRIM_304000_NS6detail26onesweep_histograms_kernelINS1_34wrapped_radix_sort_onesweep_configINS0_14default_configEhN2at4cuda3cub6detail10OpaqueTypeILi8EEEEELb0EPKhmNS0_19identity_decomposerEEEvT1_PT2_SG_SG_T3_jj,comdat
.Lfunc_end23:
	.size	_ZN7rocprim17ROCPRIM_304000_NS6detail26onesweep_histograms_kernelINS1_34wrapped_radix_sort_onesweep_configINS0_14default_configEhN2at4cuda3cub6detail10OpaqueTypeILi8EEEEELb0EPKhmNS0_19identity_decomposerEEEvT1_PT2_SG_SG_T3_jj, .Lfunc_end23-_ZN7rocprim17ROCPRIM_304000_NS6detail26onesweep_histograms_kernelINS1_34wrapped_radix_sort_onesweep_configINS0_14default_configEhN2at4cuda3cub6detail10OpaqueTypeILi8EEEEELb0EPKhmNS0_19identity_decomposerEEEvT1_PT2_SG_SG_T3_jj
                                        ; -- End function
	.section	.AMDGPU.csdata,"",@progbits
; Kernel info:
; codeLenInByte = 7076
; NumSgprs: 36
; NumVgprs: 35
; ScratchSize: 0
; MemoryBound: 0
; FloatMode: 240
; IeeeMode: 1
; LDSByteSize: 4096 bytes/workgroup (compile time only)
; SGPRBlocks: 4
; VGPRBlocks: 4
; NumSGPRsForWavesPerEU: 36
; NumVGPRsForWavesPerEU: 35
; Occupancy: 16
; WaveLimiterHint : 1
; COMPUTE_PGM_RSRC2:SCRATCH_EN: 0
; COMPUTE_PGM_RSRC2:USER_SGPR: 15
; COMPUTE_PGM_RSRC2:TRAP_HANDLER: 0
; COMPUTE_PGM_RSRC2:TGID_X_EN: 1
; COMPUTE_PGM_RSRC2:TGID_Y_EN: 0
; COMPUTE_PGM_RSRC2:TGID_Z_EN: 0
; COMPUTE_PGM_RSRC2:TIDIG_COMP_CNT: 0
	.section	.text._ZN7rocprim17ROCPRIM_304000_NS6detail25onesweep_iteration_kernelINS1_34wrapped_radix_sort_onesweep_configINS0_14default_configEhN2at4cuda3cub6detail10OpaqueTypeILi8EEEEELb0EPKhPhPKSA_PSA_mNS0_19identity_decomposerEEEvT1_T2_T3_T4_jPT5_SO_PNS1_23onesweep_lookback_stateET6_jjj,"axG",@progbits,_ZN7rocprim17ROCPRIM_304000_NS6detail25onesweep_iteration_kernelINS1_34wrapped_radix_sort_onesweep_configINS0_14default_configEhN2at4cuda3cub6detail10OpaqueTypeILi8EEEEELb0EPKhPhPKSA_PSA_mNS0_19identity_decomposerEEEvT1_T2_T3_T4_jPT5_SO_PNS1_23onesweep_lookback_stateET6_jjj,comdat
	.protected	_ZN7rocprim17ROCPRIM_304000_NS6detail25onesweep_iteration_kernelINS1_34wrapped_radix_sort_onesweep_configINS0_14default_configEhN2at4cuda3cub6detail10OpaqueTypeILi8EEEEELb0EPKhPhPKSA_PSA_mNS0_19identity_decomposerEEEvT1_T2_T3_T4_jPT5_SO_PNS1_23onesweep_lookback_stateET6_jjj ; -- Begin function _ZN7rocprim17ROCPRIM_304000_NS6detail25onesweep_iteration_kernelINS1_34wrapped_radix_sort_onesweep_configINS0_14default_configEhN2at4cuda3cub6detail10OpaqueTypeILi8EEEEELb0EPKhPhPKSA_PSA_mNS0_19identity_decomposerEEEvT1_T2_T3_T4_jPT5_SO_PNS1_23onesweep_lookback_stateET6_jjj
	.globl	_ZN7rocprim17ROCPRIM_304000_NS6detail25onesweep_iteration_kernelINS1_34wrapped_radix_sort_onesweep_configINS0_14default_configEhN2at4cuda3cub6detail10OpaqueTypeILi8EEEEELb0EPKhPhPKSA_PSA_mNS0_19identity_decomposerEEEvT1_T2_T3_T4_jPT5_SO_PNS1_23onesweep_lookback_stateET6_jjj
	.p2align	8
	.type	_ZN7rocprim17ROCPRIM_304000_NS6detail25onesweep_iteration_kernelINS1_34wrapped_radix_sort_onesweep_configINS0_14default_configEhN2at4cuda3cub6detail10OpaqueTypeILi8EEEEELb0EPKhPhPKSA_PSA_mNS0_19identity_decomposerEEEvT1_T2_T3_T4_jPT5_SO_PNS1_23onesweep_lookback_stateET6_jjj,@function
_ZN7rocprim17ROCPRIM_304000_NS6detail25onesweep_iteration_kernelINS1_34wrapped_radix_sort_onesweep_configINS0_14default_configEhN2at4cuda3cub6detail10OpaqueTypeILi8EEEEELb0EPKhPhPKSA_PSA_mNS0_19identity_decomposerEEEvT1_T2_T3_T4_jPT5_SO_PNS1_23onesweep_lookback_stateET6_jjj: ; @_ZN7rocprim17ROCPRIM_304000_NS6detail25onesweep_iteration_kernelINS1_34wrapped_radix_sort_onesweep_configINS0_14default_configEhN2at4cuda3cub6detail10OpaqueTypeILi8EEEEELb0EPKhPhPKSA_PSA_mNS0_19identity_decomposerEEEvT1_T2_T3_T4_jPT5_SO_PNS1_23onesweep_lookback_stateET6_jjj
; %bb.0:
	s_clause 0x3
	s_load_b128 s[60:63], s[0:1], 0x44
	s_load_b256 s[48:55], s[0:1], 0x0
	s_load_b128 s[56:59], s[0:1], 0x28
	s_load_b64 s[66:67], s[0:1], 0x38
	v_and_b32_e32 v1, 0x3ff, v0
	v_mbcnt_lo_u32_b32 v51, -1, 0
	s_waitcnt lgkmcnt(0)
	s_mov_b32 s63, s15
	s_mul_i32 s64, s15, 0x1600
	s_cmp_ge_u32 s15, s62
	s_cbranch_scc0 .LBB24_218
; %bb.1:
	s_load_b32 s2, s[0:1], 0x20
	v_and_b32_e32 v21, 0xe0, v1
	s_mul_i32 s47, s62, 0xffffea00
	v_dual_mov_b32 v11, 0xff :: v_dual_mov_b32 v12, 0xff
	s_mov_b32 s65, 0
	s_delay_alu instid0(VALU_DEP_2) | instskip(NEXT) | instid1(VALU_DEP_1)
	v_mul_u32_u24_e32 v10, 22, v21
	v_or_b32_e32 v4, v51, v10
	s_waitcnt lgkmcnt(0)
	s_add_i32 s47, s47, s2
	s_add_u32 s2, s48, s64
	s_addc_u32 s3, s49, 0
	v_add_co_u32 v2, s2, s2, v51
	s_delay_alu instid0(VALU_DEP_1) | instskip(SKIP_1) | instid1(VALU_DEP_3)
	v_add_co_ci_u32_e64 v3, null, s3, 0, s2
	v_cmp_gt_u32_e32 vcc_lo, s47, v4
	v_add_co_u32 v2, s2, v2, v10
	s_delay_alu instid0(VALU_DEP_1)
	v_add_co_ci_u32_e64 v3, s2, 0, v3, s2
	s_and_saveexec_b32 s2, vcc_lo
	s_cbranch_execz .LBB24_3
; %bb.2:
	global_load_u8 v12, v[2:3], off
.LBB24_3:
	s_or_b32 exec_lo, exec_lo, s2
	v_add_nc_u32_e32 v5, 32, v4
	s_delay_alu instid0(VALU_DEP_1) | instskip(NEXT) | instid1(VALU_DEP_1)
	v_cmp_gt_u32_e64 s2, s47, v5
	s_and_saveexec_b32 s3, s2
	s_cbranch_execz .LBB24_5
; %bb.4:
	global_load_u8 v11, v[2:3], off offset:32
.LBB24_5:
	s_or_b32 exec_lo, exec_lo, s3
	v_dual_mov_b32 v14, 0xff :: v_dual_add_nc_u32 v5, 64, v4
	v_mov_b32_e32 v13, 0xff
	s_delay_alu instid0(VALU_DEP_2) | instskip(NEXT) | instid1(VALU_DEP_1)
	v_cmp_gt_u32_e64 s3, s47, v5
	s_and_saveexec_b32 s4, s3
	s_cbranch_execz .LBB24_7
; %bb.6:
	global_load_u8 v14, v[2:3], off offset:64
.LBB24_7:
	s_or_b32 exec_lo, exec_lo, s4
	v_add_nc_u32_e32 v5, 0x60, v4
	s_delay_alu instid0(VALU_DEP_1) | instskip(NEXT) | instid1(VALU_DEP_1)
	v_cmp_gt_u32_e64 s4, s47, v5
	s_and_saveexec_b32 s5, s4
	s_cbranch_execz .LBB24_9
; %bb.8:
	global_load_u8 v13, v[2:3], off offset:96
.LBB24_9:
	s_or_b32 exec_lo, exec_lo, s5
	v_add_nc_u32_e32 v5, 0x80, v4
	v_dual_mov_b32 v15, 0xff :: v_dual_mov_b32 v16, 0xff
	s_delay_alu instid0(VALU_DEP_2) | instskip(NEXT) | instid1(VALU_DEP_1)
	v_cmp_gt_u32_e64 s5, s47, v5
	s_and_saveexec_b32 s6, s5
	s_cbranch_execz .LBB24_11
; %bb.10:
	global_load_u8 v16, v[2:3], off offset:128
.LBB24_11:
	s_or_b32 exec_lo, exec_lo, s6
	v_add_nc_u32_e32 v5, 0xa0, v4
	s_delay_alu instid0(VALU_DEP_1) | instskip(NEXT) | instid1(VALU_DEP_1)
	v_cmp_gt_u32_e64 s6, s47, v5
	s_and_saveexec_b32 s7, s6
	s_cbranch_execz .LBB24_13
; %bb.12:
	global_load_u8 v15, v[2:3], off offset:160
.LBB24_13:
	s_or_b32 exec_lo, exec_lo, s7
	v_add_nc_u32_e32 v5, 0xc0, v4
	v_dual_mov_b32 v17, 0xff :: v_dual_mov_b32 v18, 0xff
	;; [unrolled: 19-line block ×9, first 2 shown]
	s_delay_alu instid0(VALU_DEP_2) | instskip(NEXT) | instid1(VALU_DEP_1)
	v_cmp_gt_u32_e64 s20, s47, v5
	s_and_saveexec_b32 s17, s20
	s_cbranch_execz .LBB24_43
; %bb.42:
	global_load_u8 v33, v[2:3], off offset:640
.LBB24_43:
	s_or_b32 exec_lo, exec_lo, s17
	v_add_nc_u32_e32 v4, 0x2a0, v4
	s_delay_alu instid0(VALU_DEP_1) | instskip(NEXT) | instid1(VALU_DEP_1)
	v_cmp_gt_u32_e64 s17, s47, v4
	s_and_saveexec_b32 s24, s17
	s_cbranch_execz .LBB24_45
; %bb.44:
	global_load_u8 v32, v[2:3], off offset:672
.LBB24_45:
	s_or_b32 exec_lo, exec_lo, s24
	s_clause 0x1
	s_load_b32 s24, s[0:1], 0x5c
	s_load_b32 s62, s[0:1], 0x50
	s_add_u32 s25, s0, 0x50
	s_addc_u32 s26, s1, 0
	v_mov_b32_e32 v4, 0
	s_waitcnt vmcnt(0)
	v_and_b32_e32 v2, 0xff, v12
	s_delay_alu instid0(VALU_DEP_1) | instskip(SKIP_4) | instid1(SALU_CYCLE_1)
	v_lshrrev_b32_e32 v2, s60, v2
	s_waitcnt lgkmcnt(0)
	s_lshr_b32 s27, s24, 16
	s_cmp_lt_u32 s15, s62
	s_cselect_b32 s24, 12, 18
	s_add_u32 s24, s25, s24
	s_addc_u32 s25, s26, 0
	global_load_u16 v5, v4, s[24:25]
	s_lshl_b32 s24, -1, s61
	s_delay_alu instid0(SALU_CYCLE_1) | instskip(NEXT) | instid1(SALU_CYCLE_1)
	s_not_b32 s68, s24
	v_and_b32_e32 v6, s68, v2
	v_bfe_u32 v2, v0, 10, 10
	s_delay_alu instid0(VALU_DEP_2)
	v_and_b32_e32 v3, 1, v6
	v_lshlrev_b32_e32 v7, 30, v6
	v_lshlrev_b32_e32 v8, 29, v6
	;; [unrolled: 1-line block ×4, first 2 shown]
	v_add_co_u32 v3, s24, v3, -1
	s_delay_alu instid0(VALU_DEP_1)
	v_cndmask_b32_e64 v34, 0, 1, s24
	v_not_b32_e32 v38, v7
	v_cmp_gt_i32_e64 s25, 0, v7
	v_not_b32_e32 v7, v8
	v_lshlrev_b32_e32 v36, 26, v6
	v_cmp_ne_u32_e64 s24, 0, v34
	v_ashrrev_i32_e32 v38, 31, v38
	v_lshlrev_b32_e32 v37, 25, v6
	v_ashrrev_i32_e32 v7, 31, v7
	v_lshlrev_b32_e32 v34, 24, v6
	v_xor_b32_e32 v3, s24, v3
	v_cmp_gt_i32_e64 s24, 0, v8
	v_not_b32_e32 v8, v9
	v_xor_b32_e32 v38, s25, v38
	v_cmp_gt_i32_e64 s25, 0, v9
	v_and_b32_e32 v3, exec_lo, v3
	v_not_b32_e32 v9, v35
	v_ashrrev_i32_e32 v8, 31, v8
	v_xor_b32_e32 v7, s24, v7
	v_cmp_gt_i32_e64 s24, 0, v35
	v_and_b32_e32 v3, v3, v38
	v_not_b32_e32 v35, v36
	v_ashrrev_i32_e32 v9, 31, v9
	v_xor_b32_e32 v8, s25, v8
	v_cmp_gt_i32_e64 s25, 0, v36
	v_and_b32_e32 v3, v3, v7
	;; [unrolled: 5-line block ×4, first 2 shown]
	v_bfe_u32 v9, v0, 20, 10
	v_ashrrev_i32_e32 v8, 31, v8
	v_xor_b32_e32 v7, s24, v7
	v_mul_u32_u24_e32 v34, 9, v1
	v_and_b32_e32 v3, v3, v35
	v_mad_u32_u24 v9, v9, s27, v2
	v_xor_b32_e32 v8, s25, v8
	s_delay_alu instid0(VALU_DEP_4) | instskip(NEXT) | instid1(VALU_DEP_4)
	v_lshlrev_b32_e32 v35, 2, v34
	v_and_b32_e32 v7, v3, v7
	ds_store_2addr_b32 v35, v4, v4 offset0:8 offset1:9
	ds_store_2addr_b32 v35, v4, v4 offset0:10 offset1:11
	;; [unrolled: 1-line block ×4, first 2 shown]
	ds_store_b32 v35, v4 offset:64
	v_mul_u32_u24_e32 v4, 9, v6
	s_waitcnt vmcnt(0) lgkmcnt(0)
	s_barrier
	buffer_gl0_inv
	; wave barrier
	v_mad_u64_u32 v[2:3], null, v9, v5, v[1:2]
	v_and_b32_e32 v3, v7, v8
	s_delay_alu instid0(VALU_DEP_1) | instskip(NEXT) | instid1(VALU_DEP_3)
	v_mbcnt_lo_u32_b32 v34, v3, 0
	v_lshrrev_b32_e32 v2, 5, v2
	v_cmp_ne_u32_e64 s25, 0, v3
	s_delay_alu instid0(VALU_DEP_3) | instskip(NEXT) | instid1(VALU_DEP_3)
	v_cmp_eq_u32_e64 s24, 0, v34
	v_add_lshl_u32 v36, v2, v4, 2
	s_delay_alu instid0(VALU_DEP_2) | instskip(NEXT) | instid1(SALU_CYCLE_1)
	s_and_b32 s25, s25, s24
	s_and_saveexec_b32 s24, s25
	s_cbranch_execz .LBB24_47
; %bb.46:
	v_bcnt_u32_b32 v3, v3, 0
	ds_store_b32 v36, v3 offset:32
.LBB24_47:
	s_or_b32 exec_lo, exec_lo, s24
	v_and_b32_e32 v3, 0xff, v11
	; wave barrier
	s_delay_alu instid0(VALU_DEP_1) | instskip(NEXT) | instid1(VALU_DEP_1)
	v_lshrrev_b32_e32 v3, s60, v3
	v_and_b32_e32 v3, s68, v3
	s_delay_alu instid0(VALU_DEP_1)
	v_and_b32_e32 v4, 1, v3
	v_lshlrev_b32_e32 v5, 30, v3
	v_lshlrev_b32_e32 v6, 29, v3
	;; [unrolled: 1-line block ×4, first 2 shown]
	v_add_co_u32 v4, s24, v4, -1
	s_delay_alu instid0(VALU_DEP_1)
	v_cndmask_b32_e64 v8, 0, 1, s24
	v_not_b32_e32 v39, v5
	v_cmp_gt_i32_e64 s25, 0, v5
	v_not_b32_e32 v5, v6
	v_lshlrev_b32_e32 v37, 26, v3
	v_cmp_ne_u32_e64 s24, 0, v8
	v_ashrrev_i32_e32 v39, 31, v39
	v_lshlrev_b32_e32 v38, 25, v3
	v_ashrrev_i32_e32 v5, 31, v5
	v_lshlrev_b32_e32 v8, 24, v3
	v_xor_b32_e32 v4, s24, v4
	v_cmp_gt_i32_e64 s24, 0, v6
	v_not_b32_e32 v6, v7
	v_xor_b32_e32 v39, s25, v39
	v_cmp_gt_i32_e64 s25, 0, v7
	v_and_b32_e32 v4, exec_lo, v4
	v_not_b32_e32 v7, v9
	v_ashrrev_i32_e32 v6, 31, v6
	v_xor_b32_e32 v5, s24, v5
	v_cmp_gt_i32_e64 s24, 0, v9
	v_and_b32_e32 v4, v4, v39
	v_not_b32_e32 v9, v37
	v_ashrrev_i32_e32 v7, 31, v7
	v_xor_b32_e32 v6, s25, v6
	v_cmp_gt_i32_e64 s25, 0, v37
	v_and_b32_e32 v4, v4, v5
	;; [unrolled: 5-line block ×3, first 2 shown]
	v_not_b32_e32 v6, v8
	v_ashrrev_i32_e32 v5, 31, v5
	v_xor_b32_e32 v9, s25, v9
	v_mul_u32_u24_e32 v3, 9, v3
	v_and_b32_e32 v4, v4, v7
	v_cmp_gt_i32_e64 s25, 0, v8
	v_ashrrev_i32_e32 v6, 31, v6
	v_xor_b32_e32 v5, s24, v5
	v_add_lshl_u32 v39, v2, v3, 2
	v_and_b32_e32 v4, v4, v9
	s_delay_alu instid0(VALU_DEP_4) | instskip(SKIP_2) | instid1(VALU_DEP_1)
	v_xor_b32_e32 v3, s25, v6
	ds_load_b32 v37, v39 offset:32
	v_and_b32_e32 v4, v4, v5
	; wave barrier
	v_and_b32_e32 v3, v4, v3
	s_delay_alu instid0(VALU_DEP_1) | instskip(SKIP_1) | instid1(VALU_DEP_2)
	v_mbcnt_lo_u32_b32 v38, v3, 0
	v_cmp_ne_u32_e64 s25, 0, v3
	v_cmp_eq_u32_e64 s24, 0, v38
	s_delay_alu instid0(VALU_DEP_1) | instskip(NEXT) | instid1(SALU_CYCLE_1)
	s_and_b32 s25, s25, s24
	s_and_saveexec_b32 s24, s25
	s_cbranch_execz .LBB24_49
; %bb.48:
	s_waitcnt lgkmcnt(0)
	v_bcnt_u32_b32 v3, v3, v37
	ds_store_b32 v39, v3 offset:32
.LBB24_49:
	s_or_b32 exec_lo, exec_lo, s24
	v_and_b32_e32 v3, 0xff, v14
	; wave barrier
	s_delay_alu instid0(VALU_DEP_1) | instskip(NEXT) | instid1(VALU_DEP_1)
	v_lshrrev_b32_e32 v3, s60, v3
	v_and_b32_e32 v3, s68, v3
	s_delay_alu instid0(VALU_DEP_1)
	v_and_b32_e32 v4, 1, v3
	v_lshlrev_b32_e32 v5, 30, v3
	v_lshlrev_b32_e32 v6, 29, v3
	;; [unrolled: 1-line block ×4, first 2 shown]
	v_add_co_u32 v4, s24, v4, -1
	s_delay_alu instid0(VALU_DEP_1)
	v_cndmask_b32_e64 v8, 0, 1, s24
	v_not_b32_e32 v42, v5
	v_cmp_gt_i32_e64 s25, 0, v5
	v_not_b32_e32 v5, v6
	v_lshlrev_b32_e32 v40, 26, v3
	v_cmp_ne_u32_e64 s24, 0, v8
	v_ashrrev_i32_e32 v42, 31, v42
	v_lshlrev_b32_e32 v41, 25, v3
	v_ashrrev_i32_e32 v5, 31, v5
	v_lshlrev_b32_e32 v8, 24, v3
	v_xor_b32_e32 v4, s24, v4
	v_cmp_gt_i32_e64 s24, 0, v6
	v_not_b32_e32 v6, v7
	v_xor_b32_e32 v42, s25, v42
	v_cmp_gt_i32_e64 s25, 0, v7
	v_and_b32_e32 v4, exec_lo, v4
	v_not_b32_e32 v7, v9
	v_ashrrev_i32_e32 v6, 31, v6
	v_xor_b32_e32 v5, s24, v5
	v_cmp_gt_i32_e64 s24, 0, v9
	v_and_b32_e32 v4, v4, v42
	v_not_b32_e32 v9, v40
	v_ashrrev_i32_e32 v7, 31, v7
	v_xor_b32_e32 v6, s25, v6
	v_cmp_gt_i32_e64 s25, 0, v40
	v_and_b32_e32 v4, v4, v5
	;; [unrolled: 5-line block ×3, first 2 shown]
	v_not_b32_e32 v6, v8
	v_ashrrev_i32_e32 v5, 31, v5
	v_xor_b32_e32 v9, s25, v9
	v_mul_u32_u24_e32 v3, 9, v3
	v_and_b32_e32 v4, v4, v7
	v_cmp_gt_i32_e64 s25, 0, v8
	v_ashrrev_i32_e32 v6, 31, v6
	v_xor_b32_e32 v5, s24, v5
	v_add_lshl_u32 v42, v2, v3, 2
	v_and_b32_e32 v4, v4, v9
	s_delay_alu instid0(VALU_DEP_4) | instskip(SKIP_2) | instid1(VALU_DEP_1)
	v_xor_b32_e32 v3, s25, v6
	ds_load_b32 v40, v42 offset:32
	v_and_b32_e32 v4, v4, v5
	; wave barrier
	v_and_b32_e32 v3, v4, v3
	s_delay_alu instid0(VALU_DEP_1) | instskip(SKIP_1) | instid1(VALU_DEP_2)
	v_mbcnt_lo_u32_b32 v41, v3, 0
	v_cmp_ne_u32_e64 s25, 0, v3
	v_cmp_eq_u32_e64 s24, 0, v41
	s_delay_alu instid0(VALU_DEP_1) | instskip(NEXT) | instid1(SALU_CYCLE_1)
	s_and_b32 s25, s25, s24
	s_and_saveexec_b32 s24, s25
	s_cbranch_execz .LBB24_51
; %bb.50:
	s_waitcnt lgkmcnt(0)
	v_bcnt_u32_b32 v3, v3, v40
	ds_store_b32 v42, v3 offset:32
.LBB24_51:
	s_or_b32 exec_lo, exec_lo, s24
	v_and_b32_e32 v3, 0xff, v13
	; wave barrier
	s_delay_alu instid0(VALU_DEP_1) | instskip(NEXT) | instid1(VALU_DEP_1)
	v_lshrrev_b32_e32 v3, s60, v3
	v_and_b32_e32 v3, s68, v3
	s_delay_alu instid0(VALU_DEP_1)
	v_and_b32_e32 v4, 1, v3
	v_lshlrev_b32_e32 v5, 30, v3
	v_lshlrev_b32_e32 v6, 29, v3
	;; [unrolled: 1-line block ×4, first 2 shown]
	v_add_co_u32 v4, s24, v4, -1
	s_delay_alu instid0(VALU_DEP_1)
	v_cndmask_b32_e64 v8, 0, 1, s24
	v_not_b32_e32 v45, v5
	v_cmp_gt_i32_e64 s25, 0, v5
	v_not_b32_e32 v5, v6
	v_lshlrev_b32_e32 v43, 26, v3
	v_cmp_ne_u32_e64 s24, 0, v8
	v_ashrrev_i32_e32 v45, 31, v45
	v_lshlrev_b32_e32 v44, 25, v3
	v_ashrrev_i32_e32 v5, 31, v5
	v_lshlrev_b32_e32 v8, 24, v3
	v_xor_b32_e32 v4, s24, v4
	v_cmp_gt_i32_e64 s24, 0, v6
	v_not_b32_e32 v6, v7
	v_xor_b32_e32 v45, s25, v45
	v_cmp_gt_i32_e64 s25, 0, v7
	v_and_b32_e32 v4, exec_lo, v4
	v_not_b32_e32 v7, v9
	v_ashrrev_i32_e32 v6, 31, v6
	v_xor_b32_e32 v5, s24, v5
	v_cmp_gt_i32_e64 s24, 0, v9
	v_and_b32_e32 v4, v4, v45
	v_not_b32_e32 v9, v43
	v_ashrrev_i32_e32 v7, 31, v7
	v_xor_b32_e32 v6, s25, v6
	v_cmp_gt_i32_e64 s25, 0, v43
	v_and_b32_e32 v4, v4, v5
	;; [unrolled: 5-line block ×3, first 2 shown]
	v_not_b32_e32 v6, v8
	v_ashrrev_i32_e32 v5, 31, v5
	v_xor_b32_e32 v9, s25, v9
	v_mul_u32_u24_e32 v3, 9, v3
	v_and_b32_e32 v4, v4, v7
	v_cmp_gt_i32_e64 s25, 0, v8
	v_ashrrev_i32_e32 v6, 31, v6
	v_xor_b32_e32 v5, s24, v5
	v_add_lshl_u32 v45, v2, v3, 2
	v_and_b32_e32 v4, v4, v9
	s_delay_alu instid0(VALU_DEP_4) | instskip(SKIP_2) | instid1(VALU_DEP_1)
	v_xor_b32_e32 v3, s25, v6
	ds_load_b32 v43, v45 offset:32
	v_and_b32_e32 v4, v4, v5
	; wave barrier
	v_and_b32_e32 v3, v4, v3
	s_delay_alu instid0(VALU_DEP_1) | instskip(SKIP_1) | instid1(VALU_DEP_2)
	v_mbcnt_lo_u32_b32 v44, v3, 0
	v_cmp_ne_u32_e64 s25, 0, v3
	v_cmp_eq_u32_e64 s24, 0, v44
	s_delay_alu instid0(VALU_DEP_1) | instskip(NEXT) | instid1(SALU_CYCLE_1)
	s_and_b32 s25, s25, s24
	s_and_saveexec_b32 s24, s25
	s_cbranch_execz .LBB24_53
; %bb.52:
	s_waitcnt lgkmcnt(0)
	v_bcnt_u32_b32 v3, v3, v43
	ds_store_b32 v45, v3 offset:32
.LBB24_53:
	s_or_b32 exec_lo, exec_lo, s24
	v_and_b32_e32 v3, 0xff, v16
	; wave barrier
	s_delay_alu instid0(VALU_DEP_1) | instskip(NEXT) | instid1(VALU_DEP_1)
	v_lshrrev_b32_e32 v3, s60, v3
	v_and_b32_e32 v3, s68, v3
	s_delay_alu instid0(VALU_DEP_1)
	v_and_b32_e32 v4, 1, v3
	v_lshlrev_b32_e32 v5, 30, v3
	v_lshlrev_b32_e32 v6, 29, v3
	;; [unrolled: 1-line block ×4, first 2 shown]
	v_add_co_u32 v4, s24, v4, -1
	s_delay_alu instid0(VALU_DEP_1)
	v_cndmask_b32_e64 v8, 0, 1, s24
	v_not_b32_e32 v48, v5
	v_cmp_gt_i32_e64 s25, 0, v5
	v_not_b32_e32 v5, v6
	v_lshlrev_b32_e32 v46, 26, v3
	v_cmp_ne_u32_e64 s24, 0, v8
	v_ashrrev_i32_e32 v48, 31, v48
	v_lshlrev_b32_e32 v47, 25, v3
	v_ashrrev_i32_e32 v5, 31, v5
	v_lshlrev_b32_e32 v8, 24, v3
	v_xor_b32_e32 v4, s24, v4
	v_cmp_gt_i32_e64 s24, 0, v6
	v_not_b32_e32 v6, v7
	v_xor_b32_e32 v48, s25, v48
	v_cmp_gt_i32_e64 s25, 0, v7
	v_and_b32_e32 v4, exec_lo, v4
	v_not_b32_e32 v7, v9
	v_ashrrev_i32_e32 v6, 31, v6
	v_xor_b32_e32 v5, s24, v5
	v_cmp_gt_i32_e64 s24, 0, v9
	v_and_b32_e32 v4, v4, v48
	v_not_b32_e32 v9, v46
	v_ashrrev_i32_e32 v7, 31, v7
	v_xor_b32_e32 v6, s25, v6
	v_cmp_gt_i32_e64 s25, 0, v46
	v_and_b32_e32 v4, v4, v5
	;; [unrolled: 5-line block ×3, first 2 shown]
	v_not_b32_e32 v6, v8
	v_ashrrev_i32_e32 v5, 31, v5
	v_xor_b32_e32 v9, s25, v9
	v_mul_u32_u24_e32 v3, 9, v3
	v_and_b32_e32 v4, v4, v7
	v_cmp_gt_i32_e64 s25, 0, v8
	v_ashrrev_i32_e32 v6, 31, v6
	v_xor_b32_e32 v5, s24, v5
	v_add_lshl_u32 v48, v2, v3, 2
	v_and_b32_e32 v4, v4, v9
	s_delay_alu instid0(VALU_DEP_4) | instskip(SKIP_2) | instid1(VALU_DEP_1)
	v_xor_b32_e32 v3, s25, v6
	ds_load_b32 v46, v48 offset:32
	v_and_b32_e32 v4, v4, v5
	; wave barrier
	v_and_b32_e32 v3, v4, v3
	s_delay_alu instid0(VALU_DEP_1) | instskip(SKIP_1) | instid1(VALU_DEP_2)
	v_mbcnt_lo_u32_b32 v47, v3, 0
	v_cmp_ne_u32_e64 s25, 0, v3
	v_cmp_eq_u32_e64 s24, 0, v47
	s_delay_alu instid0(VALU_DEP_1) | instskip(NEXT) | instid1(SALU_CYCLE_1)
	s_and_b32 s25, s25, s24
	s_and_saveexec_b32 s24, s25
	s_cbranch_execz .LBB24_55
; %bb.54:
	s_waitcnt lgkmcnt(0)
	v_bcnt_u32_b32 v3, v3, v46
	ds_store_b32 v48, v3 offset:32
.LBB24_55:
	s_or_b32 exec_lo, exec_lo, s24
	v_and_b32_e32 v3, 0xff, v15
	; wave barrier
	s_delay_alu instid0(VALU_DEP_1) | instskip(NEXT) | instid1(VALU_DEP_1)
	v_lshrrev_b32_e32 v3, s60, v3
	v_and_b32_e32 v3, s68, v3
	s_delay_alu instid0(VALU_DEP_1)
	v_and_b32_e32 v4, 1, v3
	v_lshlrev_b32_e32 v5, 30, v3
	v_lshlrev_b32_e32 v6, 29, v3
	;; [unrolled: 1-line block ×4, first 2 shown]
	v_add_co_u32 v4, s24, v4, -1
	s_delay_alu instid0(VALU_DEP_1)
	v_cndmask_b32_e64 v8, 0, 1, s24
	v_not_b32_e32 v52, v5
	v_cmp_gt_i32_e64 s25, 0, v5
	v_not_b32_e32 v5, v6
	v_lshlrev_b32_e32 v49, 26, v3
	v_cmp_ne_u32_e64 s24, 0, v8
	v_ashrrev_i32_e32 v52, 31, v52
	v_lshlrev_b32_e32 v50, 25, v3
	v_ashrrev_i32_e32 v5, 31, v5
	v_lshlrev_b32_e32 v8, 24, v3
	v_xor_b32_e32 v4, s24, v4
	v_cmp_gt_i32_e64 s24, 0, v6
	v_not_b32_e32 v6, v7
	v_xor_b32_e32 v52, s25, v52
	v_cmp_gt_i32_e64 s25, 0, v7
	v_and_b32_e32 v4, exec_lo, v4
	v_not_b32_e32 v7, v9
	v_ashrrev_i32_e32 v6, 31, v6
	v_xor_b32_e32 v5, s24, v5
	v_cmp_gt_i32_e64 s24, 0, v9
	v_and_b32_e32 v4, v4, v52
	v_not_b32_e32 v9, v49
	v_ashrrev_i32_e32 v7, 31, v7
	v_xor_b32_e32 v6, s25, v6
	v_cmp_gt_i32_e64 s25, 0, v49
	v_and_b32_e32 v4, v4, v5
	;; [unrolled: 5-line block ×3, first 2 shown]
	v_not_b32_e32 v6, v8
	v_ashrrev_i32_e32 v5, 31, v5
	v_xor_b32_e32 v9, s25, v9
	v_mul_u32_u24_e32 v3, 9, v3
	v_and_b32_e32 v4, v4, v7
	v_cmp_gt_i32_e64 s25, 0, v8
	v_ashrrev_i32_e32 v6, 31, v6
	v_xor_b32_e32 v5, s24, v5
	v_add_lshl_u32 v52, v2, v3, 2
	v_and_b32_e32 v4, v4, v9
	s_delay_alu instid0(VALU_DEP_4) | instskip(SKIP_2) | instid1(VALU_DEP_1)
	v_xor_b32_e32 v3, s25, v6
	ds_load_b32 v49, v52 offset:32
	v_and_b32_e32 v4, v4, v5
	; wave barrier
	v_and_b32_e32 v3, v4, v3
	s_delay_alu instid0(VALU_DEP_1) | instskip(SKIP_1) | instid1(VALU_DEP_2)
	v_mbcnt_lo_u32_b32 v50, v3, 0
	v_cmp_ne_u32_e64 s25, 0, v3
	v_cmp_eq_u32_e64 s24, 0, v50
	s_delay_alu instid0(VALU_DEP_1) | instskip(NEXT) | instid1(SALU_CYCLE_1)
	s_and_b32 s25, s25, s24
	s_and_saveexec_b32 s24, s25
	s_cbranch_execz .LBB24_57
; %bb.56:
	s_waitcnt lgkmcnt(0)
	v_bcnt_u32_b32 v3, v3, v49
	ds_store_b32 v52, v3 offset:32
.LBB24_57:
	s_or_b32 exec_lo, exec_lo, s24
	v_and_b32_e32 v3, 0xff, v18
	; wave barrier
	s_delay_alu instid0(VALU_DEP_1) | instskip(NEXT) | instid1(VALU_DEP_1)
	v_lshrrev_b32_e32 v3, s60, v3
	v_and_b32_e32 v3, s68, v3
	s_delay_alu instid0(VALU_DEP_1)
	v_and_b32_e32 v4, 1, v3
	v_lshlrev_b32_e32 v5, 30, v3
	v_lshlrev_b32_e32 v6, 29, v3
	;; [unrolled: 1-line block ×4, first 2 shown]
	v_add_co_u32 v4, s24, v4, -1
	s_delay_alu instid0(VALU_DEP_1)
	v_cndmask_b32_e64 v8, 0, 1, s24
	v_not_b32_e32 v55, v5
	v_cmp_gt_i32_e64 s25, 0, v5
	v_not_b32_e32 v5, v6
	v_lshlrev_b32_e32 v53, 26, v3
	v_cmp_ne_u32_e64 s24, 0, v8
	v_ashrrev_i32_e32 v55, 31, v55
	v_lshlrev_b32_e32 v54, 25, v3
	v_ashrrev_i32_e32 v5, 31, v5
	v_lshlrev_b32_e32 v8, 24, v3
	v_xor_b32_e32 v4, s24, v4
	v_cmp_gt_i32_e64 s24, 0, v6
	v_not_b32_e32 v6, v7
	v_xor_b32_e32 v55, s25, v55
	v_cmp_gt_i32_e64 s25, 0, v7
	v_and_b32_e32 v4, exec_lo, v4
	v_not_b32_e32 v7, v9
	v_ashrrev_i32_e32 v6, 31, v6
	v_xor_b32_e32 v5, s24, v5
	v_cmp_gt_i32_e64 s24, 0, v9
	v_and_b32_e32 v4, v4, v55
	v_not_b32_e32 v9, v53
	v_ashrrev_i32_e32 v7, 31, v7
	v_xor_b32_e32 v6, s25, v6
	v_cmp_gt_i32_e64 s25, 0, v53
	v_and_b32_e32 v4, v4, v5
	;; [unrolled: 5-line block ×3, first 2 shown]
	v_not_b32_e32 v6, v8
	v_ashrrev_i32_e32 v5, 31, v5
	v_xor_b32_e32 v9, s25, v9
	v_mul_u32_u24_e32 v3, 9, v3
	v_and_b32_e32 v4, v4, v7
	v_cmp_gt_i32_e64 s25, 0, v8
	v_ashrrev_i32_e32 v6, 31, v6
	v_xor_b32_e32 v5, s24, v5
	v_add_lshl_u32 v55, v2, v3, 2
	v_and_b32_e32 v4, v4, v9
	s_delay_alu instid0(VALU_DEP_4) | instskip(SKIP_2) | instid1(VALU_DEP_1)
	v_xor_b32_e32 v3, s25, v6
	ds_load_b32 v53, v55 offset:32
	v_and_b32_e32 v4, v4, v5
	; wave barrier
	v_and_b32_e32 v3, v4, v3
	s_delay_alu instid0(VALU_DEP_1) | instskip(SKIP_1) | instid1(VALU_DEP_2)
	v_mbcnt_lo_u32_b32 v54, v3, 0
	v_cmp_ne_u32_e64 s25, 0, v3
	v_cmp_eq_u32_e64 s24, 0, v54
	s_delay_alu instid0(VALU_DEP_1) | instskip(NEXT) | instid1(SALU_CYCLE_1)
	s_and_b32 s25, s25, s24
	s_and_saveexec_b32 s24, s25
	s_cbranch_execz .LBB24_59
; %bb.58:
	s_waitcnt lgkmcnt(0)
	v_bcnt_u32_b32 v3, v3, v53
	ds_store_b32 v55, v3 offset:32
.LBB24_59:
	s_or_b32 exec_lo, exec_lo, s24
	v_and_b32_e32 v3, 0xff, v17
	; wave barrier
	s_delay_alu instid0(VALU_DEP_1) | instskip(NEXT) | instid1(VALU_DEP_1)
	v_lshrrev_b32_e32 v3, s60, v3
	v_and_b32_e32 v3, s68, v3
	s_delay_alu instid0(VALU_DEP_1)
	v_and_b32_e32 v4, 1, v3
	v_lshlrev_b32_e32 v5, 30, v3
	v_lshlrev_b32_e32 v6, 29, v3
	;; [unrolled: 1-line block ×4, first 2 shown]
	v_add_co_u32 v4, s24, v4, -1
	s_delay_alu instid0(VALU_DEP_1)
	v_cndmask_b32_e64 v8, 0, 1, s24
	v_not_b32_e32 v58, v5
	v_cmp_gt_i32_e64 s25, 0, v5
	v_not_b32_e32 v5, v6
	v_lshlrev_b32_e32 v56, 26, v3
	v_cmp_ne_u32_e64 s24, 0, v8
	v_ashrrev_i32_e32 v58, 31, v58
	v_lshlrev_b32_e32 v57, 25, v3
	v_ashrrev_i32_e32 v5, 31, v5
	v_lshlrev_b32_e32 v8, 24, v3
	v_xor_b32_e32 v4, s24, v4
	v_cmp_gt_i32_e64 s24, 0, v6
	v_not_b32_e32 v6, v7
	v_xor_b32_e32 v58, s25, v58
	v_cmp_gt_i32_e64 s25, 0, v7
	v_and_b32_e32 v4, exec_lo, v4
	v_not_b32_e32 v7, v9
	v_ashrrev_i32_e32 v6, 31, v6
	v_xor_b32_e32 v5, s24, v5
	v_cmp_gt_i32_e64 s24, 0, v9
	v_and_b32_e32 v4, v4, v58
	v_not_b32_e32 v9, v56
	v_ashrrev_i32_e32 v7, 31, v7
	v_xor_b32_e32 v6, s25, v6
	v_cmp_gt_i32_e64 s25, 0, v56
	v_and_b32_e32 v4, v4, v5
	;; [unrolled: 5-line block ×3, first 2 shown]
	v_not_b32_e32 v6, v8
	v_ashrrev_i32_e32 v5, 31, v5
	v_xor_b32_e32 v9, s25, v9
	v_mul_u32_u24_e32 v3, 9, v3
	v_and_b32_e32 v4, v4, v7
	v_cmp_gt_i32_e64 s25, 0, v8
	v_ashrrev_i32_e32 v6, 31, v6
	v_xor_b32_e32 v5, s24, v5
	v_add_lshl_u32 v58, v2, v3, 2
	v_and_b32_e32 v4, v4, v9
	s_delay_alu instid0(VALU_DEP_4) | instskip(SKIP_2) | instid1(VALU_DEP_1)
	v_xor_b32_e32 v3, s25, v6
	ds_load_b32 v56, v58 offset:32
	v_and_b32_e32 v4, v4, v5
	; wave barrier
	v_and_b32_e32 v3, v4, v3
	s_delay_alu instid0(VALU_DEP_1) | instskip(SKIP_1) | instid1(VALU_DEP_2)
	v_mbcnt_lo_u32_b32 v57, v3, 0
	v_cmp_ne_u32_e64 s25, 0, v3
	v_cmp_eq_u32_e64 s24, 0, v57
	s_delay_alu instid0(VALU_DEP_1) | instskip(NEXT) | instid1(SALU_CYCLE_1)
	s_and_b32 s25, s25, s24
	s_and_saveexec_b32 s24, s25
	s_cbranch_execz .LBB24_61
; %bb.60:
	s_waitcnt lgkmcnt(0)
	v_bcnt_u32_b32 v3, v3, v56
	ds_store_b32 v58, v3 offset:32
.LBB24_61:
	s_or_b32 exec_lo, exec_lo, s24
	v_and_b32_e32 v3, 0xff, v20
	; wave barrier
	s_delay_alu instid0(VALU_DEP_1) | instskip(NEXT) | instid1(VALU_DEP_1)
	v_lshrrev_b32_e32 v3, s60, v3
	v_and_b32_e32 v3, s68, v3
	s_delay_alu instid0(VALU_DEP_1)
	v_and_b32_e32 v4, 1, v3
	v_lshlrev_b32_e32 v5, 30, v3
	v_lshlrev_b32_e32 v6, 29, v3
	;; [unrolled: 1-line block ×4, first 2 shown]
	v_add_co_u32 v4, s24, v4, -1
	s_delay_alu instid0(VALU_DEP_1)
	v_cndmask_b32_e64 v8, 0, 1, s24
	v_not_b32_e32 v61, v5
	v_cmp_gt_i32_e64 s25, 0, v5
	v_not_b32_e32 v5, v6
	v_lshlrev_b32_e32 v59, 26, v3
	v_cmp_ne_u32_e64 s24, 0, v8
	v_ashrrev_i32_e32 v61, 31, v61
	v_lshlrev_b32_e32 v60, 25, v3
	v_ashrrev_i32_e32 v5, 31, v5
	v_lshlrev_b32_e32 v8, 24, v3
	v_xor_b32_e32 v4, s24, v4
	v_cmp_gt_i32_e64 s24, 0, v6
	v_not_b32_e32 v6, v7
	v_xor_b32_e32 v61, s25, v61
	v_cmp_gt_i32_e64 s25, 0, v7
	v_and_b32_e32 v4, exec_lo, v4
	v_not_b32_e32 v7, v9
	v_ashrrev_i32_e32 v6, 31, v6
	v_xor_b32_e32 v5, s24, v5
	v_cmp_gt_i32_e64 s24, 0, v9
	v_and_b32_e32 v4, v4, v61
	v_not_b32_e32 v9, v59
	v_ashrrev_i32_e32 v7, 31, v7
	v_xor_b32_e32 v6, s25, v6
	v_cmp_gt_i32_e64 s25, 0, v59
	v_and_b32_e32 v4, v4, v5
	;; [unrolled: 5-line block ×3, first 2 shown]
	v_not_b32_e32 v6, v8
	v_ashrrev_i32_e32 v5, 31, v5
	v_xor_b32_e32 v9, s25, v9
	v_mul_u32_u24_e32 v3, 9, v3
	v_and_b32_e32 v4, v4, v7
	v_cmp_gt_i32_e64 s25, 0, v8
	v_ashrrev_i32_e32 v6, 31, v6
	v_xor_b32_e32 v5, s24, v5
	v_add_lshl_u32 v61, v2, v3, 2
	v_and_b32_e32 v4, v4, v9
	s_delay_alu instid0(VALU_DEP_4) | instskip(SKIP_2) | instid1(VALU_DEP_1)
	v_xor_b32_e32 v3, s25, v6
	ds_load_b32 v59, v61 offset:32
	v_and_b32_e32 v4, v4, v5
	; wave barrier
	v_and_b32_e32 v3, v4, v3
	s_delay_alu instid0(VALU_DEP_1) | instskip(SKIP_1) | instid1(VALU_DEP_2)
	v_mbcnt_lo_u32_b32 v60, v3, 0
	v_cmp_ne_u32_e64 s25, 0, v3
	v_cmp_eq_u32_e64 s24, 0, v60
	s_delay_alu instid0(VALU_DEP_1) | instskip(NEXT) | instid1(SALU_CYCLE_1)
	s_and_b32 s25, s25, s24
	s_and_saveexec_b32 s24, s25
	s_cbranch_execz .LBB24_63
; %bb.62:
	s_waitcnt lgkmcnt(0)
	v_bcnt_u32_b32 v3, v3, v59
	ds_store_b32 v61, v3 offset:32
.LBB24_63:
	s_or_b32 exec_lo, exec_lo, s24
	v_and_b32_e32 v3, 0xff, v19
	; wave barrier
	s_delay_alu instid0(VALU_DEP_1) | instskip(NEXT) | instid1(VALU_DEP_1)
	v_lshrrev_b32_e32 v3, s60, v3
	v_and_b32_e32 v3, s68, v3
	s_delay_alu instid0(VALU_DEP_1)
	v_and_b32_e32 v4, 1, v3
	v_lshlrev_b32_e32 v5, 30, v3
	v_lshlrev_b32_e32 v6, 29, v3
	;; [unrolled: 1-line block ×4, first 2 shown]
	v_add_co_u32 v4, s24, v4, -1
	s_delay_alu instid0(VALU_DEP_1)
	v_cndmask_b32_e64 v8, 0, 1, s24
	v_not_b32_e32 v64, v5
	v_cmp_gt_i32_e64 s25, 0, v5
	v_not_b32_e32 v5, v6
	v_lshlrev_b32_e32 v62, 26, v3
	v_cmp_ne_u32_e64 s24, 0, v8
	v_ashrrev_i32_e32 v64, 31, v64
	v_lshlrev_b32_e32 v63, 25, v3
	v_ashrrev_i32_e32 v5, 31, v5
	v_lshlrev_b32_e32 v8, 24, v3
	v_xor_b32_e32 v4, s24, v4
	v_cmp_gt_i32_e64 s24, 0, v6
	v_not_b32_e32 v6, v7
	v_xor_b32_e32 v64, s25, v64
	v_cmp_gt_i32_e64 s25, 0, v7
	v_and_b32_e32 v4, exec_lo, v4
	v_not_b32_e32 v7, v9
	v_ashrrev_i32_e32 v6, 31, v6
	v_xor_b32_e32 v5, s24, v5
	v_cmp_gt_i32_e64 s24, 0, v9
	v_and_b32_e32 v4, v4, v64
	v_not_b32_e32 v9, v62
	v_ashrrev_i32_e32 v7, 31, v7
	v_xor_b32_e32 v6, s25, v6
	v_cmp_gt_i32_e64 s25, 0, v62
	v_and_b32_e32 v4, v4, v5
	v_not_b32_e32 v5, v63
	v_ashrrev_i32_e32 v9, 31, v9
	v_xor_b32_e32 v7, s24, v7
	v_cmp_gt_i32_e64 s24, 0, v63
	v_and_b32_e32 v4, v4, v6
	v_not_b32_e32 v6, v8
	v_ashrrev_i32_e32 v5, 31, v5
	v_xor_b32_e32 v9, s25, v9
	v_mul_u32_u24_e32 v3, 9, v3
	v_and_b32_e32 v4, v4, v7
	v_cmp_gt_i32_e64 s25, 0, v8
	v_ashrrev_i32_e32 v6, 31, v6
	v_xor_b32_e32 v5, s24, v5
	v_add_lshl_u32 v64, v2, v3, 2
	v_and_b32_e32 v4, v4, v9
	s_delay_alu instid0(VALU_DEP_4) | instskip(SKIP_2) | instid1(VALU_DEP_1)
	v_xor_b32_e32 v3, s25, v6
	ds_load_b32 v62, v64 offset:32
	v_and_b32_e32 v4, v4, v5
	; wave barrier
	v_and_b32_e32 v3, v4, v3
	s_delay_alu instid0(VALU_DEP_1) | instskip(SKIP_1) | instid1(VALU_DEP_2)
	v_mbcnt_lo_u32_b32 v63, v3, 0
	v_cmp_ne_u32_e64 s25, 0, v3
	v_cmp_eq_u32_e64 s24, 0, v63
	s_delay_alu instid0(VALU_DEP_1) | instskip(NEXT) | instid1(SALU_CYCLE_1)
	s_and_b32 s25, s25, s24
	s_and_saveexec_b32 s24, s25
	s_cbranch_execz .LBB24_65
; %bb.64:
	s_waitcnt lgkmcnt(0)
	v_bcnt_u32_b32 v3, v3, v62
	ds_store_b32 v64, v3 offset:32
.LBB24_65:
	s_or_b32 exec_lo, exec_lo, s24
	v_and_b32_e32 v3, 0xff, v23
	; wave barrier
	s_delay_alu instid0(VALU_DEP_1) | instskip(NEXT) | instid1(VALU_DEP_1)
	v_lshrrev_b32_e32 v3, s60, v3
	v_and_b32_e32 v3, s68, v3
	s_delay_alu instid0(VALU_DEP_1)
	v_and_b32_e32 v4, 1, v3
	v_lshlrev_b32_e32 v5, 30, v3
	v_lshlrev_b32_e32 v6, 29, v3
	;; [unrolled: 1-line block ×4, first 2 shown]
	v_add_co_u32 v4, s24, v4, -1
	s_delay_alu instid0(VALU_DEP_1)
	v_cndmask_b32_e64 v8, 0, 1, s24
	v_not_b32_e32 v67, v5
	v_cmp_gt_i32_e64 s25, 0, v5
	v_not_b32_e32 v5, v6
	v_lshlrev_b32_e32 v65, 26, v3
	v_cmp_ne_u32_e64 s24, 0, v8
	v_ashrrev_i32_e32 v67, 31, v67
	v_lshlrev_b32_e32 v66, 25, v3
	v_ashrrev_i32_e32 v5, 31, v5
	v_lshlrev_b32_e32 v8, 24, v3
	v_xor_b32_e32 v4, s24, v4
	v_cmp_gt_i32_e64 s24, 0, v6
	v_not_b32_e32 v6, v7
	v_xor_b32_e32 v67, s25, v67
	v_cmp_gt_i32_e64 s25, 0, v7
	v_and_b32_e32 v4, exec_lo, v4
	v_not_b32_e32 v7, v9
	v_ashrrev_i32_e32 v6, 31, v6
	v_xor_b32_e32 v5, s24, v5
	v_cmp_gt_i32_e64 s24, 0, v9
	v_and_b32_e32 v4, v4, v67
	v_not_b32_e32 v9, v65
	v_ashrrev_i32_e32 v7, 31, v7
	v_xor_b32_e32 v6, s25, v6
	v_cmp_gt_i32_e64 s25, 0, v65
	v_and_b32_e32 v4, v4, v5
	;; [unrolled: 5-line block ×3, first 2 shown]
	v_not_b32_e32 v6, v8
	v_ashrrev_i32_e32 v5, 31, v5
	v_xor_b32_e32 v9, s25, v9
	v_mul_u32_u24_e32 v3, 9, v3
	v_and_b32_e32 v4, v4, v7
	v_cmp_gt_i32_e64 s25, 0, v8
	v_ashrrev_i32_e32 v6, 31, v6
	v_xor_b32_e32 v5, s24, v5
	v_add_lshl_u32 v67, v2, v3, 2
	v_and_b32_e32 v4, v4, v9
	s_delay_alu instid0(VALU_DEP_4) | instskip(SKIP_2) | instid1(VALU_DEP_1)
	v_xor_b32_e32 v3, s25, v6
	ds_load_b32 v65, v67 offset:32
	v_and_b32_e32 v4, v4, v5
	; wave barrier
	v_and_b32_e32 v3, v4, v3
	s_delay_alu instid0(VALU_DEP_1) | instskip(SKIP_1) | instid1(VALU_DEP_2)
	v_mbcnt_lo_u32_b32 v66, v3, 0
	v_cmp_ne_u32_e64 s25, 0, v3
	v_cmp_eq_u32_e64 s24, 0, v66
	s_delay_alu instid0(VALU_DEP_1) | instskip(NEXT) | instid1(SALU_CYCLE_1)
	s_and_b32 s25, s25, s24
	s_and_saveexec_b32 s24, s25
	s_cbranch_execz .LBB24_67
; %bb.66:
	s_waitcnt lgkmcnt(0)
	v_bcnt_u32_b32 v3, v3, v65
	ds_store_b32 v67, v3 offset:32
.LBB24_67:
	s_or_b32 exec_lo, exec_lo, s24
	v_and_b32_e32 v3, 0xff, v22
	; wave barrier
	s_delay_alu instid0(VALU_DEP_1) | instskip(NEXT) | instid1(VALU_DEP_1)
	v_lshrrev_b32_e32 v3, s60, v3
	v_and_b32_e32 v3, s68, v3
	s_delay_alu instid0(VALU_DEP_1)
	v_and_b32_e32 v4, 1, v3
	v_lshlrev_b32_e32 v5, 30, v3
	v_lshlrev_b32_e32 v6, 29, v3
	;; [unrolled: 1-line block ×4, first 2 shown]
	v_add_co_u32 v4, s24, v4, -1
	s_delay_alu instid0(VALU_DEP_1)
	v_cndmask_b32_e64 v8, 0, 1, s24
	v_not_b32_e32 v70, v5
	v_cmp_gt_i32_e64 s25, 0, v5
	v_not_b32_e32 v5, v6
	v_lshlrev_b32_e32 v68, 26, v3
	v_cmp_ne_u32_e64 s24, 0, v8
	v_ashrrev_i32_e32 v70, 31, v70
	v_lshlrev_b32_e32 v69, 25, v3
	v_ashrrev_i32_e32 v5, 31, v5
	v_lshlrev_b32_e32 v8, 24, v3
	v_xor_b32_e32 v4, s24, v4
	v_cmp_gt_i32_e64 s24, 0, v6
	v_not_b32_e32 v6, v7
	v_xor_b32_e32 v70, s25, v70
	v_cmp_gt_i32_e64 s25, 0, v7
	v_and_b32_e32 v4, exec_lo, v4
	v_not_b32_e32 v7, v9
	v_ashrrev_i32_e32 v6, 31, v6
	v_xor_b32_e32 v5, s24, v5
	v_cmp_gt_i32_e64 s24, 0, v9
	v_and_b32_e32 v4, v4, v70
	v_not_b32_e32 v9, v68
	v_ashrrev_i32_e32 v7, 31, v7
	v_xor_b32_e32 v6, s25, v6
	v_cmp_gt_i32_e64 s25, 0, v68
	v_and_b32_e32 v4, v4, v5
	;; [unrolled: 5-line block ×3, first 2 shown]
	v_not_b32_e32 v6, v8
	v_ashrrev_i32_e32 v5, 31, v5
	v_xor_b32_e32 v9, s25, v9
	v_mul_u32_u24_e32 v3, 9, v3
	v_and_b32_e32 v4, v4, v7
	v_cmp_gt_i32_e64 s25, 0, v8
	v_ashrrev_i32_e32 v6, 31, v6
	v_xor_b32_e32 v5, s24, v5
	v_add_lshl_u32 v70, v2, v3, 2
	v_and_b32_e32 v4, v4, v9
	s_delay_alu instid0(VALU_DEP_4) | instskip(SKIP_2) | instid1(VALU_DEP_1)
	v_xor_b32_e32 v3, s25, v6
	ds_load_b32 v68, v70 offset:32
	v_and_b32_e32 v4, v4, v5
	; wave barrier
	v_and_b32_e32 v3, v4, v3
	s_delay_alu instid0(VALU_DEP_1) | instskip(SKIP_1) | instid1(VALU_DEP_2)
	v_mbcnt_lo_u32_b32 v69, v3, 0
	v_cmp_ne_u32_e64 s25, 0, v3
	v_cmp_eq_u32_e64 s24, 0, v69
	s_delay_alu instid0(VALU_DEP_1) | instskip(NEXT) | instid1(SALU_CYCLE_1)
	s_and_b32 s25, s25, s24
	s_and_saveexec_b32 s24, s25
	s_cbranch_execz .LBB24_69
; %bb.68:
	s_waitcnt lgkmcnt(0)
	v_bcnt_u32_b32 v3, v3, v68
	ds_store_b32 v70, v3 offset:32
.LBB24_69:
	s_or_b32 exec_lo, exec_lo, s24
	v_and_b32_e32 v3, 0xff, v25
	; wave barrier
	s_delay_alu instid0(VALU_DEP_1) | instskip(NEXT) | instid1(VALU_DEP_1)
	v_lshrrev_b32_e32 v3, s60, v3
	v_and_b32_e32 v3, s68, v3
	s_delay_alu instid0(VALU_DEP_1)
	v_and_b32_e32 v4, 1, v3
	v_lshlrev_b32_e32 v5, 30, v3
	v_lshlrev_b32_e32 v6, 29, v3
	v_lshlrev_b32_e32 v7, 28, v3
	v_lshlrev_b32_e32 v9, 27, v3
	v_add_co_u32 v4, s24, v4, -1
	s_delay_alu instid0(VALU_DEP_1)
	v_cndmask_b32_e64 v8, 0, 1, s24
	v_not_b32_e32 v73, v5
	v_cmp_gt_i32_e64 s25, 0, v5
	v_not_b32_e32 v5, v6
	v_lshlrev_b32_e32 v71, 26, v3
	v_cmp_ne_u32_e64 s24, 0, v8
	v_ashrrev_i32_e32 v73, 31, v73
	v_lshlrev_b32_e32 v72, 25, v3
	v_ashrrev_i32_e32 v5, 31, v5
	v_lshlrev_b32_e32 v8, 24, v3
	v_xor_b32_e32 v4, s24, v4
	v_cmp_gt_i32_e64 s24, 0, v6
	v_not_b32_e32 v6, v7
	v_xor_b32_e32 v73, s25, v73
	v_cmp_gt_i32_e64 s25, 0, v7
	v_and_b32_e32 v4, exec_lo, v4
	v_not_b32_e32 v7, v9
	v_ashrrev_i32_e32 v6, 31, v6
	v_xor_b32_e32 v5, s24, v5
	v_cmp_gt_i32_e64 s24, 0, v9
	v_and_b32_e32 v4, v4, v73
	v_not_b32_e32 v9, v71
	v_ashrrev_i32_e32 v7, 31, v7
	v_xor_b32_e32 v6, s25, v6
	v_cmp_gt_i32_e64 s25, 0, v71
	v_and_b32_e32 v4, v4, v5
	v_not_b32_e32 v5, v72
	v_ashrrev_i32_e32 v9, 31, v9
	v_xor_b32_e32 v7, s24, v7
	v_cmp_gt_i32_e64 s24, 0, v72
	v_and_b32_e32 v4, v4, v6
	v_not_b32_e32 v6, v8
	v_ashrrev_i32_e32 v5, 31, v5
	v_xor_b32_e32 v9, s25, v9
	v_mul_u32_u24_e32 v3, 9, v3
	v_and_b32_e32 v4, v4, v7
	v_cmp_gt_i32_e64 s25, 0, v8
	v_ashrrev_i32_e32 v6, 31, v6
	v_xor_b32_e32 v5, s24, v5
	v_add_lshl_u32 v71, v2, v3, 2
	v_and_b32_e32 v4, v4, v9
	s_delay_alu instid0(VALU_DEP_4) | instskip(SKIP_2) | instid1(VALU_DEP_1)
	v_xor_b32_e32 v3, s25, v6
	ds_load_b32 v79, v71 offset:32
	v_and_b32_e32 v4, v4, v5
	; wave barrier
	v_and_b32_e32 v3, v4, v3
	s_delay_alu instid0(VALU_DEP_1) | instskip(SKIP_1) | instid1(VALU_DEP_2)
	v_mbcnt_lo_u32_b32 v80, v3, 0
	v_cmp_ne_u32_e64 s25, 0, v3
	v_cmp_eq_u32_e64 s24, 0, v80
	s_delay_alu instid0(VALU_DEP_1) | instskip(NEXT) | instid1(SALU_CYCLE_1)
	s_and_b32 s25, s25, s24
	s_and_saveexec_b32 s24, s25
	s_cbranch_execz .LBB24_71
; %bb.70:
	s_waitcnt lgkmcnt(0)
	v_bcnt_u32_b32 v3, v3, v79
	ds_store_b32 v71, v3 offset:32
.LBB24_71:
	s_or_b32 exec_lo, exec_lo, s24
	v_and_b32_e32 v3, 0xff, v24
	; wave barrier
	s_delay_alu instid0(VALU_DEP_1) | instskip(NEXT) | instid1(VALU_DEP_1)
	v_lshrrev_b32_e32 v3, s60, v3
	v_and_b32_e32 v3, s68, v3
	s_delay_alu instid0(VALU_DEP_1)
	v_and_b32_e32 v4, 1, v3
	v_lshlrev_b32_e32 v5, 30, v3
	v_lshlrev_b32_e32 v6, 29, v3
	;; [unrolled: 1-line block ×4, first 2 shown]
	v_add_co_u32 v4, s24, v4, -1
	s_delay_alu instid0(VALU_DEP_1)
	v_cndmask_b32_e64 v8, 0, 1, s24
	v_not_b32_e32 v74, v5
	v_cmp_gt_i32_e64 s25, 0, v5
	v_not_b32_e32 v5, v6
	v_lshlrev_b32_e32 v72, 26, v3
	v_cmp_ne_u32_e64 s24, 0, v8
	v_ashrrev_i32_e32 v74, 31, v74
	v_lshlrev_b32_e32 v73, 25, v3
	v_ashrrev_i32_e32 v5, 31, v5
	v_lshlrev_b32_e32 v8, 24, v3
	v_xor_b32_e32 v4, s24, v4
	v_cmp_gt_i32_e64 s24, 0, v6
	v_not_b32_e32 v6, v7
	v_xor_b32_e32 v74, s25, v74
	v_cmp_gt_i32_e64 s25, 0, v7
	v_and_b32_e32 v4, exec_lo, v4
	v_not_b32_e32 v7, v9
	v_ashrrev_i32_e32 v6, 31, v6
	v_xor_b32_e32 v5, s24, v5
	v_cmp_gt_i32_e64 s24, 0, v9
	v_and_b32_e32 v4, v4, v74
	v_not_b32_e32 v9, v72
	v_ashrrev_i32_e32 v7, 31, v7
	v_xor_b32_e32 v6, s25, v6
	v_cmp_gt_i32_e64 s25, 0, v72
	v_and_b32_e32 v4, v4, v5
	v_not_b32_e32 v5, v73
	v_ashrrev_i32_e32 v9, 31, v9
	v_xor_b32_e32 v7, s24, v7
	v_cmp_gt_i32_e64 s24, 0, v73
	v_and_b32_e32 v4, v4, v6
	v_not_b32_e32 v6, v8
	v_ashrrev_i32_e32 v5, 31, v5
	v_xor_b32_e32 v9, s25, v9
	v_mul_u32_u24_e32 v3, 9, v3
	v_and_b32_e32 v4, v4, v7
	v_cmp_gt_i32_e64 s25, 0, v8
	v_ashrrev_i32_e32 v6, 31, v6
	v_xor_b32_e32 v5, s24, v5
	v_add_lshl_u32 v72, v2, v3, 2
	v_and_b32_e32 v4, v4, v9
	s_delay_alu instid0(VALU_DEP_4) | instskip(SKIP_2) | instid1(VALU_DEP_1)
	v_xor_b32_e32 v3, s25, v6
	ds_load_b32 v81, v72 offset:32
	v_and_b32_e32 v4, v4, v5
	; wave barrier
	v_and_b32_e32 v3, v4, v3
	s_delay_alu instid0(VALU_DEP_1) | instskip(SKIP_1) | instid1(VALU_DEP_2)
	v_mbcnt_lo_u32_b32 v82, v3, 0
	v_cmp_ne_u32_e64 s25, 0, v3
	v_cmp_eq_u32_e64 s24, 0, v82
	s_delay_alu instid0(VALU_DEP_1) | instskip(NEXT) | instid1(SALU_CYCLE_1)
	s_and_b32 s25, s25, s24
	s_and_saveexec_b32 s24, s25
	s_cbranch_execz .LBB24_73
; %bb.72:
	s_waitcnt lgkmcnt(0)
	v_bcnt_u32_b32 v3, v3, v81
	ds_store_b32 v72, v3 offset:32
.LBB24_73:
	s_or_b32 exec_lo, exec_lo, s24
	v_and_b32_e32 v3, 0xff, v27
	; wave barrier
	s_delay_alu instid0(VALU_DEP_1) | instskip(NEXT) | instid1(VALU_DEP_1)
	v_lshrrev_b32_e32 v3, s60, v3
	v_and_b32_e32 v3, s68, v3
	s_delay_alu instid0(VALU_DEP_1)
	v_and_b32_e32 v4, 1, v3
	v_lshlrev_b32_e32 v5, 30, v3
	v_lshlrev_b32_e32 v6, 29, v3
	;; [unrolled: 1-line block ×4, first 2 shown]
	v_add_co_u32 v4, s24, v4, -1
	s_delay_alu instid0(VALU_DEP_1)
	v_cndmask_b32_e64 v8, 0, 1, s24
	v_not_b32_e32 v75, v5
	v_cmp_gt_i32_e64 s25, 0, v5
	v_not_b32_e32 v5, v6
	v_lshlrev_b32_e32 v73, 26, v3
	v_cmp_ne_u32_e64 s24, 0, v8
	v_ashrrev_i32_e32 v75, 31, v75
	v_lshlrev_b32_e32 v74, 25, v3
	v_ashrrev_i32_e32 v5, 31, v5
	v_lshlrev_b32_e32 v8, 24, v3
	v_xor_b32_e32 v4, s24, v4
	v_cmp_gt_i32_e64 s24, 0, v6
	v_not_b32_e32 v6, v7
	v_xor_b32_e32 v75, s25, v75
	v_cmp_gt_i32_e64 s25, 0, v7
	v_and_b32_e32 v4, exec_lo, v4
	v_not_b32_e32 v7, v9
	v_ashrrev_i32_e32 v6, 31, v6
	v_xor_b32_e32 v5, s24, v5
	v_cmp_gt_i32_e64 s24, 0, v9
	v_and_b32_e32 v4, v4, v75
	v_not_b32_e32 v9, v73
	v_ashrrev_i32_e32 v7, 31, v7
	v_xor_b32_e32 v6, s25, v6
	v_cmp_gt_i32_e64 s25, 0, v73
	v_and_b32_e32 v4, v4, v5
	;; [unrolled: 5-line block ×3, first 2 shown]
	v_not_b32_e32 v6, v8
	v_ashrrev_i32_e32 v5, 31, v5
	v_xor_b32_e32 v9, s25, v9
	v_mul_u32_u24_e32 v3, 9, v3
	v_and_b32_e32 v4, v4, v7
	v_cmp_gt_i32_e64 s25, 0, v8
	v_ashrrev_i32_e32 v6, 31, v6
	v_xor_b32_e32 v5, s24, v5
	v_add_lshl_u32 v73, v2, v3, 2
	v_and_b32_e32 v4, v4, v9
	s_delay_alu instid0(VALU_DEP_4) | instskip(SKIP_2) | instid1(VALU_DEP_1)
	v_xor_b32_e32 v3, s25, v6
	ds_load_b32 v83, v73 offset:32
	v_and_b32_e32 v4, v4, v5
	; wave barrier
	v_and_b32_e32 v3, v4, v3
	s_delay_alu instid0(VALU_DEP_1) | instskip(SKIP_1) | instid1(VALU_DEP_2)
	v_mbcnt_lo_u32_b32 v84, v3, 0
	v_cmp_ne_u32_e64 s25, 0, v3
	v_cmp_eq_u32_e64 s24, 0, v84
	s_delay_alu instid0(VALU_DEP_1) | instskip(NEXT) | instid1(SALU_CYCLE_1)
	s_and_b32 s25, s25, s24
	s_and_saveexec_b32 s24, s25
	s_cbranch_execz .LBB24_75
; %bb.74:
	s_waitcnt lgkmcnt(0)
	v_bcnt_u32_b32 v3, v3, v83
	ds_store_b32 v73, v3 offset:32
.LBB24_75:
	s_or_b32 exec_lo, exec_lo, s24
	v_and_b32_e32 v3, 0xff, v26
	; wave barrier
	s_delay_alu instid0(VALU_DEP_1) | instskip(NEXT) | instid1(VALU_DEP_1)
	v_lshrrev_b32_e32 v3, s60, v3
	v_and_b32_e32 v3, s68, v3
	s_delay_alu instid0(VALU_DEP_1)
	v_and_b32_e32 v4, 1, v3
	v_lshlrev_b32_e32 v5, 30, v3
	v_lshlrev_b32_e32 v6, 29, v3
	;; [unrolled: 1-line block ×4, first 2 shown]
	v_add_co_u32 v4, s24, v4, -1
	s_delay_alu instid0(VALU_DEP_1)
	v_cndmask_b32_e64 v8, 0, 1, s24
	v_not_b32_e32 v76, v5
	v_cmp_gt_i32_e64 s25, 0, v5
	v_not_b32_e32 v5, v6
	v_lshlrev_b32_e32 v74, 26, v3
	v_cmp_ne_u32_e64 s24, 0, v8
	v_ashrrev_i32_e32 v76, 31, v76
	v_lshlrev_b32_e32 v75, 25, v3
	v_ashrrev_i32_e32 v5, 31, v5
	v_lshlrev_b32_e32 v8, 24, v3
	v_xor_b32_e32 v4, s24, v4
	v_cmp_gt_i32_e64 s24, 0, v6
	v_not_b32_e32 v6, v7
	v_xor_b32_e32 v76, s25, v76
	v_cmp_gt_i32_e64 s25, 0, v7
	v_and_b32_e32 v4, exec_lo, v4
	v_not_b32_e32 v7, v9
	v_ashrrev_i32_e32 v6, 31, v6
	v_xor_b32_e32 v5, s24, v5
	v_cmp_gt_i32_e64 s24, 0, v9
	v_and_b32_e32 v4, v4, v76
	v_not_b32_e32 v9, v74
	v_ashrrev_i32_e32 v7, 31, v7
	v_xor_b32_e32 v6, s25, v6
	v_cmp_gt_i32_e64 s25, 0, v74
	v_and_b32_e32 v4, v4, v5
	;; [unrolled: 5-line block ×3, first 2 shown]
	v_not_b32_e32 v6, v8
	v_ashrrev_i32_e32 v5, 31, v5
	v_xor_b32_e32 v9, s25, v9
	v_mul_u32_u24_e32 v3, 9, v3
	v_and_b32_e32 v4, v4, v7
	v_cmp_gt_i32_e64 s25, 0, v8
	v_ashrrev_i32_e32 v6, 31, v6
	v_xor_b32_e32 v5, s24, v5
	v_add_lshl_u32 v74, v2, v3, 2
	v_and_b32_e32 v4, v4, v9
	s_delay_alu instid0(VALU_DEP_4) | instskip(SKIP_2) | instid1(VALU_DEP_1)
	v_xor_b32_e32 v3, s25, v6
	ds_load_b32 v85, v74 offset:32
	v_and_b32_e32 v4, v4, v5
	; wave barrier
	v_and_b32_e32 v3, v4, v3
	s_delay_alu instid0(VALU_DEP_1) | instskip(SKIP_1) | instid1(VALU_DEP_2)
	v_mbcnt_lo_u32_b32 v86, v3, 0
	v_cmp_ne_u32_e64 s25, 0, v3
	v_cmp_eq_u32_e64 s24, 0, v86
	s_delay_alu instid0(VALU_DEP_1) | instskip(NEXT) | instid1(SALU_CYCLE_1)
	s_and_b32 s25, s25, s24
	s_and_saveexec_b32 s24, s25
	s_cbranch_execz .LBB24_77
; %bb.76:
	s_waitcnt lgkmcnt(0)
	v_bcnt_u32_b32 v3, v3, v85
	ds_store_b32 v74, v3 offset:32
.LBB24_77:
	s_or_b32 exec_lo, exec_lo, s24
	v_and_b32_e32 v3, 0xff, v29
	; wave barrier
	s_delay_alu instid0(VALU_DEP_1) | instskip(NEXT) | instid1(VALU_DEP_1)
	v_lshrrev_b32_e32 v3, s60, v3
	v_and_b32_e32 v3, s68, v3
	s_delay_alu instid0(VALU_DEP_1)
	v_and_b32_e32 v4, 1, v3
	v_lshlrev_b32_e32 v5, 30, v3
	v_lshlrev_b32_e32 v6, 29, v3
	;; [unrolled: 1-line block ×4, first 2 shown]
	v_add_co_u32 v4, s24, v4, -1
	s_delay_alu instid0(VALU_DEP_1)
	v_cndmask_b32_e64 v8, 0, 1, s24
	v_not_b32_e32 v77, v5
	v_cmp_gt_i32_e64 s25, 0, v5
	v_not_b32_e32 v5, v6
	v_lshlrev_b32_e32 v75, 26, v3
	v_cmp_ne_u32_e64 s24, 0, v8
	v_ashrrev_i32_e32 v77, 31, v77
	v_lshlrev_b32_e32 v76, 25, v3
	v_ashrrev_i32_e32 v5, 31, v5
	v_lshlrev_b32_e32 v8, 24, v3
	v_xor_b32_e32 v4, s24, v4
	v_cmp_gt_i32_e64 s24, 0, v6
	v_not_b32_e32 v6, v7
	v_xor_b32_e32 v77, s25, v77
	v_cmp_gt_i32_e64 s25, 0, v7
	v_and_b32_e32 v4, exec_lo, v4
	v_not_b32_e32 v7, v9
	v_ashrrev_i32_e32 v6, 31, v6
	v_xor_b32_e32 v5, s24, v5
	v_cmp_gt_i32_e64 s24, 0, v9
	v_and_b32_e32 v4, v4, v77
	v_not_b32_e32 v9, v75
	v_ashrrev_i32_e32 v7, 31, v7
	v_xor_b32_e32 v6, s25, v6
	v_cmp_gt_i32_e64 s25, 0, v75
	v_and_b32_e32 v4, v4, v5
	v_not_b32_e32 v5, v76
	v_ashrrev_i32_e32 v9, 31, v9
	v_xor_b32_e32 v7, s24, v7
	v_cmp_gt_i32_e64 s24, 0, v76
	v_and_b32_e32 v4, v4, v6
	v_not_b32_e32 v6, v8
	v_ashrrev_i32_e32 v5, 31, v5
	v_xor_b32_e32 v9, s25, v9
	v_mul_u32_u24_e32 v3, 9, v3
	v_and_b32_e32 v4, v4, v7
	v_cmp_gt_i32_e64 s25, 0, v8
	v_ashrrev_i32_e32 v6, 31, v6
	v_xor_b32_e32 v5, s24, v5
	v_add_lshl_u32 v75, v2, v3, 2
	v_and_b32_e32 v4, v4, v9
	s_delay_alu instid0(VALU_DEP_4) | instskip(SKIP_2) | instid1(VALU_DEP_1)
	v_xor_b32_e32 v3, s25, v6
	ds_load_b32 v87, v75 offset:32
	v_and_b32_e32 v4, v4, v5
	; wave barrier
	v_and_b32_e32 v3, v4, v3
	s_delay_alu instid0(VALU_DEP_1) | instskip(SKIP_1) | instid1(VALU_DEP_2)
	v_mbcnt_lo_u32_b32 v88, v3, 0
	v_cmp_ne_u32_e64 s25, 0, v3
	v_cmp_eq_u32_e64 s24, 0, v88
	s_delay_alu instid0(VALU_DEP_1) | instskip(NEXT) | instid1(SALU_CYCLE_1)
	s_and_b32 s25, s25, s24
	s_and_saveexec_b32 s24, s25
	s_cbranch_execz .LBB24_79
; %bb.78:
	s_waitcnt lgkmcnt(0)
	v_bcnt_u32_b32 v3, v3, v87
	ds_store_b32 v75, v3 offset:32
.LBB24_79:
	s_or_b32 exec_lo, exec_lo, s24
	v_and_b32_e32 v3, 0xff, v28
	; wave barrier
	s_delay_alu instid0(VALU_DEP_1) | instskip(NEXT) | instid1(VALU_DEP_1)
	v_lshrrev_b32_e32 v3, s60, v3
	v_and_b32_e32 v3, s68, v3
	s_delay_alu instid0(VALU_DEP_1)
	v_and_b32_e32 v4, 1, v3
	v_lshlrev_b32_e32 v5, 30, v3
	v_lshlrev_b32_e32 v6, 29, v3
	;; [unrolled: 1-line block ×4, first 2 shown]
	v_add_co_u32 v4, s24, v4, -1
	s_delay_alu instid0(VALU_DEP_1)
	v_cndmask_b32_e64 v8, 0, 1, s24
	v_not_b32_e32 v78, v5
	v_cmp_gt_i32_e64 s25, 0, v5
	v_not_b32_e32 v5, v6
	v_lshlrev_b32_e32 v76, 26, v3
	v_cmp_ne_u32_e64 s24, 0, v8
	v_ashrrev_i32_e32 v78, 31, v78
	v_lshlrev_b32_e32 v77, 25, v3
	v_ashrrev_i32_e32 v5, 31, v5
	v_lshlrev_b32_e32 v8, 24, v3
	v_xor_b32_e32 v4, s24, v4
	v_cmp_gt_i32_e64 s24, 0, v6
	v_not_b32_e32 v6, v7
	v_xor_b32_e32 v78, s25, v78
	v_cmp_gt_i32_e64 s25, 0, v7
	v_and_b32_e32 v4, exec_lo, v4
	v_not_b32_e32 v7, v9
	v_ashrrev_i32_e32 v6, 31, v6
	v_xor_b32_e32 v5, s24, v5
	v_cmp_gt_i32_e64 s24, 0, v9
	v_and_b32_e32 v4, v4, v78
	v_not_b32_e32 v9, v76
	v_ashrrev_i32_e32 v7, 31, v7
	v_xor_b32_e32 v6, s25, v6
	v_cmp_gt_i32_e64 s25, 0, v76
	v_and_b32_e32 v4, v4, v5
	v_not_b32_e32 v5, v77
	v_ashrrev_i32_e32 v9, 31, v9
	v_xor_b32_e32 v7, s24, v7
	v_cmp_gt_i32_e64 s24, 0, v77
	v_and_b32_e32 v4, v4, v6
	v_not_b32_e32 v6, v8
	v_ashrrev_i32_e32 v5, 31, v5
	v_xor_b32_e32 v9, s25, v9
	v_mul_u32_u24_e32 v3, 9, v3
	v_and_b32_e32 v4, v4, v7
	v_cmp_gt_i32_e64 s25, 0, v8
	v_ashrrev_i32_e32 v6, 31, v6
	v_xor_b32_e32 v5, s24, v5
	v_add_lshl_u32 v76, v2, v3, 2
	v_and_b32_e32 v4, v4, v9
	s_delay_alu instid0(VALU_DEP_4) | instskip(SKIP_2) | instid1(VALU_DEP_1)
	v_xor_b32_e32 v3, s25, v6
	ds_load_b32 v89, v76 offset:32
	v_and_b32_e32 v4, v4, v5
	; wave barrier
	v_and_b32_e32 v3, v4, v3
	s_delay_alu instid0(VALU_DEP_1) | instskip(SKIP_1) | instid1(VALU_DEP_2)
	v_mbcnt_lo_u32_b32 v90, v3, 0
	v_cmp_ne_u32_e64 s25, 0, v3
	v_cmp_eq_u32_e64 s24, 0, v90
	s_delay_alu instid0(VALU_DEP_1) | instskip(NEXT) | instid1(SALU_CYCLE_1)
	s_and_b32 s25, s25, s24
	s_and_saveexec_b32 s24, s25
	s_cbranch_execz .LBB24_81
; %bb.80:
	s_waitcnt lgkmcnt(0)
	v_bcnt_u32_b32 v3, v3, v89
	ds_store_b32 v76, v3 offset:32
.LBB24_81:
	s_or_b32 exec_lo, exec_lo, s24
	v_and_b32_e32 v3, 0xff, v31
	; wave barrier
	s_delay_alu instid0(VALU_DEP_1) | instskip(NEXT) | instid1(VALU_DEP_1)
	v_lshrrev_b32_e32 v3, s60, v3
	v_and_b32_e32 v3, s68, v3
	s_delay_alu instid0(VALU_DEP_1)
	v_and_b32_e32 v4, 1, v3
	v_lshlrev_b32_e32 v5, 30, v3
	v_lshlrev_b32_e32 v6, 29, v3
	;; [unrolled: 1-line block ×4, first 2 shown]
	v_add_co_u32 v4, s24, v4, -1
	s_delay_alu instid0(VALU_DEP_1)
	v_cndmask_b32_e64 v8, 0, 1, s24
	v_not_b32_e32 v91, v5
	v_cmp_gt_i32_e64 s25, 0, v5
	v_not_b32_e32 v5, v6
	v_lshlrev_b32_e32 v77, 26, v3
	v_cmp_ne_u32_e64 s24, 0, v8
	v_ashrrev_i32_e32 v91, 31, v91
	v_lshlrev_b32_e32 v78, 25, v3
	v_ashrrev_i32_e32 v5, 31, v5
	v_lshlrev_b32_e32 v8, 24, v3
	v_xor_b32_e32 v4, s24, v4
	v_cmp_gt_i32_e64 s24, 0, v6
	v_not_b32_e32 v6, v7
	v_xor_b32_e32 v91, s25, v91
	v_cmp_gt_i32_e64 s25, 0, v7
	v_and_b32_e32 v4, exec_lo, v4
	v_not_b32_e32 v7, v9
	v_ashrrev_i32_e32 v6, 31, v6
	v_xor_b32_e32 v5, s24, v5
	v_cmp_gt_i32_e64 s24, 0, v9
	v_and_b32_e32 v4, v4, v91
	v_not_b32_e32 v9, v77
	v_ashrrev_i32_e32 v7, 31, v7
	v_xor_b32_e32 v6, s25, v6
	v_cmp_gt_i32_e64 s25, 0, v77
	v_and_b32_e32 v4, v4, v5
	;; [unrolled: 5-line block ×3, first 2 shown]
	v_not_b32_e32 v6, v8
	v_ashrrev_i32_e32 v5, 31, v5
	v_xor_b32_e32 v9, s25, v9
	v_mul_u32_u24_e32 v3, 9, v3
	v_and_b32_e32 v4, v4, v7
	v_cmp_gt_i32_e64 s25, 0, v8
	v_ashrrev_i32_e32 v6, 31, v6
	v_xor_b32_e32 v5, s24, v5
	v_add_lshl_u32 v77, v2, v3, 2
	v_and_b32_e32 v4, v4, v9
	s_delay_alu instid0(VALU_DEP_4) | instskip(SKIP_2) | instid1(VALU_DEP_1)
	v_xor_b32_e32 v3, s25, v6
	ds_load_b32 v91, v77 offset:32
	v_and_b32_e32 v4, v4, v5
	; wave barrier
	v_and_b32_e32 v3, v4, v3
	s_delay_alu instid0(VALU_DEP_1) | instskip(SKIP_1) | instid1(VALU_DEP_2)
	v_mbcnt_lo_u32_b32 v92, v3, 0
	v_cmp_ne_u32_e64 s25, 0, v3
	v_cmp_eq_u32_e64 s24, 0, v92
	s_delay_alu instid0(VALU_DEP_1) | instskip(NEXT) | instid1(SALU_CYCLE_1)
	s_and_b32 s25, s25, s24
	s_and_saveexec_b32 s24, s25
	s_cbranch_execz .LBB24_83
; %bb.82:
	s_waitcnt lgkmcnt(0)
	v_bcnt_u32_b32 v3, v3, v91
	ds_store_b32 v77, v3 offset:32
.LBB24_83:
	s_or_b32 exec_lo, exec_lo, s24
	v_and_b32_e32 v3, 0xff, v30
	; wave barrier
	s_delay_alu instid0(VALU_DEP_1) | instskip(NEXT) | instid1(VALU_DEP_1)
	v_lshrrev_b32_e32 v3, s60, v3
	v_and_b32_e32 v3, s68, v3
	s_delay_alu instid0(VALU_DEP_1)
	v_and_b32_e32 v4, 1, v3
	v_lshlrev_b32_e32 v5, 30, v3
	v_lshlrev_b32_e32 v6, 29, v3
	;; [unrolled: 1-line block ×4, first 2 shown]
	v_add_co_u32 v4, s24, v4, -1
	s_delay_alu instid0(VALU_DEP_1)
	v_cndmask_b32_e64 v8, 0, 1, s24
	v_not_b32_e32 v94, v5
	v_cmp_gt_i32_e64 s25, 0, v5
	v_not_b32_e32 v5, v6
	v_lshlrev_b32_e32 v78, 26, v3
	v_cmp_ne_u32_e64 s24, 0, v8
	v_ashrrev_i32_e32 v94, 31, v94
	v_lshlrev_b32_e32 v93, 25, v3
	v_ashrrev_i32_e32 v5, 31, v5
	v_lshlrev_b32_e32 v8, 24, v3
	v_xor_b32_e32 v4, s24, v4
	v_cmp_gt_i32_e64 s24, 0, v6
	v_not_b32_e32 v6, v7
	v_xor_b32_e32 v94, s25, v94
	v_cmp_gt_i32_e64 s25, 0, v7
	v_and_b32_e32 v4, exec_lo, v4
	v_not_b32_e32 v7, v9
	v_ashrrev_i32_e32 v6, 31, v6
	v_xor_b32_e32 v5, s24, v5
	v_cmp_gt_i32_e64 s24, 0, v9
	v_and_b32_e32 v4, v4, v94
	v_not_b32_e32 v9, v78
	v_ashrrev_i32_e32 v7, 31, v7
	v_xor_b32_e32 v6, s25, v6
	v_cmp_gt_i32_e64 s25, 0, v78
	v_and_b32_e32 v4, v4, v5
	;; [unrolled: 5-line block ×3, first 2 shown]
	v_not_b32_e32 v6, v8
	v_ashrrev_i32_e32 v5, 31, v5
	v_xor_b32_e32 v9, s25, v9
	v_mul_u32_u24_e32 v3, 9, v3
	v_and_b32_e32 v4, v4, v7
	v_cmp_gt_i32_e64 s25, 0, v8
	v_ashrrev_i32_e32 v6, 31, v6
	v_xor_b32_e32 v5, s24, v5
	v_add_lshl_u32 v78, v2, v3, 2
	v_and_b32_e32 v4, v4, v9
	s_delay_alu instid0(VALU_DEP_4) | instskip(SKIP_2) | instid1(VALU_DEP_1)
	v_xor_b32_e32 v3, s25, v6
	ds_load_b32 v93, v78 offset:32
	v_and_b32_e32 v4, v4, v5
	; wave barrier
	v_and_b32_e32 v3, v4, v3
	s_delay_alu instid0(VALU_DEP_1) | instskip(SKIP_1) | instid1(VALU_DEP_2)
	v_mbcnt_lo_u32_b32 v94, v3, 0
	v_cmp_ne_u32_e64 s25, 0, v3
	v_cmp_eq_u32_e64 s24, 0, v94
	s_delay_alu instid0(VALU_DEP_1) | instskip(NEXT) | instid1(SALU_CYCLE_1)
	s_and_b32 s25, s25, s24
	s_and_saveexec_b32 s24, s25
	s_cbranch_execz .LBB24_85
; %bb.84:
	s_waitcnt lgkmcnt(0)
	v_bcnt_u32_b32 v3, v3, v93
	ds_store_b32 v78, v3 offset:32
.LBB24_85:
	s_or_b32 exec_lo, exec_lo, s24
	v_and_b32_e32 v3, 0xff, v33
	; wave barrier
	s_delay_alu instid0(VALU_DEP_1) | instskip(NEXT) | instid1(VALU_DEP_1)
	v_lshrrev_b32_e32 v3, s60, v3
	v_and_b32_e32 v3, s68, v3
	s_delay_alu instid0(VALU_DEP_1)
	v_and_b32_e32 v4, 1, v3
	v_lshlrev_b32_e32 v5, 30, v3
	v_lshlrev_b32_e32 v6, 29, v3
	;; [unrolled: 1-line block ×4, first 2 shown]
	v_add_co_u32 v4, s24, v4, -1
	s_delay_alu instid0(VALU_DEP_1)
	v_cndmask_b32_e64 v8, 0, 1, s24
	v_not_b32_e32 v97, v5
	v_cmp_gt_i32_e64 s25, 0, v5
	v_not_b32_e32 v5, v6
	v_lshlrev_b32_e32 v95, 26, v3
	v_cmp_ne_u32_e64 s24, 0, v8
	v_ashrrev_i32_e32 v97, 31, v97
	v_lshlrev_b32_e32 v96, 25, v3
	v_ashrrev_i32_e32 v5, 31, v5
	v_lshlrev_b32_e32 v8, 24, v3
	v_xor_b32_e32 v4, s24, v4
	v_cmp_gt_i32_e64 s24, 0, v6
	v_not_b32_e32 v6, v7
	v_xor_b32_e32 v97, s25, v97
	v_cmp_gt_i32_e64 s25, 0, v7
	v_and_b32_e32 v4, exec_lo, v4
	v_not_b32_e32 v7, v9
	v_ashrrev_i32_e32 v6, 31, v6
	v_xor_b32_e32 v5, s24, v5
	v_cmp_gt_i32_e64 s24, 0, v9
	v_and_b32_e32 v4, v4, v97
	v_not_b32_e32 v9, v95
	v_ashrrev_i32_e32 v7, 31, v7
	v_xor_b32_e32 v6, s25, v6
	v_cmp_gt_i32_e64 s25, 0, v95
	v_and_b32_e32 v4, v4, v5
	;; [unrolled: 5-line block ×3, first 2 shown]
	v_not_b32_e32 v6, v8
	v_ashrrev_i32_e32 v5, 31, v5
	v_xor_b32_e32 v9, s25, v9
	v_mul_u32_u24_e32 v3, 9, v3
	v_and_b32_e32 v4, v4, v7
	v_cmp_gt_i32_e64 s25, 0, v8
	v_ashrrev_i32_e32 v6, 31, v6
	v_xor_b32_e32 v5, s24, v5
	v_add_lshl_u32 v97, v2, v3, 2
	v_and_b32_e32 v4, v4, v9
	s_delay_alu instid0(VALU_DEP_4) | instskip(SKIP_2) | instid1(VALU_DEP_1)
	v_xor_b32_e32 v3, s25, v6
	ds_load_b32 v95, v97 offset:32
	v_and_b32_e32 v4, v4, v5
	; wave barrier
	v_and_b32_e32 v3, v4, v3
	s_delay_alu instid0(VALU_DEP_1) | instskip(SKIP_1) | instid1(VALU_DEP_2)
	v_mbcnt_lo_u32_b32 v96, v3, 0
	v_cmp_ne_u32_e64 s25, 0, v3
	v_cmp_eq_u32_e64 s24, 0, v96
	s_delay_alu instid0(VALU_DEP_1) | instskip(NEXT) | instid1(SALU_CYCLE_1)
	s_and_b32 s25, s25, s24
	s_and_saveexec_b32 s24, s25
	s_cbranch_execz .LBB24_87
; %bb.86:
	s_waitcnt lgkmcnt(0)
	v_bcnt_u32_b32 v3, v3, v95
	ds_store_b32 v97, v3 offset:32
.LBB24_87:
	s_or_b32 exec_lo, exec_lo, s24
	v_and_b32_e32 v3, 0xff, v32
	; wave barrier
	v_add_nc_u32_e32 v101, 32, v35
	s_delay_alu instid0(VALU_DEP_2) | instskip(NEXT) | instid1(VALU_DEP_1)
	v_lshrrev_b32_e32 v3, s60, v3
	v_and_b32_e32 v3, s68, v3
	s_delay_alu instid0(VALU_DEP_1)
	v_and_b32_e32 v4, 1, v3
	v_lshlrev_b32_e32 v5, 30, v3
	v_lshlrev_b32_e32 v6, 29, v3
	;; [unrolled: 1-line block ×4, first 2 shown]
	v_add_co_u32 v4, s24, v4, -1
	s_delay_alu instid0(VALU_DEP_1)
	v_cndmask_b32_e64 v8, 0, 1, s24
	v_not_b32_e32 v100, v5
	v_cmp_gt_i32_e64 s25, 0, v5
	v_not_b32_e32 v5, v6
	v_lshlrev_b32_e32 v98, 26, v3
	v_cmp_ne_u32_e64 s24, 0, v8
	v_ashrrev_i32_e32 v100, 31, v100
	v_lshlrev_b32_e32 v99, 25, v3
	v_ashrrev_i32_e32 v5, 31, v5
	v_lshlrev_b32_e32 v8, 24, v3
	v_xor_b32_e32 v4, s24, v4
	v_cmp_gt_i32_e64 s24, 0, v6
	v_not_b32_e32 v6, v7
	v_xor_b32_e32 v100, s25, v100
	v_cmp_gt_i32_e64 s25, 0, v7
	v_and_b32_e32 v4, exec_lo, v4
	v_not_b32_e32 v7, v9
	v_ashrrev_i32_e32 v6, 31, v6
	v_xor_b32_e32 v5, s24, v5
	v_cmp_gt_i32_e64 s24, 0, v9
	v_and_b32_e32 v4, v4, v100
	v_not_b32_e32 v9, v98
	v_ashrrev_i32_e32 v7, 31, v7
	v_xor_b32_e32 v6, s25, v6
	v_cmp_gt_i32_e64 s25, 0, v98
	v_and_b32_e32 v4, v4, v5
	;; [unrolled: 5-line block ×3, first 2 shown]
	v_not_b32_e32 v6, v8
	v_ashrrev_i32_e32 v5, 31, v5
	v_xor_b32_e32 v9, s25, v9
	v_mul_u32_u24_e32 v3, 9, v3
	v_and_b32_e32 v4, v4, v7
	v_cmp_gt_i32_e64 s25, 0, v8
	v_ashrrev_i32_e32 v6, 31, v6
	v_xor_b32_e32 v5, s24, v5
	v_add_lshl_u32 v100, v2, v3, 2
	v_and_b32_e32 v4, v4, v9
	s_delay_alu instid0(VALU_DEP_4) | instskip(SKIP_2) | instid1(VALU_DEP_1)
	v_xor_b32_e32 v2, s25, v6
	ds_load_b32 v98, v100 offset:32
	v_and_b32_e32 v3, v4, v5
	; wave barrier
	v_and_b32_e32 v2, v3, v2
	s_delay_alu instid0(VALU_DEP_1) | instskip(SKIP_1) | instid1(VALU_DEP_2)
	v_mbcnt_lo_u32_b32 v99, v2, 0
	v_cmp_ne_u32_e64 s25, 0, v2
	v_cmp_eq_u32_e64 s24, 0, v99
	s_delay_alu instid0(VALU_DEP_1) | instskip(NEXT) | instid1(SALU_CYCLE_1)
	s_and_b32 s25, s25, s24
	s_and_saveexec_b32 s24, s25
	s_cbranch_execz .LBB24_89
; %bb.88:
	s_waitcnt lgkmcnt(0)
	v_bcnt_u32_b32 v2, v2, v98
	ds_store_b32 v100, v2 offset:32
.LBB24_89:
	s_or_b32 exec_lo, exec_lo, s24
	; wave barrier
	s_waitcnt lgkmcnt(0)
	s_barrier
	buffer_gl0_inv
	ds_load_2addr_b32 v[8:9], v35 offset0:8 offset1:9
	ds_load_2addr_b32 v[6:7], v101 offset0:2 offset1:3
	ds_load_2addr_b32 v[4:5], v101 offset0:4 offset1:5
	ds_load_2addr_b32 v[2:3], v101 offset0:6 offset1:7
	ds_load_b32 v102, v101 offset:32
	v_min_u32_e32 v21, 0xe0, v21
	s_mov_b32 s25, exec_lo
	s_delay_alu instid0(VALU_DEP_1) | instskip(SKIP_3) | instid1(VALU_DEP_1)
	v_or_b32_e32 v105, 31, v21
	s_waitcnt lgkmcnt(3)
	v_add3_u32 v103, v9, v8, v6
	s_waitcnt lgkmcnt(2)
	v_add3_u32 v103, v103, v7, v4
	s_waitcnt lgkmcnt(1)
	s_delay_alu instid0(VALU_DEP_1) | instskip(SKIP_1) | instid1(VALU_DEP_1)
	v_add3_u32 v103, v103, v5, v2
	s_waitcnt lgkmcnt(0)
	v_add3_u32 v102, v103, v3, v102
	v_and_b32_e32 v103, 15, v51
	s_delay_alu instid0(VALU_DEP_2) | instskip(NEXT) | instid1(VALU_DEP_2)
	v_mov_b32_dpp v104, v102 row_shr:1 row_mask:0xf bank_mask:0xf
	v_cmp_ne_u32_e64 s24, 0, v103
	s_delay_alu instid0(VALU_DEP_1) | instskip(SKIP_1) | instid1(VALU_DEP_2)
	v_cndmask_b32_e64 v104, 0, v104, s24
	v_cmp_lt_u32_e64 s24, 1, v103
	v_add_nc_u32_e32 v102, v104, v102
	s_delay_alu instid0(VALU_DEP_1) | instskip(NEXT) | instid1(VALU_DEP_1)
	v_mov_b32_dpp v104, v102 row_shr:2 row_mask:0xf bank_mask:0xf
	v_cndmask_b32_e64 v104, 0, v104, s24
	v_cmp_lt_u32_e64 s24, 3, v103
	s_delay_alu instid0(VALU_DEP_2) | instskip(NEXT) | instid1(VALU_DEP_1)
	v_add_nc_u32_e32 v102, v102, v104
	v_mov_b32_dpp v104, v102 row_shr:4 row_mask:0xf bank_mask:0xf
	s_delay_alu instid0(VALU_DEP_1) | instskip(SKIP_1) | instid1(VALU_DEP_2)
	v_cndmask_b32_e64 v104, 0, v104, s24
	v_cmp_lt_u32_e64 s24, 7, v103
	v_add_nc_u32_e32 v102, v102, v104
	s_delay_alu instid0(VALU_DEP_1) | instskip(NEXT) | instid1(VALU_DEP_1)
	v_mov_b32_dpp v104, v102 row_shr:8 row_mask:0xf bank_mask:0xf
	v_cndmask_b32_e64 v103, 0, v104, s24
	v_bfe_i32 v104, v51, 4, 1
	s_delay_alu instid0(VALU_DEP_2) | instskip(SKIP_4) | instid1(VALU_DEP_2)
	v_add_nc_u32_e32 v103, v102, v103
	ds_swizzle_b32 v102, v103 offset:swizzle(BROADCAST,32,15)
	s_waitcnt lgkmcnt(0)
	v_and_b32_e32 v104, v104, v102
	v_lshrrev_b32_e32 v102, 5, v1
	v_add_nc_u32_e32 v21, v103, v104
	v_cmpx_eq_u32_e64 v105, v1
	s_cbranch_execz .LBB24_91
; %bb.90:
	s_delay_alu instid0(VALU_DEP_3)
	v_lshlrev_b32_e32 v103, 2, v102
	ds_store_b32 v103, v21
.LBB24_91:
	s_or_b32 exec_lo, exec_lo, s25
	s_delay_alu instid0(SALU_CYCLE_1)
	s_mov_b32 s25, exec_lo
	s_waitcnt lgkmcnt(0)
	s_barrier
	buffer_gl0_inv
	v_cmpx_gt_u32_e32 8, v1
	s_cbranch_execz .LBB24_93
; %bb.92:
	v_lshlrev_b32_e32 v103, 2, v1
	v_and_b32_e32 v105, 7, v51
	ds_load_b32 v104, v103
	v_cmp_ne_u32_e64 s24, 0, v105
	s_waitcnt lgkmcnt(0)
	v_mov_b32_dpp v106, v104 row_shr:1 row_mask:0xf bank_mask:0xf
	s_delay_alu instid0(VALU_DEP_1) | instskip(SKIP_1) | instid1(VALU_DEP_2)
	v_cndmask_b32_e64 v106, 0, v106, s24
	v_cmp_lt_u32_e64 s24, 1, v105
	v_add_nc_u32_e32 v104, v106, v104
	s_delay_alu instid0(VALU_DEP_1) | instskip(NEXT) | instid1(VALU_DEP_1)
	v_mov_b32_dpp v106, v104 row_shr:2 row_mask:0xf bank_mask:0xf
	v_cndmask_b32_e64 v106, 0, v106, s24
	v_cmp_lt_u32_e64 s24, 3, v105
	s_delay_alu instid0(VALU_DEP_2) | instskip(NEXT) | instid1(VALU_DEP_1)
	v_add_nc_u32_e32 v104, v104, v106
	v_mov_b32_dpp v106, v104 row_shr:4 row_mask:0xf bank_mask:0xf
	s_delay_alu instid0(VALU_DEP_1) | instskip(NEXT) | instid1(VALU_DEP_1)
	v_cndmask_b32_e64 v105, 0, v106, s24
	v_add_nc_u32_e32 v104, v104, v105
	ds_store_b32 v103, v104
.LBB24_93:
	s_or_b32 exec_lo, exec_lo, s25
	v_mov_b32_e32 v103, 0
	s_mov_b32 s25, exec_lo
	s_waitcnt lgkmcnt(0)
	s_barrier
	buffer_gl0_inv
	v_cmpx_lt_u32_e32 31, v1
	s_cbranch_execz .LBB24_95
; %bb.94:
	v_lshl_add_u32 v102, v102, 2, -4
	ds_load_b32 v103, v102
.LBB24_95:
	s_or_b32 exec_lo, exec_lo, s25
	v_add_nc_u32_e32 v102, -1, v51
	s_waitcnt lgkmcnt(0)
	v_add_nc_u32_e32 v21, v103, v21
	s_mov_b32 s25, 0
	s_mov_b32 s26, exec_lo
	v_cmp_gt_i32_e64 s24, 0, v102
	s_delay_alu instid0(VALU_DEP_1) | instskip(SKIP_1) | instid1(VALU_DEP_2)
	v_cndmask_b32_e64 v102, v102, v51, s24
	v_cmp_eq_u32_e64 s24, 0, v51
	v_lshlrev_b32_e32 v102, 2, v102
	ds_bpermute_b32 v21, v102, v21
	s_waitcnt lgkmcnt(0)
	v_cndmask_b32_e64 v21, v21, v103, s24
	v_cmp_ne_u32_e64 s24, 0, v1
	s_delay_alu instid0(VALU_DEP_1) | instskip(NEXT) | instid1(VALU_DEP_1)
	v_cndmask_b32_e64 v21, 0, v21, s24
	v_add_nc_u32_e32 v8, v21, v8
	s_delay_alu instid0(VALU_DEP_1) | instskip(NEXT) | instid1(VALU_DEP_1)
	v_add_nc_u32_e32 v9, v8, v9
	v_add_nc_u32_e32 v6, v9, v6
	s_delay_alu instid0(VALU_DEP_1) | instskip(NEXT) | instid1(VALU_DEP_1)
	v_add_nc_u32_e32 v7, v6, v7
	;; [unrolled: 3-line block ×3, first 2 shown]
	v_add_nc_u32_e32 v2, v5, v2
	s_delay_alu instid0(VALU_DEP_1)
	v_add_nc_u32_e32 v3, v2, v3
	ds_store_2addr_b32 v35, v21, v8 offset0:8 offset1:9
	ds_store_2addr_b32 v101, v9, v6 offset0:2 offset1:3
	;; [unrolled: 1-line block ×4, first 2 shown]
	ds_store_b32 v101, v3 offset:32
	v_mov_b32_e32 v2, 0x1600
	s_waitcnt lgkmcnt(0)
	s_barrier
	buffer_gl0_inv
	ds_load_b32 v4, v39 offset:32
	ds_load_b32 v5, v42 offset:32
	ds_load_b32 v6, v45 offset:32
	ds_load_b32 v7, v48 offset:32
	ds_load_b32 v8, v52 offset:32
	ds_load_b32 v9, v55 offset:32
	ds_load_b32 v21, v58 offset:32
	ds_load_b32 v39, v61 offset:32
	ds_load_b32 v42, v64 offset:32
	ds_load_b32 v45, v67 offset:32
	ds_load_b32 v48, v70 offset:32
	ds_load_b32 v52, v71 offset:32
	ds_load_b32 v55, v72 offset:32
	ds_load_b32 v58, v73 offset:32
	ds_load_b32 v101, v74 offset:32
	ds_load_b32 v102, v75 offset:32
	ds_load_b32 v103, v76 offset:32
	ds_load_b32 v104, v77 offset:32
	ds_load_b32 v105, v78 offset:32
	ds_load_b32 v97, v97 offset:32
	ds_load_b32 v100, v100 offset:32
	ds_load_b32 v36, v36 offset:32
	ds_load_b32 v3, v35 offset:32
	v_add_nc_u32_e32 v35, 1, v1
	s_delay_alu instid0(VALU_DEP_1)
	v_cmpx_ne_u32_e32 0x100, v35
	s_cbranch_execz .LBB24_97
; %bb.96:
	v_mul_u32_u24_e32 v2, 9, v35
	s_delay_alu instid0(VALU_DEP_1)
	v_lshlrev_b32_e32 v2, 2, v2
	ds_load_b32 v2, v2 offset:32
.LBB24_97:
	s_or_b32 exec_lo, exec_lo, s26
	s_waitcnt lgkmcnt(1)
	v_add_nc_u32_e32 v78, v36, v34
	v_add3_u32 v77, v38, v37, v4
	v_add3_u32 v76, v41, v40, v5
	v_mov_b32_e32 v5, 0
	v_lshl_add_u32 v4, s15, 8, v1
	v_add3_u32 v75, v44, v43, v6
	v_add3_u32 v74, v47, v46, v7
	;; [unrolled: 1-line block ×4, first 2 shown]
	v_lshlrev_b64 v[6:7], 2, v[4:5]
	s_waitcnt lgkmcnt(0)
	v_sub_nc_u32_e32 v52, v2, v3
	v_add3_u32 v73, v50, v49, v8
	v_add3_u32 v72, v54, v53, v9
	;; [unrolled: 1-line block ×4, first 2 shown]
	v_add_co_u32 v6, s24, s66, v6
	v_add3_u32 v65, v66, v65, v45
	v_add3_u32 v64, v69, v68, v48
	;; [unrolled: 1-line block ×11, first 2 shown]
	v_add_co_ci_u32_e64 v7, s24, s67, v7, s24
	v_or_b32_e32 v4, 2.0, v52
	v_mov_b32_e32 v2, 0
	s_mov_b32 s26, s63
	s_barrier
	buffer_gl0_inv
	ds_store_b8 v78, v12 offset:2048
	ds_store_b8 v77, v11 offset:2048
	;; [unrolled: 1-line block ×22, first 2 shown]
	s_waitcnt lgkmcnt(0)
	s_barrier
	buffer_gl0_inv
	global_store_b32 v[6:7], v4, off
                                        ; implicit-def: $sgpr24
	s_branch .LBB24_99
	.p2align	6
.LBB24_98:                              ;   in Loop: Header=BB24_99 Depth=1
	s_or_b32 exec_lo, exec_lo, s27
	v_and_b32_e32 v8, 0x3fffffff, v11
	v_cmp_eq_u32_e64 s24, 0x80000000, v4
	s_delay_alu instid0(VALU_DEP_2) | instskip(NEXT) | instid1(VALU_DEP_2)
	v_add_nc_u32_e32 v2, v8, v2
	s_and_b32 s27, exec_lo, s24
	s_delay_alu instid0(SALU_CYCLE_1) | instskip(NEXT) | instid1(SALU_CYCLE_1)
	s_or_b32 s25, s27, s25
	s_and_not1_b32 exec_lo, exec_lo, s25
	s_cbranch_execz .LBB24_105
.LBB24_99:                              ; =>This Loop Header: Depth=1
                                        ;     Child Loop BB24_102 Depth 2
	s_or_b32 s24, s24, exec_lo
	s_cmp_eq_u32 s26, 0
	s_cbranch_scc1 .LBB24_104
; %bb.100:                              ;   in Loop: Header=BB24_99 Depth=1
	s_add_i32 s26, s26, -1
	s_mov_b32 s27, exec_lo
	v_lshl_add_u32 v4, s26, 8, v1
	s_delay_alu instid0(VALU_DEP_1) | instskip(NEXT) | instid1(VALU_DEP_1)
	v_lshlrev_b64 v[8:9], 2, v[4:5]
	v_add_co_u32 v8, s24, s66, v8
	s_delay_alu instid0(VALU_DEP_1) | instskip(SKIP_3) | instid1(VALU_DEP_1)
	v_add_co_ci_u32_e64 v9, s24, s67, v9, s24
	global_load_b32 v11, v[8:9], off glc
	s_waitcnt vmcnt(0)
	v_and_b32_e32 v4, -2.0, v11
	v_cmpx_eq_u32_e32 0, v4
	s_cbranch_execz .LBB24_98
; %bb.101:                              ;   in Loop: Header=BB24_99 Depth=1
	s_mov_b32 s28, 0
.LBB24_102:                             ;   Parent Loop BB24_99 Depth=1
                                        ; =>  This Inner Loop Header: Depth=2
	global_load_b32 v11, v[8:9], off glc
	s_waitcnt vmcnt(0)
	v_and_b32_e32 v4, -2.0, v11
	s_delay_alu instid0(VALU_DEP_1) | instskip(NEXT) | instid1(VALU_DEP_1)
	v_cmp_ne_u32_e64 s24, 0, v4
	s_or_b32 s28, s24, s28
	s_delay_alu instid0(SALU_CYCLE_1)
	s_and_not1_b32 exec_lo, exec_lo, s28
	s_cbranch_execnz .LBB24_102
; %bb.103:                              ;   in Loop: Header=BB24_99 Depth=1
	s_or_b32 exec_lo, exec_lo, s28
	s_branch .LBB24_98
.LBB24_104:                             ;   in Loop: Header=BB24_99 Depth=1
                                        ; implicit-def: $sgpr26
	s_and_b32 s27, exec_lo, s24
	s_delay_alu instid0(SALU_CYCLE_1) | instskip(NEXT) | instid1(SALU_CYCLE_1)
	s_or_b32 s25, s27, s25
	s_and_not1_b32 exec_lo, exec_lo, s25
	s_cbranch_execnz .LBB24_99
.LBB24_105:
	s_or_b32 exec_lo, exec_lo, s25
	v_add_nc_u32_e32 v4, v2, v52
	v_lshlrev_b32_e32 v53, 3, v1
	v_cmp_gt_u32_e64 s40, s47, v1
	s_delay_alu instid0(VALU_DEP_3)
	v_or_b32_e32 v4, 0x80000000, v4
	global_store_b32 v[6:7], v4, off
	v_sub_co_u32 v6, s24, v2, v3
	v_mov_b32_e32 v2, 0
	global_load_b64 v[4:5], v53, s[56:57]
	v_sub_co_ci_u32_e64 v7, null, 0, 0, s24
	s_waitcnt vmcnt(0)
	v_add_co_u32 v6, s24, v6, v4
	s_delay_alu instid0(VALU_DEP_1)
	v_add_co_ci_u32_e64 v7, s24, v7, v5, s24
	v_mov_b32_e32 v4, v2
	ds_store_b64 v53, v[6:7]
	s_waitcnt lgkmcnt(0)
	s_waitcnt_vscnt null, 0x0
	s_barrier
	buffer_gl0_inv
	s_and_saveexec_b32 s25, s40
	s_cbranch_execz .LBB24_107
; %bb.106:
	ds_load_u8 v7, v1 offset:2048
	s_waitcnt lgkmcnt(0)
	v_and_b32_e32 v5, 0xff, v7
	s_delay_alu instid0(VALU_DEP_1) | instskip(NEXT) | instid1(VALU_DEP_1)
	v_lshrrev_b32_e32 v5, s60, v5
	v_and_b32_e32 v5, s68, v5
	s_delay_alu instid0(VALU_DEP_1) | instskip(SKIP_3) | instid1(VALU_DEP_1)
	v_lshlrev_b32_e32 v5, 3, v5
	ds_load_b64 v[5:6], v5
	s_waitcnt lgkmcnt(0)
	v_add_co_u32 v5, s24, s50, v5
	v_add_co_ci_u32_e64 v6, s24, s51, v6, s24
	s_delay_alu instid0(VALU_DEP_2) | instskip(NEXT) | instid1(VALU_DEP_1)
	v_add_co_u32 v5, s24, v5, v1
	v_add_co_ci_u32_e64 v6, s24, 0, v6, s24
	global_store_b8 v[5:6], v7, off
.LBB24_107:
	s_or_b32 exec_lo, exec_lo, s25
	v_add_nc_u32_e32 v5, 0x100, v1
	s_delay_alu instid0(VALU_DEP_1) | instskip(NEXT) | instid1(VALU_DEP_1)
	v_cmp_gt_u32_e64 s45, s47, v5
	s_and_saveexec_b32 s25, s45
	s_cbranch_execz .LBB24_109
; %bb.108:
	ds_load_u8 v7, v1 offset:2304
	s_waitcnt lgkmcnt(0)
	v_and_b32_e32 v5, 0xff, v7
	s_delay_alu instid0(VALU_DEP_1) | instskip(NEXT) | instid1(VALU_DEP_1)
	v_lshrrev_b32_e32 v5, s60, v5
	v_and_b32_e32 v5, s68, v5
	s_delay_alu instid0(VALU_DEP_1) | instskip(SKIP_3) | instid1(VALU_DEP_1)
	v_lshlrev_b32_e32 v5, 3, v5
	ds_load_b64 v[5:6], v5
	s_waitcnt lgkmcnt(0)
	v_add_co_u32 v5, s24, s50, v5
	v_add_co_ci_u32_e64 v6, s24, s51, v6, s24
	s_delay_alu instid0(VALU_DEP_2) | instskip(NEXT) | instid1(VALU_DEP_1)
	v_add_co_u32 v5, s24, v5, v1
	v_add_co_ci_u32_e64 v6, s24, 0, v6, s24
	global_store_b8 v[5:6], v7, off offset:256
.LBB24_109:
	s_or_b32 exec_lo, exec_lo, s25
	v_add_nc_u32_e32 v95, 0x200, v1
	s_delay_alu instid0(VALU_DEP_1) | instskip(NEXT) | instid1(VALU_DEP_1)
	v_cmp_gt_u32_e64 s46, s47, v95
	s_and_saveexec_b32 s25, s46
	s_cbranch_execz .LBB24_111
; %bb.110:
	ds_load_u8 v7, v1 offset:2560
	s_waitcnt lgkmcnt(0)
	v_and_b32_e32 v5, 0xff, v7
	s_delay_alu instid0(VALU_DEP_1) | instskip(NEXT) | instid1(VALU_DEP_1)
	v_lshrrev_b32_e32 v5, s60, v5
	v_and_b32_e32 v5, s68, v5
	s_delay_alu instid0(VALU_DEP_1) | instskip(SKIP_3) | instid1(VALU_DEP_1)
	v_lshlrev_b32_e32 v5, 3, v5
	ds_load_b64 v[5:6], v5
	s_waitcnt lgkmcnt(0)
	v_add_co_u32 v5, s24, s50, v5
	v_add_co_ci_u32_e64 v6, s24, s51, v6, s24
	s_delay_alu instid0(VALU_DEP_2) | instskip(NEXT) | instid1(VALU_DEP_1)
	v_add_co_u32 v5, s24, v5, v1
	v_add_co_ci_u32_e64 v6, s24, 0, v6, s24
	global_store_b8 v[5:6], v7, off offset:512
.LBB24_111:
	;; [unrolled: 24-line block ×3, first 2 shown]
	s_or_b32 exec_lo, exec_lo, s25
	v_or_b32_e32 v93, 0x400, v1
	s_delay_alu instid0(VALU_DEP_1) | instskip(NEXT) | instid1(VALU_DEP_1)
	v_cmp_gt_u32_e64 s43, s47, v93
	s_and_saveexec_b32 s25, s43
	s_cbranch_execz .LBB24_115
; %bb.114:
	ds_load_u8 v7, v1 offset:3072
	s_waitcnt lgkmcnt(0)
	v_and_b32_e32 v5, 0xff, v7
	s_delay_alu instid0(VALU_DEP_1) | instskip(NEXT) | instid1(VALU_DEP_1)
	v_lshrrev_b32_e32 v5, s60, v5
	v_and_b32_e32 v5, s68, v5
	s_delay_alu instid0(VALU_DEP_1) | instskip(SKIP_3) | instid1(VALU_DEP_1)
	v_lshlrev_b32_e32 v5, 3, v5
	ds_load_b64 v[5:6], v5
	s_waitcnt lgkmcnt(0)
	v_add_co_u32 v5, s24, s50, v5
	v_add_co_ci_u32_e64 v6, s24, s51, v6, s24
	s_delay_alu instid0(VALU_DEP_2) | instskip(NEXT) | instid1(VALU_DEP_1)
	v_add_co_u32 v5, s24, v5, v1
	v_add_co_ci_u32_e64 v6, s24, 0, v6, s24
	global_store_b8 v[5:6], v7, off offset:1024
.LBB24_115:
	s_or_b32 exec_lo, exec_lo, s25
	v_add_nc_u32_e32 v92, 0x500, v1
	s_delay_alu instid0(VALU_DEP_1) | instskip(NEXT) | instid1(VALU_DEP_1)
	v_cmp_gt_u32_e64 s42, s47, v92
	s_and_saveexec_b32 s25, s42
	s_cbranch_execz .LBB24_117
; %bb.116:
	ds_load_u8 v7, v1 offset:3328
	s_waitcnt lgkmcnt(0)
	v_and_b32_e32 v5, 0xff, v7
	s_delay_alu instid0(VALU_DEP_1) | instskip(NEXT) | instid1(VALU_DEP_1)
	v_lshrrev_b32_e32 v5, s60, v5
	v_and_b32_e32 v5, s68, v5
	s_delay_alu instid0(VALU_DEP_1) | instskip(SKIP_3) | instid1(VALU_DEP_1)
	v_lshlrev_b32_e32 v5, 3, v5
	ds_load_b64 v[5:6], v5
	s_waitcnt lgkmcnt(0)
	v_add_co_u32 v5, s24, s50, v5
	v_add_co_ci_u32_e64 v6, s24, s51, v6, s24
	s_delay_alu instid0(VALU_DEP_2) | instskip(NEXT) | instid1(VALU_DEP_1)
	v_add_co_u32 v5, s24, v5, v1
	v_add_co_ci_u32_e64 v6, s24, 0, v6, s24
	global_store_b8 v[5:6], v7, off offset:1280
.LBB24_117:
	s_or_b32 exec_lo, exec_lo, s25
	v_add_nc_u32_e32 v91, 0x600, v1
	;; [unrolled: 24-line block ×3, first 2 shown]
	s_delay_alu instid0(VALU_DEP_1) | instskip(NEXT) | instid1(VALU_DEP_1)
	v_cmp_gt_u32_e64 s39, s47, v90
	s_and_saveexec_b32 s25, s39
	s_cbranch_execz .LBB24_121
; %bb.120:
	ds_load_u8 v7, v1 offset:3840
	s_waitcnt lgkmcnt(0)
	v_and_b32_e32 v5, 0xff, v7
	s_delay_alu instid0(VALU_DEP_1) | instskip(NEXT) | instid1(VALU_DEP_1)
	v_lshrrev_b32_e32 v5, s60, v5
	v_and_b32_e32 v5, s68, v5
	s_delay_alu instid0(VALU_DEP_1) | instskip(SKIP_3) | instid1(VALU_DEP_1)
	v_lshlrev_b32_e32 v5, 3, v5
	ds_load_b64 v[5:6], v5
	s_waitcnt lgkmcnt(0)
	v_add_co_u32 v5, s24, s50, v5
	v_add_co_ci_u32_e64 v6, s24, s51, v6, s24
	s_delay_alu instid0(VALU_DEP_2) | instskip(NEXT) | instid1(VALU_DEP_1)
	v_add_co_u32 v5, s24, v5, v1
	v_add_co_ci_u32_e64 v6, s24, 0, v6, s24
	global_store_b8 v[5:6], v7, off offset:1792
.LBB24_121:
	s_or_b32 exec_lo, exec_lo, s25
	v_or_b32_e32 v89, 0x800, v1
	s_delay_alu instid0(VALU_DEP_1) | instskip(NEXT) | instid1(VALU_DEP_1)
	v_cmp_gt_u32_e64 s38, s47, v89
	s_and_saveexec_b32 s25, s38
	s_cbranch_execz .LBB24_123
; %bb.122:
	ds_load_u8 v7, v1 offset:4096
	s_waitcnt lgkmcnt(0)
	v_and_b32_e32 v5, 0xff, v7
	s_delay_alu instid0(VALU_DEP_1) | instskip(NEXT) | instid1(VALU_DEP_1)
	v_lshrrev_b32_e32 v5, s60, v5
	v_and_b32_e32 v5, s68, v5
	s_delay_alu instid0(VALU_DEP_1) | instskip(SKIP_3) | instid1(VALU_DEP_1)
	v_lshlrev_b32_e32 v5, 3, v5
	ds_load_b64 v[5:6], v5
	s_waitcnt lgkmcnt(0)
	v_add_co_u32 v5, s24, s50, v5
	v_add_co_ci_u32_e64 v6, s24, s51, v6, s24
	s_delay_alu instid0(VALU_DEP_2) | instskip(NEXT) | instid1(VALU_DEP_1)
	v_add_co_u32 v5, s24, v5, v1
	v_add_co_ci_u32_e64 v6, s24, 0, v6, s24
	global_store_b8 v[5:6], v7, off offset:2048
.LBB24_123:
	s_or_b32 exec_lo, exec_lo, s25
	v_add_nc_u32_e32 v88, 0x900, v1
	s_delay_alu instid0(VALU_DEP_1) | instskip(NEXT) | instid1(VALU_DEP_1)
	v_cmp_gt_u32_e64 s37, s47, v88
	s_and_saveexec_b32 s25, s37
	s_cbranch_execz .LBB24_125
; %bb.124:
	ds_load_u8 v7, v1 offset:4352
	s_waitcnt lgkmcnt(0)
	v_and_b32_e32 v5, 0xff, v7
	s_delay_alu instid0(VALU_DEP_1) | instskip(NEXT) | instid1(VALU_DEP_1)
	v_lshrrev_b32_e32 v5, s60, v5
	v_and_b32_e32 v5, s68, v5
	s_delay_alu instid0(VALU_DEP_1) | instskip(SKIP_3) | instid1(VALU_DEP_1)
	v_lshlrev_b32_e32 v5, 3, v5
	ds_load_b64 v[5:6], v5
	s_waitcnt lgkmcnt(0)
	v_add_co_u32 v5, s24, s50, v5
	v_add_co_ci_u32_e64 v6, s24, s51, v6, s24
	s_delay_alu instid0(VALU_DEP_2) | instskip(NEXT) | instid1(VALU_DEP_1)
	v_add_co_u32 v5, s24, v5, v1
	v_add_co_ci_u32_e64 v6, s24, 0, v6, s24
	global_store_b8 v[5:6], v7, off offset:2304
.LBB24_125:
	s_or_b32 exec_lo, exec_lo, s25
	v_add_nc_u32_e32 v87, 0xa00, v1
	;; [unrolled: 24-line block ×3, first 2 shown]
	s_delay_alu instid0(VALU_DEP_1) | instskip(NEXT) | instid1(VALU_DEP_1)
	v_cmp_gt_u32_e64 s35, s47, v86
	s_and_saveexec_b32 s25, s35
	s_cbranch_execz .LBB24_129
; %bb.128:
	ds_load_u8 v7, v1 offset:4864
	s_waitcnt lgkmcnt(0)
	v_and_b32_e32 v5, 0xff, v7
	s_delay_alu instid0(VALU_DEP_1) | instskip(NEXT) | instid1(VALU_DEP_1)
	v_lshrrev_b32_e32 v5, s60, v5
	v_and_b32_e32 v5, s68, v5
	s_delay_alu instid0(VALU_DEP_1) | instskip(SKIP_3) | instid1(VALU_DEP_1)
	v_lshlrev_b32_e32 v5, 3, v5
	ds_load_b64 v[5:6], v5
	s_waitcnt lgkmcnt(0)
	v_add_co_u32 v5, s24, s50, v5
	v_add_co_ci_u32_e64 v6, s24, s51, v6, s24
	s_delay_alu instid0(VALU_DEP_2) | instskip(NEXT) | instid1(VALU_DEP_1)
	v_add_co_u32 v5, s24, v5, v1
	v_add_co_ci_u32_e64 v6, s24, 0, v6, s24
	global_store_b8 v[5:6], v7, off offset:2816
.LBB24_129:
	s_or_b32 exec_lo, exec_lo, s25
	v_or_b32_e32 v85, 0xc00, v1
	s_delay_alu instid0(VALU_DEP_1) | instskip(NEXT) | instid1(VALU_DEP_1)
	v_cmp_gt_u32_e64 s34, s47, v85
	s_and_saveexec_b32 s25, s34
	s_cbranch_execz .LBB24_131
; %bb.130:
	ds_load_u8 v7, v1 offset:5120
	s_waitcnt lgkmcnt(0)
	v_and_b32_e32 v5, 0xff, v7
	s_delay_alu instid0(VALU_DEP_1) | instskip(NEXT) | instid1(VALU_DEP_1)
	v_lshrrev_b32_e32 v5, s60, v5
	v_and_b32_e32 v5, s68, v5
	s_delay_alu instid0(VALU_DEP_1) | instskip(SKIP_3) | instid1(VALU_DEP_1)
	v_lshlrev_b32_e32 v5, 3, v5
	ds_load_b64 v[5:6], v5
	s_waitcnt lgkmcnt(0)
	v_add_co_u32 v5, s24, s50, v5
	v_add_co_ci_u32_e64 v6, s24, s51, v6, s24
	s_delay_alu instid0(VALU_DEP_2) | instskip(NEXT) | instid1(VALU_DEP_1)
	v_add_co_u32 v5, s24, v5, v1
	v_add_co_ci_u32_e64 v6, s24, 0, v6, s24
	global_store_b8 v[5:6], v7, off offset:3072
.LBB24_131:
	s_or_b32 exec_lo, exec_lo, s25
	v_add_nc_u32_e32 v84, 0xd00, v1
	s_delay_alu instid0(VALU_DEP_1) | instskip(NEXT) | instid1(VALU_DEP_1)
	v_cmp_gt_u32_e64 s33, s47, v84
	s_and_saveexec_b32 s25, s33
	s_cbranch_execz .LBB24_133
; %bb.132:
	ds_load_u8 v7, v1 offset:5376
	s_waitcnt lgkmcnt(0)
	v_and_b32_e32 v5, 0xff, v7
	s_delay_alu instid0(VALU_DEP_1) | instskip(NEXT) | instid1(VALU_DEP_1)
	v_lshrrev_b32_e32 v5, s60, v5
	v_and_b32_e32 v5, s68, v5
	s_delay_alu instid0(VALU_DEP_1) | instskip(SKIP_3) | instid1(VALU_DEP_1)
	v_lshlrev_b32_e32 v5, 3, v5
	ds_load_b64 v[5:6], v5
	s_waitcnt lgkmcnt(0)
	v_add_co_u32 v5, s24, s50, v5
	v_add_co_ci_u32_e64 v6, s24, s51, v6, s24
	s_delay_alu instid0(VALU_DEP_2) | instskip(NEXT) | instid1(VALU_DEP_1)
	v_add_co_u32 v5, s24, v5, v1
	v_add_co_ci_u32_e64 v6, s24, 0, v6, s24
	global_store_b8 v[5:6], v7, off offset:3328
.LBB24_133:
	s_or_b32 exec_lo, exec_lo, s25
	v_add_nc_u32_e32 v83, 0xe00, v1
	;; [unrolled: 24-line block ×3, first 2 shown]
	s_delay_alu instid0(VALU_DEP_1) | instskip(NEXT) | instid1(VALU_DEP_1)
	v_cmp_gt_u32_e64 s30, s47, v82
	s_and_saveexec_b32 s25, s30
	s_cbranch_execz .LBB24_137
; %bb.136:
	ds_load_u8 v7, v1 offset:5888
	s_waitcnt lgkmcnt(0)
	v_and_b32_e32 v5, 0xff, v7
	s_delay_alu instid0(VALU_DEP_1) | instskip(NEXT) | instid1(VALU_DEP_1)
	v_lshrrev_b32_e32 v5, s60, v5
	v_and_b32_e32 v5, s68, v5
	s_delay_alu instid0(VALU_DEP_1) | instskip(SKIP_3) | instid1(VALU_DEP_1)
	v_lshlrev_b32_e32 v5, 3, v5
	ds_load_b64 v[5:6], v5
	s_waitcnt lgkmcnt(0)
	v_add_co_u32 v5, s24, s50, v5
	v_add_co_ci_u32_e64 v6, s24, s51, v6, s24
	s_delay_alu instid0(VALU_DEP_2) | instskip(NEXT) | instid1(VALU_DEP_1)
	v_add_co_u32 v5, s24, v5, v1
	v_add_co_ci_u32_e64 v6, s24, 0, v6, s24
	global_store_b8 v[5:6], v7, off offset:3840
.LBB24_137:
	s_or_b32 exec_lo, exec_lo, s25
	v_or_b32_e32 v81, 0x1000, v1
	s_delay_alu instid0(VALU_DEP_1) | instskip(NEXT) | instid1(VALU_DEP_1)
	v_cmp_gt_u32_e64 s29, s47, v81
	s_and_saveexec_b32 s25, s29
	s_cbranch_execz .LBB24_139
; %bb.138:
	ds_load_u8 v7, v1 offset:6144
	s_waitcnt lgkmcnt(0)
	v_and_b32_e32 v5, 0xff, v7
	s_delay_alu instid0(VALU_DEP_1) | instskip(NEXT) | instid1(VALU_DEP_1)
	v_lshrrev_b32_e32 v5, s60, v5
	v_and_b32_e32 v5, s68, v5
	s_delay_alu instid0(VALU_DEP_1) | instskip(SKIP_3) | instid1(VALU_DEP_1)
	v_lshlrev_b32_e32 v5, 3, v5
	ds_load_b64 v[5:6], v5
	s_waitcnt lgkmcnt(0)
	v_add_co_u32 v5, s24, s50, v5
	v_add_co_ci_u32_e64 v6, s24, s51, v6, s24
	s_delay_alu instid0(VALU_DEP_2) | instskip(NEXT) | instid1(VALU_DEP_1)
	v_add_co_u32 v5, s24, v5, v81
	v_add_co_ci_u32_e64 v6, s24, 0, v6, s24
	global_store_b8 v[5:6], v7, off
.LBB24_139:
	s_or_b32 exec_lo, exec_lo, s25
	v_add_nc_u32_e32 v80, 0x1100, v1
	s_delay_alu instid0(VALU_DEP_1) | instskip(NEXT) | instid1(VALU_DEP_1)
	v_cmp_gt_u32_e64 s28, s47, v80
	s_and_saveexec_b32 s25, s28
	s_cbranch_execz .LBB24_141
; %bb.140:
	ds_load_u8 v7, v1 offset:6400
	s_waitcnt lgkmcnt(0)
	v_and_b32_e32 v5, 0xff, v7
	s_delay_alu instid0(VALU_DEP_1) | instskip(NEXT) | instid1(VALU_DEP_1)
	v_lshrrev_b32_e32 v5, s60, v5
	v_and_b32_e32 v5, s68, v5
	s_delay_alu instid0(VALU_DEP_1) | instskip(SKIP_3) | instid1(VALU_DEP_1)
	v_lshlrev_b32_e32 v5, 3, v5
	ds_load_b64 v[5:6], v5
	s_waitcnt lgkmcnt(0)
	v_add_co_u32 v5, s24, s50, v5
	v_add_co_ci_u32_e64 v6, s24, s51, v6, s24
	s_delay_alu instid0(VALU_DEP_2) | instskip(NEXT) | instid1(VALU_DEP_1)
	v_add_co_u32 v5, s24, v5, v80
	v_add_co_ci_u32_e64 v6, s24, 0, v6, s24
	global_store_b8 v[5:6], v7, off
.LBB24_141:
	s_or_b32 exec_lo, exec_lo, s25
	v_add_nc_u32_e32 v79, 0x1200, v1
	;; [unrolled: 24-line block ×3, first 2 shown]
	s_delay_alu instid0(VALU_DEP_1) | instskip(NEXT) | instid1(VALU_DEP_1)
	v_cmp_gt_u32_e64 s26, s47, v69
	s_and_saveexec_b32 s25, s26
	s_cbranch_execz .LBB24_145
; %bb.144:
	ds_load_u8 v7, v1 offset:6912
	s_waitcnt lgkmcnt(0)
	v_and_b32_e32 v5, 0xff, v7
	s_delay_alu instid0(VALU_DEP_1) | instskip(NEXT) | instid1(VALU_DEP_1)
	v_lshrrev_b32_e32 v5, s60, v5
	v_and_b32_e32 v5, s68, v5
	s_delay_alu instid0(VALU_DEP_1) | instskip(SKIP_3) | instid1(VALU_DEP_1)
	v_lshlrev_b32_e32 v5, 3, v5
	ds_load_b64 v[5:6], v5
	s_waitcnt lgkmcnt(0)
	v_add_co_u32 v5, s24, s50, v5
	v_add_co_ci_u32_e64 v6, s24, s51, v6, s24
	s_delay_alu instid0(VALU_DEP_2) | instskip(NEXT) | instid1(VALU_DEP_1)
	v_add_co_u32 v5, s24, v5, v69
	v_add_co_ci_u32_e64 v6, s24, 0, v6, s24
	global_store_b8 v[5:6], v7, off
.LBB24_145:
	s_or_b32 exec_lo, exec_lo, s25
	v_or_b32_e32 v68, 0x1400, v1
	s_delay_alu instid0(VALU_DEP_1) | instskip(NEXT) | instid1(VALU_DEP_1)
	v_cmp_gt_u32_e64 s25, s47, v68
	s_and_saveexec_b32 s69, s25
	s_cbranch_execz .LBB24_147
; %bb.146:
	ds_load_u8 v7, v1 offset:7168
	s_waitcnt lgkmcnt(0)
	v_and_b32_e32 v5, 0xff, v7
	s_delay_alu instid0(VALU_DEP_1) | instskip(NEXT) | instid1(VALU_DEP_1)
	v_lshrrev_b32_e32 v5, s60, v5
	v_and_b32_e32 v5, s68, v5
	s_delay_alu instid0(VALU_DEP_1) | instskip(SKIP_3) | instid1(VALU_DEP_1)
	v_lshlrev_b32_e32 v5, 3, v5
	ds_load_b64 v[5:6], v5
	s_waitcnt lgkmcnt(0)
	v_add_co_u32 v5, s24, s50, v5
	v_add_co_ci_u32_e64 v6, s24, s51, v6, s24
	s_delay_alu instid0(VALU_DEP_2) | instskip(NEXT) | instid1(VALU_DEP_1)
	v_add_co_u32 v5, s24, v5, v68
	v_add_co_ci_u32_e64 v6, s24, 0, v6, s24
	global_store_b8 v[5:6], v7, off
.LBB24_147:
	s_or_b32 exec_lo, exec_lo, s69
	v_add_nc_u32_e32 v66, 0x1500, v1
	s_delay_alu instid0(VALU_DEP_1) | instskip(NEXT) | instid1(VALU_DEP_1)
	v_cmp_gt_u32_e64 s24, s47, v66
	s_and_saveexec_b32 s69, s24
	s_cbranch_execz .LBB24_149
; %bb.148:
	ds_load_u8 v7, v1 offset:7424
	s_waitcnt lgkmcnt(0)
	v_and_b32_e32 v5, 0xff, v7
	s_delay_alu instid0(VALU_DEP_1) | instskip(NEXT) | instid1(VALU_DEP_1)
	v_lshrrev_b32_e32 v5, s60, v5
	v_and_b32_e32 v5, s68, v5
	s_delay_alu instid0(VALU_DEP_1) | instskip(SKIP_3) | instid1(VALU_DEP_1)
	v_lshlrev_b32_e32 v5, 3, v5
	ds_load_b64 v[5:6], v5
	s_waitcnt lgkmcnt(0)
	v_add_co_u32 v5, s47, s50, v5
	v_add_co_ci_u32_e64 v6, s47, s51, v6, s47
	s_delay_alu instid0(VALU_DEP_2) | instskip(NEXT) | instid1(VALU_DEP_1)
	v_add_co_u32 v5, s47, v5, v66
	v_add_co_ci_u32_e64 v6, s47, 0, v6, s47
	global_store_b8 v[5:6], v7, off
.LBB24_149:
	s_or_b32 exec_lo, exec_lo, s69
	v_lshlrev_b32_e32 v5, 3, v51
	s_lshl_b64 s[70:71], s[64:65], 3
	v_lshlrev_b32_e32 v6, 3, v10
	s_add_u32 s47, s52, s70
	s_addc_u32 s65, s53, s71
	v_add_co_u32 v5, s47, s47, v5
	s_delay_alu instid0(VALU_DEP_1) | instskip(NEXT) | instid1(VALU_DEP_2)
	v_add_co_ci_u32_e64 v7, null, s65, 0, s47
	v_add_co_u32 v49, s47, v5, v6
	s_delay_alu instid0(VALU_DEP_1) | instskip(SKIP_1) | instid1(SALU_CYCLE_1)
	v_add_co_ci_u32_e64 v50, s47, 0, v7, s47
                                        ; implicit-def: $vgpr5_vgpr6
	s_and_saveexec_b32 s47, vcc_lo
	s_xor_b32 s47, exec_lo, s47
	s_cbranch_execnz .LBB24_283
; %bb.150:
	s_or_b32 exec_lo, exec_lo, s47
                                        ; implicit-def: $vgpr7_vgpr8
	s_and_saveexec_b32 s47, s2
	s_cbranch_execnz .LBB24_284
.LBB24_151:
	s_or_b32 exec_lo, exec_lo, s47
                                        ; implicit-def: $vgpr9_vgpr10
	s_and_saveexec_b32 s2, s3
	s_cbranch_execnz .LBB24_285
.LBB24_152:
	s_or_b32 exec_lo, exec_lo, s2
                                        ; implicit-def: $vgpr11_vgpr12
	s_and_saveexec_b32 s2, s4
	s_cbranch_execnz .LBB24_286
.LBB24_153:
	s_or_b32 exec_lo, exec_lo, s2
                                        ; implicit-def: $vgpr13_vgpr14
	s_and_saveexec_b32 s2, s5
	s_cbranch_execnz .LBB24_287
.LBB24_154:
	s_or_b32 exec_lo, exec_lo, s2
                                        ; implicit-def: $vgpr15_vgpr16
	s_and_saveexec_b32 s2, s6
	s_cbranch_execnz .LBB24_288
.LBB24_155:
	s_or_b32 exec_lo, exec_lo, s2
                                        ; implicit-def: $vgpr17_vgpr18
	s_and_saveexec_b32 s2, s7
	s_cbranch_execnz .LBB24_289
.LBB24_156:
	s_or_b32 exec_lo, exec_lo, s2
                                        ; implicit-def: $vgpr19_vgpr20
	s_and_saveexec_b32 s2, s8
	s_cbranch_execnz .LBB24_290
.LBB24_157:
	s_or_b32 exec_lo, exec_lo, s2
                                        ; implicit-def: $vgpr21_vgpr22
	s_and_saveexec_b32 s2, s9
	s_cbranch_execnz .LBB24_291
.LBB24_158:
	s_or_b32 exec_lo, exec_lo, s2
                                        ; implicit-def: $vgpr23_vgpr24
	s_and_saveexec_b32 s2, s10
	s_cbranch_execnz .LBB24_292
.LBB24_159:
	s_or_b32 exec_lo, exec_lo, s2
                                        ; implicit-def: $vgpr25_vgpr26
	s_and_saveexec_b32 s2, s11
	s_cbranch_execnz .LBB24_293
.LBB24_160:
	s_or_b32 exec_lo, exec_lo, s2
                                        ; implicit-def: $vgpr27_vgpr28
	s_and_saveexec_b32 s2, s12
	s_cbranch_execnz .LBB24_294
.LBB24_161:
	s_or_b32 exec_lo, exec_lo, s2
                                        ; implicit-def: $vgpr29_vgpr30
	s_and_saveexec_b32 s2, s13
	s_cbranch_execnz .LBB24_295
.LBB24_162:
	s_or_b32 exec_lo, exec_lo, s2
                                        ; implicit-def: $vgpr31_vgpr32
	s_and_saveexec_b32 s2, s14
	s_cbranch_execnz .LBB24_296
.LBB24_163:
	s_or_b32 exec_lo, exec_lo, s2
                                        ; implicit-def: $vgpr33_vgpr34
	s_and_saveexec_b32 s2, s16
	s_cbranch_execnz .LBB24_297
.LBB24_164:
	s_or_b32 exec_lo, exec_lo, s2
                                        ; implicit-def: $vgpr35_vgpr36
	s_and_saveexec_b32 s2, s18
	s_cbranch_execnz .LBB24_298
.LBB24_165:
	s_or_b32 exec_lo, exec_lo, s2
                                        ; implicit-def: $vgpr37_vgpr38
	s_and_saveexec_b32 s2, s23
	s_cbranch_execnz .LBB24_299
.LBB24_166:
	s_or_b32 exec_lo, exec_lo, s2
                                        ; implicit-def: $vgpr39_vgpr40
	s_and_saveexec_b32 s2, s21
	s_cbranch_execnz .LBB24_300
.LBB24_167:
	s_or_b32 exec_lo, exec_lo, s2
                                        ; implicit-def: $vgpr41_vgpr42
	s_and_saveexec_b32 s2, s22
	s_cbranch_execnz .LBB24_301
.LBB24_168:
	s_or_b32 exec_lo, exec_lo, s2
                                        ; implicit-def: $vgpr43_vgpr44
	s_and_saveexec_b32 s2, s19
	s_cbranch_execnz .LBB24_302
.LBB24_169:
	s_or_b32 exec_lo, exec_lo, s2
                                        ; implicit-def: $vgpr45_vgpr46
	s_and_saveexec_b32 s2, s20
	s_cbranch_execnz .LBB24_303
.LBB24_170:
	s_or_b32 exec_lo, exec_lo, s2
                                        ; implicit-def: $vgpr47_vgpr48
	s_and_saveexec_b32 s2, s17
	s_cbranch_execnz .LBB24_304
.LBB24_171:
	s_or_b32 exec_lo, exec_lo, s2
                                        ; implicit-def: $vgpr115
	s_and_saveexec_b32 s2, s40
	s_cbranch_execnz .LBB24_305
.LBB24_172:
	s_or_b32 exec_lo, exec_lo, s2
                                        ; implicit-def: $vgpr114
	s_and_saveexec_b32 s2, s45
	s_cbranch_execnz .LBB24_306
.LBB24_173:
	s_or_b32 exec_lo, exec_lo, s2
                                        ; implicit-def: $vgpr113
	s_and_saveexec_b32 s2, s46
	s_cbranch_execnz .LBB24_307
.LBB24_174:
	s_or_b32 exec_lo, exec_lo, s2
                                        ; implicit-def: $vgpr112
	s_and_saveexec_b32 s2, s44
	s_cbranch_execnz .LBB24_308
.LBB24_175:
	s_or_b32 exec_lo, exec_lo, s2
                                        ; implicit-def: $vgpr111
	s_and_saveexec_b32 s2, s43
	s_cbranch_execnz .LBB24_309
.LBB24_176:
	s_or_b32 exec_lo, exec_lo, s2
                                        ; implicit-def: $vgpr110
	s_and_saveexec_b32 s2, s42
	s_cbranch_execnz .LBB24_310
.LBB24_177:
	s_or_b32 exec_lo, exec_lo, s2
                                        ; implicit-def: $vgpr109
	s_and_saveexec_b32 s2, s41
	s_cbranch_execnz .LBB24_311
.LBB24_178:
	s_or_b32 exec_lo, exec_lo, s2
                                        ; implicit-def: $vgpr108
	s_and_saveexec_b32 s2, s39
	s_cbranch_execnz .LBB24_312
.LBB24_179:
	s_or_b32 exec_lo, exec_lo, s2
                                        ; implicit-def: $vgpr107
	s_and_saveexec_b32 s2, s38
	s_cbranch_execnz .LBB24_313
.LBB24_180:
	s_or_b32 exec_lo, exec_lo, s2
                                        ; implicit-def: $vgpr106
	s_and_saveexec_b32 s2, s37
	s_cbranch_execnz .LBB24_314
.LBB24_181:
	s_or_b32 exec_lo, exec_lo, s2
                                        ; implicit-def: $vgpr105
	s_and_saveexec_b32 s2, s36
	s_cbranch_execnz .LBB24_315
.LBB24_182:
	s_or_b32 exec_lo, exec_lo, s2
                                        ; implicit-def: $vgpr104
	s_and_saveexec_b32 s2, s35
	s_cbranch_execnz .LBB24_316
.LBB24_183:
	s_or_b32 exec_lo, exec_lo, s2
                                        ; implicit-def: $vgpr103
	s_and_saveexec_b32 s2, s34
	s_cbranch_execnz .LBB24_317
.LBB24_184:
	s_or_b32 exec_lo, exec_lo, s2
                                        ; implicit-def: $vgpr102
	s_and_saveexec_b32 s2, s33
	s_cbranch_execnz .LBB24_318
.LBB24_185:
	s_or_b32 exec_lo, exec_lo, s2
                                        ; implicit-def: $vgpr101
	s_and_saveexec_b32 s2, s31
	s_cbranch_execnz .LBB24_319
.LBB24_186:
	s_or_b32 exec_lo, exec_lo, s2
                                        ; implicit-def: $vgpr100
	s_and_saveexec_b32 s2, s30
	s_cbranch_execnz .LBB24_320
.LBB24_187:
	s_or_b32 exec_lo, exec_lo, s2
                                        ; implicit-def: $vgpr99
	s_and_saveexec_b32 s2, s29
	s_cbranch_execnz .LBB24_321
.LBB24_188:
	s_or_b32 exec_lo, exec_lo, s2
                                        ; implicit-def: $vgpr98
	s_and_saveexec_b32 s2, s28
	s_cbranch_execnz .LBB24_322
.LBB24_189:
	s_or_b32 exec_lo, exec_lo, s2
                                        ; implicit-def: $vgpr97
	s_and_saveexec_b32 s2, s27
	s_cbranch_execnz .LBB24_323
.LBB24_190:
	s_or_b32 exec_lo, exec_lo, s2
                                        ; implicit-def: $vgpr96
	s_and_saveexec_b32 s2, s26
	s_cbranch_execnz .LBB24_324
.LBB24_191:
	s_or_b32 exec_lo, exec_lo, s2
                                        ; implicit-def: $vgpr50
	s_and_saveexec_b32 s2, s25
	s_cbranch_execnz .LBB24_325
.LBB24_192:
	s_or_b32 exec_lo, exec_lo, s2
                                        ; implicit-def: $vgpr49
	s_and_saveexec_b32 s2, s24
	s_cbranch_execz .LBB24_194
.LBB24_193:
	ds_load_u8 v49, v1 offset:7424
	s_waitcnt lgkmcnt(0)
	v_lshrrev_b32_e32 v49, s60, v49
	s_delay_alu instid0(VALU_DEP_1)
	v_and_b32_e32 v49, s68, v49
.LBB24_194:
	s_or_b32 exec_lo, exec_lo, s2
	v_lshlrev_b32_e32 v78, 3, v78
	v_lshlrev_b32_e32 v77, 3, v77
	s_waitcnt vmcnt(0)
	s_waitcnt_vscnt null, 0x0
	s_barrier
	buffer_gl0_inv
	ds_store_b64 v78, v[5:6] offset:2048
	ds_store_b64 v77, v[7:8] offset:2048
	v_lshlrev_b32_e32 v5, 3, v76
	v_lshlrev_b32_e32 v6, 3, v75
	v_lshlrev_b32_e32 v7, 3, v74
	v_lshlrev_b32_e32 v8, 3, v73
	v_lshlrev_b32_e32 v72, 3, v72
	ds_store_b64 v5, v[9:10] offset:2048
	ds_store_b64 v6, v[11:12] offset:2048
	ds_store_b64 v7, v[13:14] offset:2048
	ds_store_b64 v8, v[15:16] offset:2048
	ds_store_b64 v72, v[17:18] offset:2048
	v_lshlrev_b32_e32 v5, 3, v71
	v_lshlrev_b32_e32 v6, 3, v70
	v_lshlrev_b32_e32 v7, 3, v67
	v_lshlrev_b32_e32 v8, 3, v65
	v_lshlrev_b32_e32 v9, 3, v64
	ds_store_b64 v5, v[19:20] offset:2048
	ds_store_b64 v6, v[21:22] offset:2048
	ds_store_b64 v7, v[23:24] offset:2048
	;; [unrolled: 10-line block ×4, first 2 shown]
	ds_store_b64 v8, v[45:46] offset:2048
	ds_store_b64 v9, v[47:48] offset:2048
	s_waitcnt lgkmcnt(0)
	s_barrier
	buffer_gl0_inv
	s_and_saveexec_b32 s2, s40
	s_cbranch_execnz .LBB24_326
; %bb.195:
	s_or_b32 exec_lo, exec_lo, s2
	s_and_saveexec_b32 s2, s45
	s_cbranch_execnz .LBB24_327
.LBB24_196:
	s_or_b32 exec_lo, exec_lo, s2
	s_and_saveexec_b32 s2, s46
	s_cbranch_execnz .LBB24_328
.LBB24_197:
	s_or_b32 exec_lo, exec_lo, s2
	s_and_saveexec_b32 s2, s44
	s_cbranch_execnz .LBB24_329
.LBB24_198:
	s_or_b32 exec_lo, exec_lo, s2
	s_and_saveexec_b32 s2, s43
	s_cbranch_execnz .LBB24_330
.LBB24_199:
	s_or_b32 exec_lo, exec_lo, s2
	s_and_saveexec_b32 s2, s42
	s_cbranch_execnz .LBB24_331
.LBB24_200:
	s_or_b32 exec_lo, exec_lo, s2
	s_and_saveexec_b32 s2, s41
	s_cbranch_execnz .LBB24_332
.LBB24_201:
	s_or_b32 exec_lo, exec_lo, s2
	s_and_saveexec_b32 s2, s39
	s_cbranch_execnz .LBB24_333
.LBB24_202:
	s_or_b32 exec_lo, exec_lo, s2
	s_and_saveexec_b32 s2, s38
	s_cbranch_execnz .LBB24_334
.LBB24_203:
	s_or_b32 exec_lo, exec_lo, s2
	s_and_saveexec_b32 s2, s37
	s_cbranch_execnz .LBB24_335
.LBB24_204:
	s_or_b32 exec_lo, exec_lo, s2
	s_and_saveexec_b32 s2, s36
	s_cbranch_execnz .LBB24_336
.LBB24_205:
	s_or_b32 exec_lo, exec_lo, s2
	s_and_saveexec_b32 s2, s35
	s_cbranch_execnz .LBB24_337
.LBB24_206:
	s_or_b32 exec_lo, exec_lo, s2
	s_and_saveexec_b32 s2, s34
	s_cbranch_execnz .LBB24_338
.LBB24_207:
	s_or_b32 exec_lo, exec_lo, s2
	s_and_saveexec_b32 s2, s33
	s_cbranch_execnz .LBB24_339
.LBB24_208:
	s_or_b32 exec_lo, exec_lo, s2
	s_and_saveexec_b32 s2, s31
	s_cbranch_execnz .LBB24_340
.LBB24_209:
	s_or_b32 exec_lo, exec_lo, s2
	s_and_saveexec_b32 s2, s30
	s_cbranch_execnz .LBB24_341
.LBB24_210:
	s_or_b32 exec_lo, exec_lo, s2
	s_and_saveexec_b32 s2, s29
	s_cbranch_execnz .LBB24_342
.LBB24_211:
	s_or_b32 exec_lo, exec_lo, s2
	s_and_saveexec_b32 s2, s28
	s_cbranch_execnz .LBB24_343
.LBB24_212:
	s_or_b32 exec_lo, exec_lo, s2
	s_and_saveexec_b32 s2, s27
	s_cbranch_execnz .LBB24_344
.LBB24_213:
	s_or_b32 exec_lo, exec_lo, s2
	s_and_saveexec_b32 s2, s26
	s_cbranch_execnz .LBB24_345
.LBB24_214:
	s_or_b32 exec_lo, exec_lo, s2
	s_and_saveexec_b32 s2, s25
	s_cbranch_execnz .LBB24_346
.LBB24_215:
	s_or_b32 exec_lo, exec_lo, s2
	s_and_saveexec_b32 s2, s24
	s_cbranch_execz .LBB24_217
.LBB24_216:
	v_lshlrev_b32_e32 v5, 3, v49
	v_lshlrev_b32_e32 v7, 3, v1
	;; [unrolled: 1-line block ×3, first 2 shown]
	ds_load_b64 v[5:6], v5
	ds_load_b64 v[7:8], v7 offset:45056
	s_waitcnt lgkmcnt(1)
	v_lshlrev_b64 v[5:6], 3, v[5:6]
	s_delay_alu instid0(VALU_DEP_1) | instskip(NEXT) | instid1(VALU_DEP_2)
	v_add_co_u32 v5, vcc_lo, s54, v5
	v_add_co_ci_u32_e32 v6, vcc_lo, s55, v6, vcc_lo
	s_delay_alu instid0(VALU_DEP_2) | instskip(NEXT) | instid1(VALU_DEP_2)
	v_add_co_u32 v5, vcc_lo, v5, v9
	v_add_co_ci_u32_e32 v6, vcc_lo, 0, v6, vcc_lo
	s_waitcnt lgkmcnt(0)
	global_store_b64 v[5:6], v[7:8], off
.LBB24_217:
	s_or_b32 exec_lo, exec_lo, s2
	s_add_i32 s62, s62, -1
	s_delay_alu instid0(SALU_CYCLE_1)
	s_cmp_eq_u32 s15, s62
	s_cselect_b32 s2, -1, 0
	s_branch .LBB24_280
.LBB24_218:
	s_mov_b32 s2, 0
                                        ; implicit-def: $vgpr53
                                        ; implicit-def: $vgpr3_vgpr4
                                        ; implicit-def: $vgpr52
	s_cbranch_execz .LBB24_280
; %bb.219:
	v_dual_mov_b32 v4, 0 :: v_dual_and_b32 v33, 0xe0, v1
	s_add_u32 s2, s48, s64
	s_addc_u32 s3, s49, 0
	v_add_co_u32 v2, s2, s2, v51
	s_delay_alu instid0(VALU_DEP_2) | instskip(SKIP_2) | instid1(VALU_DEP_2)
	v_mul_u32_u24_e32 v10, 22, v33
	v_add_co_ci_u32_e64 v3, null, s3, 0, s2
	s_mov_b32 s65, 0
	v_add_co_u32 v2, vcc_lo, v2, v10
	s_delay_alu instid0(VALU_DEP_2)
	v_add_co_ci_u32_e32 v3, vcc_lo, 0, v3, vcc_lo
	global_load_u8 v11, v[2:3], off
	s_clause 0x1
	s_load_b32 s3, s[0:1], 0x5c
	s_load_b32 s2, s[0:1], 0x50
	s_add_u32 s0, s0, 0x50
	s_addc_u32 s1, s1, 0
	s_waitcnt lgkmcnt(0)
	s_lshr_b32 s3, s3, 16
	s_cmp_lt_u32 s15, s2
	s_cselect_b32 s4, 12, 18
	s_delay_alu instid0(SALU_CYCLE_1)
	s_add_u32 s0, s0, s4
	s_addc_u32 s1, s1, 0
	global_load_u16 v5, v4, s[0:1]
	s_clause 0x14
	global_load_u8 v19, v[2:3], off offset:32
	global_load_u8 v20, v[2:3], off offset:64
	;; [unrolled: 1-line block ×21, first 2 shown]
	s_lshl_b32 s0, -1, s61
	s_delay_alu instid0(SALU_CYCLE_1) | instskip(SKIP_2) | instid1(VALU_DEP_1)
	s_not_b32 s1, s0
	s_waitcnt vmcnt(22)
	v_and_b32_e32 v2, 0xff, v11
	v_lshrrev_b32_e32 v2, s60, v2
	s_delay_alu instid0(VALU_DEP_1) | instskip(SKIP_2) | instid1(VALU_DEP_3)
	v_and_b32_e32 v6, s1, v2
	v_bfe_u32 v2, v0, 10, 10
	v_bfe_u32 v0, v0, 20, 10
	v_and_b32_e32 v3, 1, v6
	v_lshlrev_b32_e32 v7, 30, v6
	v_lshlrev_b32_e32 v8, 29, v6
	;; [unrolled: 1-line block ×4, first 2 shown]
	v_add_co_u32 v3, s0, v3, -1
	s_delay_alu instid0(VALU_DEP_1)
	v_cndmask_b32_e64 v34, 0, 1, s0
	v_not_b32_e32 v38, v7
	v_cmp_gt_i32_e64 s0, 0, v7
	v_not_b32_e32 v7, v8
	v_lshlrev_b32_e32 v36, 26, v6
	v_cmp_ne_u32_e32 vcc_lo, 0, v34
	v_ashrrev_i32_e32 v38, 31, v38
	v_lshlrev_b32_e32 v37, 25, v6
	v_ashrrev_i32_e32 v7, 31, v7
	v_lshlrev_b32_e32 v34, 24, v6
	v_xor_b32_e32 v3, vcc_lo, v3
	v_cmp_gt_i32_e32 vcc_lo, 0, v8
	v_not_b32_e32 v8, v9
	v_xor_b32_e32 v38, s0, v38
	v_cmp_gt_i32_e64 s0, 0, v9
	v_and_b32_e32 v3, exec_lo, v3
	v_not_b32_e32 v9, v35
	v_ashrrev_i32_e32 v8, 31, v8
	v_xor_b32_e32 v7, vcc_lo, v7
	v_cmp_gt_i32_e32 vcc_lo, 0, v35
	v_and_b32_e32 v3, v3, v38
	v_not_b32_e32 v35, v36
	v_ashrrev_i32_e32 v9, 31, v9
	v_xor_b32_e32 v8, s0, v8
	v_cmp_gt_i32_e64 s0, 0, v36
	v_and_b32_e32 v3, v3, v7
	v_not_b32_e32 v7, v37
	v_ashrrev_i32_e32 v35, 31, v35
	v_xor_b32_e32 v9, vcc_lo, v9
	v_cmp_gt_i32_e32 vcc_lo, 0, v37
	v_and_b32_e32 v3, v3, v8
	v_not_b32_e32 v8, v34
	v_ashrrev_i32_e32 v7, 31, v7
	v_xor_b32_e32 v35, s0, v35
	v_cmp_gt_i32_e64 s0, 0, v34
	v_and_b32_e32 v3, v3, v9
	v_ashrrev_i32_e32 v8, 31, v8
	v_xor_b32_e32 v7, vcc_lo, v7
	v_mad_u32_u24 v0, v0, s3, v2
	v_mul_u32_u24_e32 v9, 9, v1
	v_and_b32_e32 v3, v3, v35
	v_xor_b32_e32 v8, s0, v8
	s_delay_alu instid0(VALU_DEP_3) | instskip(NEXT) | instid1(VALU_DEP_3)
	v_lshlrev_b32_e32 v34, 2, v9
	v_and_b32_e32 v7, v3, v7
	s_waitcnt vmcnt(21)
	v_mad_u64_u32 v[2:3], null, v0, v5, v[1:2]
	ds_store_2addr_b32 v34, v4, v4 offset0:8 offset1:9
	ds_store_2addr_b32 v34, v4, v4 offset0:10 offset1:11
	;; [unrolled: 1-line block ×4, first 2 shown]
	v_and_b32_e32 v3, v7, v8
	ds_store_b32 v34, v4 offset:64
	v_mul_u32_u24_e32 v4, 9, v6
	s_waitcnt vmcnt(0) lgkmcnt(0)
	s_waitcnt_vscnt null, 0x0
	v_lshrrev_b32_e32 v2, 5, v2
	v_mbcnt_lo_u32_b32 v0, v3, 0
	v_cmp_ne_u32_e64 s0, 0, v3
	s_barrier
	buffer_gl0_inv
	v_add_lshl_u32 v35, v2, v4, 2
	v_cmp_eq_u32_e32 vcc_lo, 0, v0
	; wave barrier
	s_and_b32 s3, s0, vcc_lo
	s_delay_alu instid0(SALU_CYCLE_1)
	s_and_saveexec_b32 s0, s3
	s_cbranch_execz .LBB24_221
; %bb.220:
	v_bcnt_u32_b32 v3, v3, 0
	ds_store_b32 v35, v3 offset:32
.LBB24_221:
	s_or_b32 exec_lo, exec_lo, s0
	v_and_b32_e32 v3, 0xff, v19
	; wave barrier
	s_delay_alu instid0(VALU_DEP_1) | instskip(NEXT) | instid1(VALU_DEP_1)
	v_lshrrev_b32_e32 v3, s60, v3
	v_and_b32_e32 v3, s1, v3
	s_delay_alu instid0(VALU_DEP_1)
	v_and_b32_e32 v4, 1, v3
	v_lshlrev_b32_e32 v5, 30, v3
	v_lshlrev_b32_e32 v6, 29, v3
	;; [unrolled: 1-line block ×4, first 2 shown]
	v_add_co_u32 v4, s0, v4, -1
	s_delay_alu instid0(VALU_DEP_1)
	v_cndmask_b32_e64 v8, 0, 1, s0
	v_not_b32_e32 v38, v5
	v_cmp_gt_i32_e64 s0, 0, v5
	v_not_b32_e32 v5, v6
	v_lshlrev_b32_e32 v36, 26, v3
	v_cmp_ne_u32_e32 vcc_lo, 0, v8
	v_ashrrev_i32_e32 v38, 31, v38
	v_lshlrev_b32_e32 v37, 25, v3
	v_ashrrev_i32_e32 v5, 31, v5
	v_lshlrev_b32_e32 v8, 24, v3
	v_xor_b32_e32 v4, vcc_lo, v4
	v_cmp_gt_i32_e32 vcc_lo, 0, v6
	v_not_b32_e32 v6, v7
	v_xor_b32_e32 v38, s0, v38
	v_cmp_gt_i32_e64 s0, 0, v7
	v_and_b32_e32 v4, exec_lo, v4
	v_not_b32_e32 v7, v9
	v_ashrrev_i32_e32 v6, 31, v6
	v_xor_b32_e32 v5, vcc_lo, v5
	v_cmp_gt_i32_e32 vcc_lo, 0, v9
	v_and_b32_e32 v4, v4, v38
	v_not_b32_e32 v9, v36
	v_ashrrev_i32_e32 v7, 31, v7
	v_xor_b32_e32 v6, s0, v6
	v_cmp_gt_i32_e64 s0, 0, v36
	v_and_b32_e32 v4, v4, v5
	v_not_b32_e32 v5, v37
	v_ashrrev_i32_e32 v9, 31, v9
	v_xor_b32_e32 v7, vcc_lo, v7
	v_cmp_gt_i32_e32 vcc_lo, 0, v37
	v_and_b32_e32 v4, v4, v6
	v_not_b32_e32 v6, v8
	v_ashrrev_i32_e32 v5, 31, v5
	v_xor_b32_e32 v9, s0, v9
	v_mul_u32_u24_e32 v3, 9, v3
	v_and_b32_e32 v4, v4, v7
	v_cmp_gt_i32_e64 s0, 0, v8
	v_ashrrev_i32_e32 v6, 31, v6
	v_xor_b32_e32 v5, vcc_lo, v5
	v_add_lshl_u32 v38, v2, v3, 2
	v_and_b32_e32 v4, v4, v9
	s_delay_alu instid0(VALU_DEP_4) | instskip(SKIP_2) | instid1(VALU_DEP_1)
	v_xor_b32_e32 v3, s0, v6
	ds_load_b32 v36, v38 offset:32
	v_and_b32_e32 v4, v4, v5
	; wave barrier
	v_and_b32_e32 v3, v4, v3
	s_delay_alu instid0(VALU_DEP_1) | instskip(SKIP_1) | instid1(VALU_DEP_2)
	v_mbcnt_lo_u32_b32 v37, v3, 0
	v_cmp_ne_u32_e64 s0, 0, v3
	v_cmp_eq_u32_e32 vcc_lo, 0, v37
	s_delay_alu instid0(VALU_DEP_2) | instskip(NEXT) | instid1(SALU_CYCLE_1)
	s_and_b32 s3, s0, vcc_lo
	s_and_saveexec_b32 s0, s3
	s_cbranch_execz .LBB24_223
; %bb.222:
	s_waitcnt lgkmcnt(0)
	v_bcnt_u32_b32 v3, v3, v36
	ds_store_b32 v38, v3 offset:32
.LBB24_223:
	s_or_b32 exec_lo, exec_lo, s0
	v_and_b32_e32 v3, 0xff, v20
	; wave barrier
	s_delay_alu instid0(VALU_DEP_1) | instskip(NEXT) | instid1(VALU_DEP_1)
	v_lshrrev_b32_e32 v3, s60, v3
	v_and_b32_e32 v3, s1, v3
	s_delay_alu instid0(VALU_DEP_1)
	v_and_b32_e32 v4, 1, v3
	v_lshlrev_b32_e32 v5, 30, v3
	v_lshlrev_b32_e32 v6, 29, v3
	;; [unrolled: 1-line block ×4, first 2 shown]
	v_add_co_u32 v4, s0, v4, -1
	s_delay_alu instid0(VALU_DEP_1)
	v_cndmask_b32_e64 v8, 0, 1, s0
	v_not_b32_e32 v41, v5
	v_cmp_gt_i32_e64 s0, 0, v5
	v_not_b32_e32 v5, v6
	v_lshlrev_b32_e32 v39, 26, v3
	v_cmp_ne_u32_e32 vcc_lo, 0, v8
	v_ashrrev_i32_e32 v41, 31, v41
	v_lshlrev_b32_e32 v40, 25, v3
	v_ashrrev_i32_e32 v5, 31, v5
	v_lshlrev_b32_e32 v8, 24, v3
	v_xor_b32_e32 v4, vcc_lo, v4
	v_cmp_gt_i32_e32 vcc_lo, 0, v6
	v_not_b32_e32 v6, v7
	v_xor_b32_e32 v41, s0, v41
	v_cmp_gt_i32_e64 s0, 0, v7
	v_and_b32_e32 v4, exec_lo, v4
	v_not_b32_e32 v7, v9
	v_ashrrev_i32_e32 v6, 31, v6
	v_xor_b32_e32 v5, vcc_lo, v5
	v_cmp_gt_i32_e32 vcc_lo, 0, v9
	v_and_b32_e32 v4, v4, v41
	v_not_b32_e32 v9, v39
	v_ashrrev_i32_e32 v7, 31, v7
	v_xor_b32_e32 v6, s0, v6
	v_cmp_gt_i32_e64 s0, 0, v39
	v_and_b32_e32 v4, v4, v5
	v_not_b32_e32 v5, v40
	v_ashrrev_i32_e32 v9, 31, v9
	v_xor_b32_e32 v7, vcc_lo, v7
	v_cmp_gt_i32_e32 vcc_lo, 0, v40
	v_and_b32_e32 v4, v4, v6
	v_not_b32_e32 v6, v8
	v_ashrrev_i32_e32 v5, 31, v5
	v_xor_b32_e32 v9, s0, v9
	v_mul_u32_u24_e32 v3, 9, v3
	v_and_b32_e32 v4, v4, v7
	v_cmp_gt_i32_e64 s0, 0, v8
	v_ashrrev_i32_e32 v6, 31, v6
	v_xor_b32_e32 v5, vcc_lo, v5
	v_add_lshl_u32 v41, v2, v3, 2
	v_and_b32_e32 v4, v4, v9
	s_delay_alu instid0(VALU_DEP_4) | instskip(SKIP_2) | instid1(VALU_DEP_1)
	v_xor_b32_e32 v3, s0, v6
	ds_load_b32 v39, v41 offset:32
	v_and_b32_e32 v4, v4, v5
	; wave barrier
	v_and_b32_e32 v3, v4, v3
	s_delay_alu instid0(VALU_DEP_1) | instskip(SKIP_1) | instid1(VALU_DEP_2)
	v_mbcnt_lo_u32_b32 v40, v3, 0
	v_cmp_ne_u32_e64 s0, 0, v3
	v_cmp_eq_u32_e32 vcc_lo, 0, v40
	s_delay_alu instid0(VALU_DEP_2) | instskip(NEXT) | instid1(SALU_CYCLE_1)
	s_and_b32 s3, s0, vcc_lo
	s_and_saveexec_b32 s0, s3
	s_cbranch_execz .LBB24_225
; %bb.224:
	s_waitcnt lgkmcnt(0)
	v_bcnt_u32_b32 v3, v3, v39
	ds_store_b32 v41, v3 offset:32
.LBB24_225:
	s_or_b32 exec_lo, exec_lo, s0
	v_and_b32_e32 v3, 0xff, v21
	; wave barrier
	s_delay_alu instid0(VALU_DEP_1) | instskip(NEXT) | instid1(VALU_DEP_1)
	v_lshrrev_b32_e32 v3, s60, v3
	v_and_b32_e32 v3, s1, v3
	s_delay_alu instid0(VALU_DEP_1)
	v_and_b32_e32 v4, 1, v3
	v_lshlrev_b32_e32 v5, 30, v3
	v_lshlrev_b32_e32 v6, 29, v3
	;; [unrolled: 1-line block ×4, first 2 shown]
	v_add_co_u32 v4, s0, v4, -1
	s_delay_alu instid0(VALU_DEP_1)
	v_cndmask_b32_e64 v8, 0, 1, s0
	v_not_b32_e32 v44, v5
	v_cmp_gt_i32_e64 s0, 0, v5
	v_not_b32_e32 v5, v6
	v_lshlrev_b32_e32 v42, 26, v3
	v_cmp_ne_u32_e32 vcc_lo, 0, v8
	v_ashrrev_i32_e32 v44, 31, v44
	v_lshlrev_b32_e32 v43, 25, v3
	v_ashrrev_i32_e32 v5, 31, v5
	v_lshlrev_b32_e32 v8, 24, v3
	v_xor_b32_e32 v4, vcc_lo, v4
	v_cmp_gt_i32_e32 vcc_lo, 0, v6
	v_not_b32_e32 v6, v7
	v_xor_b32_e32 v44, s0, v44
	v_cmp_gt_i32_e64 s0, 0, v7
	v_and_b32_e32 v4, exec_lo, v4
	v_not_b32_e32 v7, v9
	v_ashrrev_i32_e32 v6, 31, v6
	v_xor_b32_e32 v5, vcc_lo, v5
	v_cmp_gt_i32_e32 vcc_lo, 0, v9
	v_and_b32_e32 v4, v4, v44
	v_not_b32_e32 v9, v42
	v_ashrrev_i32_e32 v7, 31, v7
	v_xor_b32_e32 v6, s0, v6
	v_cmp_gt_i32_e64 s0, 0, v42
	v_and_b32_e32 v4, v4, v5
	v_not_b32_e32 v5, v43
	v_ashrrev_i32_e32 v9, 31, v9
	v_xor_b32_e32 v7, vcc_lo, v7
	v_cmp_gt_i32_e32 vcc_lo, 0, v43
	v_and_b32_e32 v4, v4, v6
	v_not_b32_e32 v6, v8
	v_ashrrev_i32_e32 v5, 31, v5
	v_xor_b32_e32 v9, s0, v9
	v_mul_u32_u24_e32 v3, 9, v3
	v_and_b32_e32 v4, v4, v7
	v_cmp_gt_i32_e64 s0, 0, v8
	v_ashrrev_i32_e32 v6, 31, v6
	v_xor_b32_e32 v5, vcc_lo, v5
	v_add_lshl_u32 v44, v2, v3, 2
	v_and_b32_e32 v4, v4, v9
	s_delay_alu instid0(VALU_DEP_4) | instskip(SKIP_2) | instid1(VALU_DEP_1)
	v_xor_b32_e32 v3, s0, v6
	ds_load_b32 v42, v44 offset:32
	v_and_b32_e32 v4, v4, v5
	; wave barrier
	v_and_b32_e32 v3, v4, v3
	s_delay_alu instid0(VALU_DEP_1) | instskip(SKIP_1) | instid1(VALU_DEP_2)
	v_mbcnt_lo_u32_b32 v43, v3, 0
	v_cmp_ne_u32_e64 s0, 0, v3
	v_cmp_eq_u32_e32 vcc_lo, 0, v43
	s_delay_alu instid0(VALU_DEP_2) | instskip(NEXT) | instid1(SALU_CYCLE_1)
	s_and_b32 s3, s0, vcc_lo
	s_and_saveexec_b32 s0, s3
	s_cbranch_execz .LBB24_227
; %bb.226:
	s_waitcnt lgkmcnt(0)
	v_bcnt_u32_b32 v3, v3, v42
	ds_store_b32 v44, v3 offset:32
.LBB24_227:
	s_or_b32 exec_lo, exec_lo, s0
	v_and_b32_e32 v3, 0xff, v22
	; wave barrier
	s_delay_alu instid0(VALU_DEP_1) | instskip(NEXT) | instid1(VALU_DEP_1)
	v_lshrrev_b32_e32 v3, s60, v3
	v_and_b32_e32 v3, s1, v3
	s_delay_alu instid0(VALU_DEP_1)
	v_and_b32_e32 v4, 1, v3
	v_lshlrev_b32_e32 v5, 30, v3
	v_lshlrev_b32_e32 v6, 29, v3
	;; [unrolled: 1-line block ×4, first 2 shown]
	v_add_co_u32 v4, s0, v4, -1
	s_delay_alu instid0(VALU_DEP_1)
	v_cndmask_b32_e64 v8, 0, 1, s0
	v_not_b32_e32 v47, v5
	v_cmp_gt_i32_e64 s0, 0, v5
	v_not_b32_e32 v5, v6
	v_lshlrev_b32_e32 v45, 26, v3
	v_cmp_ne_u32_e32 vcc_lo, 0, v8
	v_ashrrev_i32_e32 v47, 31, v47
	v_lshlrev_b32_e32 v46, 25, v3
	v_ashrrev_i32_e32 v5, 31, v5
	v_lshlrev_b32_e32 v8, 24, v3
	v_xor_b32_e32 v4, vcc_lo, v4
	v_cmp_gt_i32_e32 vcc_lo, 0, v6
	v_not_b32_e32 v6, v7
	v_xor_b32_e32 v47, s0, v47
	v_cmp_gt_i32_e64 s0, 0, v7
	v_and_b32_e32 v4, exec_lo, v4
	v_not_b32_e32 v7, v9
	v_ashrrev_i32_e32 v6, 31, v6
	v_xor_b32_e32 v5, vcc_lo, v5
	v_cmp_gt_i32_e32 vcc_lo, 0, v9
	v_and_b32_e32 v4, v4, v47
	v_not_b32_e32 v9, v45
	v_ashrrev_i32_e32 v7, 31, v7
	v_xor_b32_e32 v6, s0, v6
	v_cmp_gt_i32_e64 s0, 0, v45
	v_and_b32_e32 v4, v4, v5
	v_not_b32_e32 v5, v46
	v_ashrrev_i32_e32 v9, 31, v9
	v_xor_b32_e32 v7, vcc_lo, v7
	v_cmp_gt_i32_e32 vcc_lo, 0, v46
	v_and_b32_e32 v4, v4, v6
	v_not_b32_e32 v6, v8
	v_ashrrev_i32_e32 v5, 31, v5
	v_xor_b32_e32 v9, s0, v9
	v_mul_u32_u24_e32 v3, 9, v3
	v_and_b32_e32 v4, v4, v7
	v_cmp_gt_i32_e64 s0, 0, v8
	v_ashrrev_i32_e32 v6, 31, v6
	v_xor_b32_e32 v5, vcc_lo, v5
	v_add_lshl_u32 v47, v2, v3, 2
	v_and_b32_e32 v4, v4, v9
	s_delay_alu instid0(VALU_DEP_4) | instskip(SKIP_2) | instid1(VALU_DEP_1)
	v_xor_b32_e32 v3, s0, v6
	ds_load_b32 v45, v47 offset:32
	v_and_b32_e32 v4, v4, v5
	; wave barrier
	v_and_b32_e32 v3, v4, v3
	s_delay_alu instid0(VALU_DEP_1) | instskip(SKIP_1) | instid1(VALU_DEP_2)
	v_mbcnt_lo_u32_b32 v46, v3, 0
	v_cmp_ne_u32_e64 s0, 0, v3
	v_cmp_eq_u32_e32 vcc_lo, 0, v46
	s_delay_alu instid0(VALU_DEP_2) | instskip(NEXT) | instid1(SALU_CYCLE_1)
	s_and_b32 s3, s0, vcc_lo
	s_and_saveexec_b32 s0, s3
	s_cbranch_execz .LBB24_229
; %bb.228:
	s_waitcnt lgkmcnt(0)
	v_bcnt_u32_b32 v3, v3, v45
	ds_store_b32 v47, v3 offset:32
.LBB24_229:
	s_or_b32 exec_lo, exec_lo, s0
	v_and_b32_e32 v3, 0xff, v23
	; wave barrier
	s_delay_alu instid0(VALU_DEP_1) | instskip(NEXT) | instid1(VALU_DEP_1)
	v_lshrrev_b32_e32 v3, s60, v3
	v_and_b32_e32 v3, s1, v3
	s_delay_alu instid0(VALU_DEP_1)
	v_and_b32_e32 v4, 1, v3
	v_lshlrev_b32_e32 v5, 30, v3
	v_lshlrev_b32_e32 v6, 29, v3
	;; [unrolled: 1-line block ×4, first 2 shown]
	v_add_co_u32 v4, s0, v4, -1
	s_delay_alu instid0(VALU_DEP_1)
	v_cndmask_b32_e64 v8, 0, 1, s0
	v_not_b32_e32 v50, v5
	v_cmp_gt_i32_e64 s0, 0, v5
	v_not_b32_e32 v5, v6
	v_lshlrev_b32_e32 v48, 26, v3
	v_cmp_ne_u32_e32 vcc_lo, 0, v8
	v_ashrrev_i32_e32 v50, 31, v50
	v_lshlrev_b32_e32 v49, 25, v3
	v_ashrrev_i32_e32 v5, 31, v5
	v_lshlrev_b32_e32 v8, 24, v3
	v_xor_b32_e32 v4, vcc_lo, v4
	v_cmp_gt_i32_e32 vcc_lo, 0, v6
	v_not_b32_e32 v6, v7
	v_xor_b32_e32 v50, s0, v50
	v_cmp_gt_i32_e64 s0, 0, v7
	v_and_b32_e32 v4, exec_lo, v4
	v_not_b32_e32 v7, v9
	v_ashrrev_i32_e32 v6, 31, v6
	v_xor_b32_e32 v5, vcc_lo, v5
	v_cmp_gt_i32_e32 vcc_lo, 0, v9
	v_and_b32_e32 v4, v4, v50
	v_not_b32_e32 v9, v48
	v_ashrrev_i32_e32 v7, 31, v7
	v_xor_b32_e32 v6, s0, v6
	v_cmp_gt_i32_e64 s0, 0, v48
	v_and_b32_e32 v4, v4, v5
	v_not_b32_e32 v5, v49
	v_ashrrev_i32_e32 v9, 31, v9
	v_xor_b32_e32 v7, vcc_lo, v7
	v_cmp_gt_i32_e32 vcc_lo, 0, v49
	v_and_b32_e32 v4, v4, v6
	v_not_b32_e32 v6, v8
	v_ashrrev_i32_e32 v5, 31, v5
	v_xor_b32_e32 v9, s0, v9
	v_mul_u32_u24_e32 v3, 9, v3
	v_and_b32_e32 v4, v4, v7
	v_cmp_gt_i32_e64 s0, 0, v8
	v_ashrrev_i32_e32 v6, 31, v6
	v_xor_b32_e32 v5, vcc_lo, v5
	v_add_lshl_u32 v50, v2, v3, 2
	v_and_b32_e32 v4, v4, v9
	s_delay_alu instid0(VALU_DEP_4) | instskip(SKIP_2) | instid1(VALU_DEP_1)
	v_xor_b32_e32 v3, s0, v6
	ds_load_b32 v48, v50 offset:32
	v_and_b32_e32 v4, v4, v5
	; wave barrier
	v_and_b32_e32 v3, v4, v3
	s_delay_alu instid0(VALU_DEP_1) | instskip(SKIP_1) | instid1(VALU_DEP_2)
	v_mbcnt_lo_u32_b32 v49, v3, 0
	v_cmp_ne_u32_e64 s0, 0, v3
	v_cmp_eq_u32_e32 vcc_lo, 0, v49
	s_delay_alu instid0(VALU_DEP_2) | instskip(NEXT) | instid1(SALU_CYCLE_1)
	s_and_b32 s3, s0, vcc_lo
	s_and_saveexec_b32 s0, s3
	s_cbranch_execz .LBB24_231
; %bb.230:
	s_waitcnt lgkmcnt(0)
	v_bcnt_u32_b32 v3, v3, v48
	ds_store_b32 v50, v3 offset:32
.LBB24_231:
	s_or_b32 exec_lo, exec_lo, s0
	v_and_b32_e32 v3, 0xff, v24
	; wave barrier
	s_delay_alu instid0(VALU_DEP_1) | instskip(NEXT) | instid1(VALU_DEP_1)
	v_lshrrev_b32_e32 v3, s60, v3
	v_and_b32_e32 v3, s1, v3
	s_delay_alu instid0(VALU_DEP_1)
	v_and_b32_e32 v4, 1, v3
	v_lshlrev_b32_e32 v5, 30, v3
	v_lshlrev_b32_e32 v6, 29, v3
	;; [unrolled: 1-line block ×4, first 2 shown]
	v_add_co_u32 v4, s0, v4, -1
	s_delay_alu instid0(VALU_DEP_1)
	v_cndmask_b32_e64 v8, 0, 1, s0
	v_not_b32_e32 v54, v5
	v_cmp_gt_i32_e64 s0, 0, v5
	v_not_b32_e32 v5, v6
	v_lshlrev_b32_e32 v52, 26, v3
	v_cmp_ne_u32_e32 vcc_lo, 0, v8
	v_ashrrev_i32_e32 v54, 31, v54
	v_lshlrev_b32_e32 v53, 25, v3
	v_ashrrev_i32_e32 v5, 31, v5
	v_lshlrev_b32_e32 v8, 24, v3
	v_xor_b32_e32 v4, vcc_lo, v4
	v_cmp_gt_i32_e32 vcc_lo, 0, v6
	v_not_b32_e32 v6, v7
	v_xor_b32_e32 v54, s0, v54
	v_cmp_gt_i32_e64 s0, 0, v7
	v_and_b32_e32 v4, exec_lo, v4
	v_not_b32_e32 v7, v9
	v_ashrrev_i32_e32 v6, 31, v6
	v_xor_b32_e32 v5, vcc_lo, v5
	v_cmp_gt_i32_e32 vcc_lo, 0, v9
	v_and_b32_e32 v4, v4, v54
	v_not_b32_e32 v9, v52
	v_ashrrev_i32_e32 v7, 31, v7
	v_xor_b32_e32 v6, s0, v6
	v_cmp_gt_i32_e64 s0, 0, v52
	v_and_b32_e32 v4, v4, v5
	v_not_b32_e32 v5, v53
	v_ashrrev_i32_e32 v9, 31, v9
	v_xor_b32_e32 v7, vcc_lo, v7
	v_cmp_gt_i32_e32 vcc_lo, 0, v53
	v_and_b32_e32 v4, v4, v6
	v_not_b32_e32 v6, v8
	v_ashrrev_i32_e32 v5, 31, v5
	v_xor_b32_e32 v9, s0, v9
	v_mul_u32_u24_e32 v3, 9, v3
	v_and_b32_e32 v4, v4, v7
	v_cmp_gt_i32_e64 s0, 0, v8
	v_ashrrev_i32_e32 v6, 31, v6
	v_xor_b32_e32 v5, vcc_lo, v5
	v_add_lshl_u32 v54, v2, v3, 2
	v_and_b32_e32 v4, v4, v9
	s_delay_alu instid0(VALU_DEP_4) | instskip(SKIP_2) | instid1(VALU_DEP_1)
	v_xor_b32_e32 v3, s0, v6
	ds_load_b32 v52, v54 offset:32
	v_and_b32_e32 v4, v4, v5
	; wave barrier
	v_and_b32_e32 v3, v4, v3
	s_delay_alu instid0(VALU_DEP_1) | instskip(SKIP_1) | instid1(VALU_DEP_2)
	v_mbcnt_lo_u32_b32 v53, v3, 0
	v_cmp_ne_u32_e64 s0, 0, v3
	v_cmp_eq_u32_e32 vcc_lo, 0, v53
	s_delay_alu instid0(VALU_DEP_2) | instskip(NEXT) | instid1(SALU_CYCLE_1)
	s_and_b32 s3, s0, vcc_lo
	s_and_saveexec_b32 s0, s3
	s_cbranch_execz .LBB24_233
; %bb.232:
	s_waitcnt lgkmcnt(0)
	v_bcnt_u32_b32 v3, v3, v52
	ds_store_b32 v54, v3 offset:32
.LBB24_233:
	s_or_b32 exec_lo, exec_lo, s0
	v_and_b32_e32 v3, 0xff, v25
	; wave barrier
	s_delay_alu instid0(VALU_DEP_1) | instskip(NEXT) | instid1(VALU_DEP_1)
	v_lshrrev_b32_e32 v3, s60, v3
	v_and_b32_e32 v3, s1, v3
	s_delay_alu instid0(VALU_DEP_1)
	v_and_b32_e32 v4, 1, v3
	v_lshlrev_b32_e32 v5, 30, v3
	v_lshlrev_b32_e32 v6, 29, v3
	;; [unrolled: 1-line block ×4, first 2 shown]
	v_add_co_u32 v4, s0, v4, -1
	s_delay_alu instid0(VALU_DEP_1)
	v_cndmask_b32_e64 v8, 0, 1, s0
	v_not_b32_e32 v57, v5
	v_cmp_gt_i32_e64 s0, 0, v5
	v_not_b32_e32 v5, v6
	v_lshlrev_b32_e32 v55, 26, v3
	v_cmp_ne_u32_e32 vcc_lo, 0, v8
	v_ashrrev_i32_e32 v57, 31, v57
	v_lshlrev_b32_e32 v56, 25, v3
	v_ashrrev_i32_e32 v5, 31, v5
	v_lshlrev_b32_e32 v8, 24, v3
	v_xor_b32_e32 v4, vcc_lo, v4
	v_cmp_gt_i32_e32 vcc_lo, 0, v6
	v_not_b32_e32 v6, v7
	v_xor_b32_e32 v57, s0, v57
	v_cmp_gt_i32_e64 s0, 0, v7
	v_and_b32_e32 v4, exec_lo, v4
	v_not_b32_e32 v7, v9
	v_ashrrev_i32_e32 v6, 31, v6
	v_xor_b32_e32 v5, vcc_lo, v5
	v_cmp_gt_i32_e32 vcc_lo, 0, v9
	v_and_b32_e32 v4, v4, v57
	v_not_b32_e32 v9, v55
	v_ashrrev_i32_e32 v7, 31, v7
	v_xor_b32_e32 v6, s0, v6
	v_cmp_gt_i32_e64 s0, 0, v55
	v_and_b32_e32 v4, v4, v5
	v_not_b32_e32 v5, v56
	v_ashrrev_i32_e32 v9, 31, v9
	v_xor_b32_e32 v7, vcc_lo, v7
	v_cmp_gt_i32_e32 vcc_lo, 0, v56
	v_and_b32_e32 v4, v4, v6
	v_not_b32_e32 v6, v8
	v_ashrrev_i32_e32 v5, 31, v5
	v_xor_b32_e32 v9, s0, v9
	v_mul_u32_u24_e32 v3, 9, v3
	v_and_b32_e32 v4, v4, v7
	v_cmp_gt_i32_e64 s0, 0, v8
	v_ashrrev_i32_e32 v6, 31, v6
	v_xor_b32_e32 v5, vcc_lo, v5
	v_add_lshl_u32 v57, v2, v3, 2
	v_and_b32_e32 v4, v4, v9
	s_delay_alu instid0(VALU_DEP_4) | instskip(SKIP_2) | instid1(VALU_DEP_1)
	v_xor_b32_e32 v3, s0, v6
	ds_load_b32 v55, v57 offset:32
	v_and_b32_e32 v4, v4, v5
	; wave barrier
	v_and_b32_e32 v3, v4, v3
	s_delay_alu instid0(VALU_DEP_1) | instskip(SKIP_1) | instid1(VALU_DEP_2)
	v_mbcnt_lo_u32_b32 v56, v3, 0
	v_cmp_ne_u32_e64 s0, 0, v3
	v_cmp_eq_u32_e32 vcc_lo, 0, v56
	s_delay_alu instid0(VALU_DEP_2) | instskip(NEXT) | instid1(SALU_CYCLE_1)
	s_and_b32 s3, s0, vcc_lo
	s_and_saveexec_b32 s0, s3
	s_cbranch_execz .LBB24_235
; %bb.234:
	s_waitcnt lgkmcnt(0)
	v_bcnt_u32_b32 v3, v3, v55
	ds_store_b32 v57, v3 offset:32
.LBB24_235:
	s_or_b32 exec_lo, exec_lo, s0
	v_and_b32_e32 v3, 0xff, v26
	; wave barrier
	s_delay_alu instid0(VALU_DEP_1) | instskip(NEXT) | instid1(VALU_DEP_1)
	v_lshrrev_b32_e32 v3, s60, v3
	v_and_b32_e32 v3, s1, v3
	s_delay_alu instid0(VALU_DEP_1)
	v_and_b32_e32 v4, 1, v3
	v_lshlrev_b32_e32 v5, 30, v3
	v_lshlrev_b32_e32 v6, 29, v3
	;; [unrolled: 1-line block ×4, first 2 shown]
	v_add_co_u32 v4, s0, v4, -1
	s_delay_alu instid0(VALU_DEP_1)
	v_cndmask_b32_e64 v8, 0, 1, s0
	v_not_b32_e32 v60, v5
	v_cmp_gt_i32_e64 s0, 0, v5
	v_not_b32_e32 v5, v6
	v_lshlrev_b32_e32 v58, 26, v3
	v_cmp_ne_u32_e32 vcc_lo, 0, v8
	v_ashrrev_i32_e32 v60, 31, v60
	v_lshlrev_b32_e32 v59, 25, v3
	v_ashrrev_i32_e32 v5, 31, v5
	v_lshlrev_b32_e32 v8, 24, v3
	v_xor_b32_e32 v4, vcc_lo, v4
	v_cmp_gt_i32_e32 vcc_lo, 0, v6
	v_not_b32_e32 v6, v7
	v_xor_b32_e32 v60, s0, v60
	v_cmp_gt_i32_e64 s0, 0, v7
	v_and_b32_e32 v4, exec_lo, v4
	v_not_b32_e32 v7, v9
	v_ashrrev_i32_e32 v6, 31, v6
	v_xor_b32_e32 v5, vcc_lo, v5
	v_cmp_gt_i32_e32 vcc_lo, 0, v9
	v_and_b32_e32 v4, v4, v60
	v_not_b32_e32 v9, v58
	v_ashrrev_i32_e32 v7, 31, v7
	v_xor_b32_e32 v6, s0, v6
	v_cmp_gt_i32_e64 s0, 0, v58
	v_and_b32_e32 v4, v4, v5
	v_not_b32_e32 v5, v59
	v_ashrrev_i32_e32 v9, 31, v9
	v_xor_b32_e32 v7, vcc_lo, v7
	v_cmp_gt_i32_e32 vcc_lo, 0, v59
	v_and_b32_e32 v4, v4, v6
	v_not_b32_e32 v6, v8
	v_ashrrev_i32_e32 v5, 31, v5
	v_xor_b32_e32 v9, s0, v9
	v_mul_u32_u24_e32 v3, 9, v3
	v_and_b32_e32 v4, v4, v7
	v_cmp_gt_i32_e64 s0, 0, v8
	v_ashrrev_i32_e32 v6, 31, v6
	v_xor_b32_e32 v5, vcc_lo, v5
	v_add_lshl_u32 v60, v2, v3, 2
	v_and_b32_e32 v4, v4, v9
	s_delay_alu instid0(VALU_DEP_4) | instskip(SKIP_2) | instid1(VALU_DEP_1)
	v_xor_b32_e32 v3, s0, v6
	ds_load_b32 v58, v60 offset:32
	v_and_b32_e32 v4, v4, v5
	; wave barrier
	v_and_b32_e32 v3, v4, v3
	s_delay_alu instid0(VALU_DEP_1) | instskip(SKIP_1) | instid1(VALU_DEP_2)
	v_mbcnt_lo_u32_b32 v59, v3, 0
	v_cmp_ne_u32_e64 s0, 0, v3
	v_cmp_eq_u32_e32 vcc_lo, 0, v59
	s_delay_alu instid0(VALU_DEP_2) | instskip(NEXT) | instid1(SALU_CYCLE_1)
	s_and_b32 s3, s0, vcc_lo
	s_and_saveexec_b32 s0, s3
	s_cbranch_execz .LBB24_237
; %bb.236:
	s_waitcnt lgkmcnt(0)
	v_bcnt_u32_b32 v3, v3, v58
	ds_store_b32 v60, v3 offset:32
.LBB24_237:
	s_or_b32 exec_lo, exec_lo, s0
	v_and_b32_e32 v3, 0xff, v27
	; wave barrier
	s_delay_alu instid0(VALU_DEP_1) | instskip(NEXT) | instid1(VALU_DEP_1)
	v_lshrrev_b32_e32 v3, s60, v3
	v_and_b32_e32 v3, s1, v3
	s_delay_alu instid0(VALU_DEP_1)
	v_and_b32_e32 v4, 1, v3
	v_lshlrev_b32_e32 v5, 30, v3
	v_lshlrev_b32_e32 v6, 29, v3
	;; [unrolled: 1-line block ×4, first 2 shown]
	v_add_co_u32 v4, s0, v4, -1
	s_delay_alu instid0(VALU_DEP_1)
	v_cndmask_b32_e64 v8, 0, 1, s0
	v_not_b32_e32 v63, v5
	v_cmp_gt_i32_e64 s0, 0, v5
	v_not_b32_e32 v5, v6
	v_lshlrev_b32_e32 v61, 26, v3
	v_cmp_ne_u32_e32 vcc_lo, 0, v8
	v_ashrrev_i32_e32 v63, 31, v63
	v_lshlrev_b32_e32 v62, 25, v3
	v_ashrrev_i32_e32 v5, 31, v5
	v_lshlrev_b32_e32 v8, 24, v3
	v_xor_b32_e32 v4, vcc_lo, v4
	v_cmp_gt_i32_e32 vcc_lo, 0, v6
	v_not_b32_e32 v6, v7
	v_xor_b32_e32 v63, s0, v63
	v_cmp_gt_i32_e64 s0, 0, v7
	v_and_b32_e32 v4, exec_lo, v4
	v_not_b32_e32 v7, v9
	v_ashrrev_i32_e32 v6, 31, v6
	v_xor_b32_e32 v5, vcc_lo, v5
	v_cmp_gt_i32_e32 vcc_lo, 0, v9
	v_and_b32_e32 v4, v4, v63
	v_not_b32_e32 v9, v61
	v_ashrrev_i32_e32 v7, 31, v7
	v_xor_b32_e32 v6, s0, v6
	v_cmp_gt_i32_e64 s0, 0, v61
	v_and_b32_e32 v4, v4, v5
	v_not_b32_e32 v5, v62
	v_ashrrev_i32_e32 v9, 31, v9
	v_xor_b32_e32 v7, vcc_lo, v7
	v_cmp_gt_i32_e32 vcc_lo, 0, v62
	v_and_b32_e32 v4, v4, v6
	v_not_b32_e32 v6, v8
	v_ashrrev_i32_e32 v5, 31, v5
	v_xor_b32_e32 v9, s0, v9
	v_mul_u32_u24_e32 v3, 9, v3
	v_and_b32_e32 v4, v4, v7
	v_cmp_gt_i32_e64 s0, 0, v8
	v_ashrrev_i32_e32 v6, 31, v6
	v_xor_b32_e32 v5, vcc_lo, v5
	v_add_lshl_u32 v63, v2, v3, 2
	v_and_b32_e32 v4, v4, v9
	s_delay_alu instid0(VALU_DEP_4) | instskip(SKIP_2) | instid1(VALU_DEP_1)
	v_xor_b32_e32 v3, s0, v6
	ds_load_b32 v61, v63 offset:32
	v_and_b32_e32 v4, v4, v5
	; wave barrier
	v_and_b32_e32 v3, v4, v3
	s_delay_alu instid0(VALU_DEP_1) | instskip(SKIP_1) | instid1(VALU_DEP_2)
	v_mbcnt_lo_u32_b32 v62, v3, 0
	v_cmp_ne_u32_e64 s0, 0, v3
	v_cmp_eq_u32_e32 vcc_lo, 0, v62
	s_delay_alu instid0(VALU_DEP_2) | instskip(NEXT) | instid1(SALU_CYCLE_1)
	s_and_b32 s3, s0, vcc_lo
	s_and_saveexec_b32 s0, s3
	s_cbranch_execz .LBB24_239
; %bb.238:
	s_waitcnt lgkmcnt(0)
	v_bcnt_u32_b32 v3, v3, v61
	ds_store_b32 v63, v3 offset:32
.LBB24_239:
	s_or_b32 exec_lo, exec_lo, s0
	v_and_b32_e32 v3, 0xff, v28
	; wave barrier
	s_delay_alu instid0(VALU_DEP_1) | instskip(NEXT) | instid1(VALU_DEP_1)
	v_lshrrev_b32_e32 v3, s60, v3
	v_and_b32_e32 v3, s1, v3
	s_delay_alu instid0(VALU_DEP_1)
	v_and_b32_e32 v4, 1, v3
	v_lshlrev_b32_e32 v5, 30, v3
	v_lshlrev_b32_e32 v6, 29, v3
	;; [unrolled: 1-line block ×4, first 2 shown]
	v_add_co_u32 v4, s0, v4, -1
	s_delay_alu instid0(VALU_DEP_1)
	v_cndmask_b32_e64 v8, 0, 1, s0
	v_not_b32_e32 v66, v5
	v_cmp_gt_i32_e64 s0, 0, v5
	v_not_b32_e32 v5, v6
	v_lshlrev_b32_e32 v64, 26, v3
	v_cmp_ne_u32_e32 vcc_lo, 0, v8
	v_ashrrev_i32_e32 v66, 31, v66
	v_lshlrev_b32_e32 v65, 25, v3
	v_ashrrev_i32_e32 v5, 31, v5
	v_lshlrev_b32_e32 v8, 24, v3
	v_xor_b32_e32 v4, vcc_lo, v4
	v_cmp_gt_i32_e32 vcc_lo, 0, v6
	v_not_b32_e32 v6, v7
	v_xor_b32_e32 v66, s0, v66
	v_cmp_gt_i32_e64 s0, 0, v7
	v_and_b32_e32 v4, exec_lo, v4
	v_not_b32_e32 v7, v9
	v_ashrrev_i32_e32 v6, 31, v6
	v_xor_b32_e32 v5, vcc_lo, v5
	v_cmp_gt_i32_e32 vcc_lo, 0, v9
	v_and_b32_e32 v4, v4, v66
	v_not_b32_e32 v9, v64
	v_ashrrev_i32_e32 v7, 31, v7
	v_xor_b32_e32 v6, s0, v6
	v_cmp_gt_i32_e64 s0, 0, v64
	v_and_b32_e32 v4, v4, v5
	v_not_b32_e32 v5, v65
	v_ashrrev_i32_e32 v9, 31, v9
	v_xor_b32_e32 v7, vcc_lo, v7
	v_cmp_gt_i32_e32 vcc_lo, 0, v65
	v_and_b32_e32 v4, v4, v6
	v_not_b32_e32 v6, v8
	v_ashrrev_i32_e32 v5, 31, v5
	v_xor_b32_e32 v9, s0, v9
	v_mul_u32_u24_e32 v3, 9, v3
	v_and_b32_e32 v4, v4, v7
	v_cmp_gt_i32_e64 s0, 0, v8
	v_ashrrev_i32_e32 v6, 31, v6
	v_xor_b32_e32 v5, vcc_lo, v5
	v_add_lshl_u32 v66, v2, v3, 2
	v_and_b32_e32 v4, v4, v9
	s_delay_alu instid0(VALU_DEP_4) | instskip(SKIP_2) | instid1(VALU_DEP_1)
	v_xor_b32_e32 v3, s0, v6
	ds_load_b32 v64, v66 offset:32
	v_and_b32_e32 v4, v4, v5
	; wave barrier
	v_and_b32_e32 v3, v4, v3
	s_delay_alu instid0(VALU_DEP_1) | instskip(SKIP_1) | instid1(VALU_DEP_2)
	v_mbcnt_lo_u32_b32 v65, v3, 0
	v_cmp_ne_u32_e64 s0, 0, v3
	v_cmp_eq_u32_e32 vcc_lo, 0, v65
	s_delay_alu instid0(VALU_DEP_2) | instskip(NEXT) | instid1(SALU_CYCLE_1)
	s_and_b32 s3, s0, vcc_lo
	s_and_saveexec_b32 s0, s3
	s_cbranch_execz .LBB24_241
; %bb.240:
	s_waitcnt lgkmcnt(0)
	v_bcnt_u32_b32 v3, v3, v64
	ds_store_b32 v66, v3 offset:32
.LBB24_241:
	s_or_b32 exec_lo, exec_lo, s0
	v_and_b32_e32 v3, 0xff, v29
	; wave barrier
	s_delay_alu instid0(VALU_DEP_1) | instskip(NEXT) | instid1(VALU_DEP_1)
	v_lshrrev_b32_e32 v3, s60, v3
	v_and_b32_e32 v3, s1, v3
	s_delay_alu instid0(VALU_DEP_1)
	v_and_b32_e32 v4, 1, v3
	v_lshlrev_b32_e32 v5, 30, v3
	v_lshlrev_b32_e32 v6, 29, v3
	;; [unrolled: 1-line block ×4, first 2 shown]
	v_add_co_u32 v4, s0, v4, -1
	s_delay_alu instid0(VALU_DEP_1)
	v_cndmask_b32_e64 v8, 0, 1, s0
	v_not_b32_e32 v69, v5
	v_cmp_gt_i32_e64 s0, 0, v5
	v_not_b32_e32 v5, v6
	v_lshlrev_b32_e32 v67, 26, v3
	v_cmp_ne_u32_e32 vcc_lo, 0, v8
	v_ashrrev_i32_e32 v69, 31, v69
	v_lshlrev_b32_e32 v68, 25, v3
	v_ashrrev_i32_e32 v5, 31, v5
	v_lshlrev_b32_e32 v8, 24, v3
	v_xor_b32_e32 v4, vcc_lo, v4
	v_cmp_gt_i32_e32 vcc_lo, 0, v6
	v_not_b32_e32 v6, v7
	v_xor_b32_e32 v69, s0, v69
	v_cmp_gt_i32_e64 s0, 0, v7
	v_and_b32_e32 v4, exec_lo, v4
	v_not_b32_e32 v7, v9
	v_ashrrev_i32_e32 v6, 31, v6
	v_xor_b32_e32 v5, vcc_lo, v5
	v_cmp_gt_i32_e32 vcc_lo, 0, v9
	v_and_b32_e32 v4, v4, v69
	v_not_b32_e32 v9, v67
	v_ashrrev_i32_e32 v7, 31, v7
	v_xor_b32_e32 v6, s0, v6
	v_cmp_gt_i32_e64 s0, 0, v67
	v_and_b32_e32 v4, v4, v5
	v_not_b32_e32 v5, v68
	v_ashrrev_i32_e32 v9, 31, v9
	v_xor_b32_e32 v7, vcc_lo, v7
	v_cmp_gt_i32_e32 vcc_lo, 0, v68
	v_and_b32_e32 v4, v4, v6
	v_not_b32_e32 v6, v8
	v_ashrrev_i32_e32 v5, 31, v5
	v_xor_b32_e32 v9, s0, v9
	v_mul_u32_u24_e32 v3, 9, v3
	v_and_b32_e32 v4, v4, v7
	v_cmp_gt_i32_e64 s0, 0, v8
	v_ashrrev_i32_e32 v6, 31, v6
	v_xor_b32_e32 v5, vcc_lo, v5
	v_add_lshl_u32 v69, v2, v3, 2
	v_and_b32_e32 v4, v4, v9
	s_delay_alu instid0(VALU_DEP_4) | instskip(SKIP_2) | instid1(VALU_DEP_1)
	v_xor_b32_e32 v3, s0, v6
	ds_load_b32 v67, v69 offset:32
	v_and_b32_e32 v4, v4, v5
	; wave barrier
	v_and_b32_e32 v3, v4, v3
	s_delay_alu instid0(VALU_DEP_1) | instskip(SKIP_1) | instid1(VALU_DEP_2)
	v_mbcnt_lo_u32_b32 v68, v3, 0
	v_cmp_ne_u32_e64 s0, 0, v3
	v_cmp_eq_u32_e32 vcc_lo, 0, v68
	s_delay_alu instid0(VALU_DEP_2) | instskip(NEXT) | instid1(SALU_CYCLE_1)
	s_and_b32 s3, s0, vcc_lo
	s_and_saveexec_b32 s0, s3
	s_cbranch_execz .LBB24_243
; %bb.242:
	s_waitcnt lgkmcnt(0)
	v_bcnt_u32_b32 v3, v3, v67
	ds_store_b32 v69, v3 offset:32
.LBB24_243:
	s_or_b32 exec_lo, exec_lo, s0
	v_and_b32_e32 v3, 0xff, v30
	; wave barrier
	s_delay_alu instid0(VALU_DEP_1) | instskip(NEXT) | instid1(VALU_DEP_1)
	v_lshrrev_b32_e32 v3, s60, v3
	v_and_b32_e32 v3, s1, v3
	s_delay_alu instid0(VALU_DEP_1)
	v_and_b32_e32 v4, 1, v3
	v_lshlrev_b32_e32 v5, 30, v3
	v_lshlrev_b32_e32 v6, 29, v3
	v_lshlrev_b32_e32 v7, 28, v3
	v_lshlrev_b32_e32 v9, 27, v3
	v_add_co_u32 v4, s0, v4, -1
	s_delay_alu instid0(VALU_DEP_1)
	v_cndmask_b32_e64 v8, 0, 1, s0
	v_not_b32_e32 v72, v5
	v_cmp_gt_i32_e64 s0, 0, v5
	v_not_b32_e32 v5, v6
	v_lshlrev_b32_e32 v70, 26, v3
	v_cmp_ne_u32_e32 vcc_lo, 0, v8
	v_ashrrev_i32_e32 v72, 31, v72
	v_lshlrev_b32_e32 v71, 25, v3
	v_ashrrev_i32_e32 v5, 31, v5
	v_lshlrev_b32_e32 v8, 24, v3
	v_xor_b32_e32 v4, vcc_lo, v4
	v_cmp_gt_i32_e32 vcc_lo, 0, v6
	v_not_b32_e32 v6, v7
	v_xor_b32_e32 v72, s0, v72
	v_cmp_gt_i32_e64 s0, 0, v7
	v_and_b32_e32 v4, exec_lo, v4
	v_not_b32_e32 v7, v9
	v_ashrrev_i32_e32 v6, 31, v6
	v_xor_b32_e32 v5, vcc_lo, v5
	v_cmp_gt_i32_e32 vcc_lo, 0, v9
	v_and_b32_e32 v4, v4, v72
	v_not_b32_e32 v9, v70
	v_ashrrev_i32_e32 v7, 31, v7
	v_xor_b32_e32 v6, s0, v6
	v_cmp_gt_i32_e64 s0, 0, v70
	v_and_b32_e32 v4, v4, v5
	v_not_b32_e32 v5, v71
	v_ashrrev_i32_e32 v9, 31, v9
	v_xor_b32_e32 v7, vcc_lo, v7
	v_cmp_gt_i32_e32 vcc_lo, 0, v71
	v_and_b32_e32 v4, v4, v6
	v_not_b32_e32 v6, v8
	v_ashrrev_i32_e32 v5, 31, v5
	v_xor_b32_e32 v9, s0, v9
	v_mul_u32_u24_e32 v3, 9, v3
	v_and_b32_e32 v4, v4, v7
	v_cmp_gt_i32_e64 s0, 0, v8
	v_ashrrev_i32_e32 v6, 31, v6
	v_xor_b32_e32 v5, vcc_lo, v5
	v_add_lshl_u32 v72, v2, v3, 2
	v_and_b32_e32 v4, v4, v9
	s_delay_alu instid0(VALU_DEP_4) | instskip(SKIP_2) | instid1(VALU_DEP_1)
	v_xor_b32_e32 v3, s0, v6
	ds_load_b32 v70, v72 offset:32
	v_and_b32_e32 v4, v4, v5
	; wave barrier
	v_and_b32_e32 v3, v4, v3
	s_delay_alu instid0(VALU_DEP_1) | instskip(SKIP_1) | instid1(VALU_DEP_2)
	v_mbcnt_lo_u32_b32 v71, v3, 0
	v_cmp_ne_u32_e64 s0, 0, v3
	v_cmp_eq_u32_e32 vcc_lo, 0, v71
	s_delay_alu instid0(VALU_DEP_2) | instskip(NEXT) | instid1(SALU_CYCLE_1)
	s_and_b32 s3, s0, vcc_lo
	s_and_saveexec_b32 s0, s3
	s_cbranch_execz .LBB24_245
; %bb.244:
	s_waitcnt lgkmcnt(0)
	v_bcnt_u32_b32 v3, v3, v70
	ds_store_b32 v72, v3 offset:32
.LBB24_245:
	s_or_b32 exec_lo, exec_lo, s0
	v_and_b32_e32 v3, 0xff, v31
	; wave barrier
	s_delay_alu instid0(VALU_DEP_1) | instskip(NEXT) | instid1(VALU_DEP_1)
	v_lshrrev_b32_e32 v3, s60, v3
	v_and_b32_e32 v3, s1, v3
	s_delay_alu instid0(VALU_DEP_1)
	v_and_b32_e32 v4, 1, v3
	v_lshlrev_b32_e32 v5, 30, v3
	v_lshlrev_b32_e32 v6, 29, v3
	;; [unrolled: 1-line block ×4, first 2 shown]
	v_add_co_u32 v4, s0, v4, -1
	s_delay_alu instid0(VALU_DEP_1)
	v_cndmask_b32_e64 v8, 0, 1, s0
	v_not_b32_e32 v75, v5
	v_cmp_gt_i32_e64 s0, 0, v5
	v_not_b32_e32 v5, v6
	v_lshlrev_b32_e32 v73, 26, v3
	v_cmp_ne_u32_e32 vcc_lo, 0, v8
	v_ashrrev_i32_e32 v75, 31, v75
	v_lshlrev_b32_e32 v74, 25, v3
	v_ashrrev_i32_e32 v5, 31, v5
	v_lshlrev_b32_e32 v8, 24, v3
	v_xor_b32_e32 v4, vcc_lo, v4
	v_cmp_gt_i32_e32 vcc_lo, 0, v6
	v_not_b32_e32 v6, v7
	v_xor_b32_e32 v75, s0, v75
	v_cmp_gt_i32_e64 s0, 0, v7
	v_and_b32_e32 v4, exec_lo, v4
	v_not_b32_e32 v7, v9
	v_ashrrev_i32_e32 v6, 31, v6
	v_xor_b32_e32 v5, vcc_lo, v5
	v_cmp_gt_i32_e32 vcc_lo, 0, v9
	v_and_b32_e32 v4, v4, v75
	v_not_b32_e32 v9, v73
	v_ashrrev_i32_e32 v7, 31, v7
	v_xor_b32_e32 v6, s0, v6
	v_cmp_gt_i32_e64 s0, 0, v73
	v_and_b32_e32 v4, v4, v5
	v_not_b32_e32 v5, v74
	v_ashrrev_i32_e32 v9, 31, v9
	v_xor_b32_e32 v7, vcc_lo, v7
	v_cmp_gt_i32_e32 vcc_lo, 0, v74
	v_and_b32_e32 v4, v4, v6
	v_not_b32_e32 v6, v8
	v_ashrrev_i32_e32 v5, 31, v5
	v_xor_b32_e32 v9, s0, v9
	v_mul_u32_u24_e32 v3, 9, v3
	v_and_b32_e32 v4, v4, v7
	v_cmp_gt_i32_e64 s0, 0, v8
	v_ashrrev_i32_e32 v6, 31, v6
	v_xor_b32_e32 v5, vcc_lo, v5
	v_add_lshl_u32 v75, v2, v3, 2
	v_and_b32_e32 v4, v4, v9
	s_delay_alu instid0(VALU_DEP_4) | instskip(SKIP_2) | instid1(VALU_DEP_1)
	v_xor_b32_e32 v3, s0, v6
	ds_load_b32 v73, v75 offset:32
	v_and_b32_e32 v4, v4, v5
	; wave barrier
	v_and_b32_e32 v3, v4, v3
	s_delay_alu instid0(VALU_DEP_1) | instskip(SKIP_1) | instid1(VALU_DEP_2)
	v_mbcnt_lo_u32_b32 v74, v3, 0
	v_cmp_ne_u32_e64 s0, 0, v3
	v_cmp_eq_u32_e32 vcc_lo, 0, v74
	s_delay_alu instid0(VALU_DEP_2) | instskip(NEXT) | instid1(SALU_CYCLE_1)
	s_and_b32 s3, s0, vcc_lo
	s_and_saveexec_b32 s0, s3
	s_cbranch_execz .LBB24_247
; %bb.246:
	s_waitcnt lgkmcnt(0)
	v_bcnt_u32_b32 v3, v3, v73
	ds_store_b32 v75, v3 offset:32
.LBB24_247:
	s_or_b32 exec_lo, exec_lo, s0
	v_and_b32_e32 v3, 0xff, v32
	; wave barrier
	s_delay_alu instid0(VALU_DEP_1) | instskip(NEXT) | instid1(VALU_DEP_1)
	v_lshrrev_b32_e32 v3, s60, v3
	v_and_b32_e32 v3, s1, v3
	s_delay_alu instid0(VALU_DEP_1)
	v_and_b32_e32 v4, 1, v3
	v_lshlrev_b32_e32 v5, 30, v3
	v_lshlrev_b32_e32 v6, 29, v3
	;; [unrolled: 1-line block ×4, first 2 shown]
	v_add_co_u32 v4, s0, v4, -1
	s_delay_alu instid0(VALU_DEP_1)
	v_cndmask_b32_e64 v8, 0, 1, s0
	v_not_b32_e32 v78, v5
	v_cmp_gt_i32_e64 s0, 0, v5
	v_not_b32_e32 v5, v6
	v_lshlrev_b32_e32 v76, 26, v3
	v_cmp_ne_u32_e32 vcc_lo, 0, v8
	v_ashrrev_i32_e32 v78, 31, v78
	v_lshlrev_b32_e32 v77, 25, v3
	v_ashrrev_i32_e32 v5, 31, v5
	v_lshlrev_b32_e32 v8, 24, v3
	v_xor_b32_e32 v4, vcc_lo, v4
	v_cmp_gt_i32_e32 vcc_lo, 0, v6
	v_not_b32_e32 v6, v7
	v_xor_b32_e32 v78, s0, v78
	v_cmp_gt_i32_e64 s0, 0, v7
	v_and_b32_e32 v4, exec_lo, v4
	v_not_b32_e32 v7, v9
	v_ashrrev_i32_e32 v6, 31, v6
	v_xor_b32_e32 v5, vcc_lo, v5
	v_cmp_gt_i32_e32 vcc_lo, 0, v9
	v_and_b32_e32 v4, v4, v78
	v_not_b32_e32 v9, v76
	v_ashrrev_i32_e32 v7, 31, v7
	v_xor_b32_e32 v6, s0, v6
	v_cmp_gt_i32_e64 s0, 0, v76
	v_and_b32_e32 v4, v4, v5
	v_not_b32_e32 v5, v77
	v_ashrrev_i32_e32 v9, 31, v9
	v_xor_b32_e32 v7, vcc_lo, v7
	v_cmp_gt_i32_e32 vcc_lo, 0, v77
	v_and_b32_e32 v4, v4, v6
	v_not_b32_e32 v6, v8
	v_ashrrev_i32_e32 v5, 31, v5
	v_xor_b32_e32 v9, s0, v9
	v_mul_u32_u24_e32 v3, 9, v3
	v_and_b32_e32 v4, v4, v7
	v_cmp_gt_i32_e64 s0, 0, v8
	v_ashrrev_i32_e32 v6, 31, v6
	v_xor_b32_e32 v5, vcc_lo, v5
	v_add_lshl_u32 v78, v2, v3, 2
	v_and_b32_e32 v4, v4, v9
	s_delay_alu instid0(VALU_DEP_4) | instskip(SKIP_2) | instid1(VALU_DEP_1)
	v_xor_b32_e32 v3, s0, v6
	ds_load_b32 v76, v78 offset:32
	v_and_b32_e32 v4, v4, v5
	; wave barrier
	v_and_b32_e32 v3, v4, v3
	s_delay_alu instid0(VALU_DEP_1) | instskip(SKIP_1) | instid1(VALU_DEP_2)
	v_mbcnt_lo_u32_b32 v77, v3, 0
	v_cmp_ne_u32_e64 s0, 0, v3
	v_cmp_eq_u32_e32 vcc_lo, 0, v77
	s_delay_alu instid0(VALU_DEP_2) | instskip(NEXT) | instid1(SALU_CYCLE_1)
	s_and_b32 s3, s0, vcc_lo
	s_and_saveexec_b32 s0, s3
	s_cbranch_execz .LBB24_249
; %bb.248:
	s_waitcnt lgkmcnt(0)
	v_bcnt_u32_b32 v3, v3, v76
	ds_store_b32 v78, v3 offset:32
.LBB24_249:
	s_or_b32 exec_lo, exec_lo, s0
	v_and_b32_e32 v3, 0xff, v15
	; wave barrier
	s_delay_alu instid0(VALU_DEP_1) | instskip(NEXT) | instid1(VALU_DEP_1)
	v_lshrrev_b32_e32 v3, s60, v3
	v_and_b32_e32 v3, s1, v3
	s_delay_alu instid0(VALU_DEP_1)
	v_and_b32_e32 v4, 1, v3
	v_lshlrev_b32_e32 v5, 30, v3
	v_lshlrev_b32_e32 v6, 29, v3
	;; [unrolled: 1-line block ×4, first 2 shown]
	v_add_co_u32 v4, s0, v4, -1
	s_delay_alu instid0(VALU_DEP_1)
	v_cndmask_b32_e64 v8, 0, 1, s0
	v_not_b32_e32 v81, v5
	v_cmp_gt_i32_e64 s0, 0, v5
	v_not_b32_e32 v5, v6
	v_lshlrev_b32_e32 v79, 26, v3
	v_cmp_ne_u32_e32 vcc_lo, 0, v8
	v_ashrrev_i32_e32 v81, 31, v81
	v_lshlrev_b32_e32 v80, 25, v3
	v_ashrrev_i32_e32 v5, 31, v5
	v_lshlrev_b32_e32 v8, 24, v3
	v_xor_b32_e32 v4, vcc_lo, v4
	v_cmp_gt_i32_e32 vcc_lo, 0, v6
	v_not_b32_e32 v6, v7
	v_xor_b32_e32 v81, s0, v81
	v_cmp_gt_i32_e64 s0, 0, v7
	v_and_b32_e32 v4, exec_lo, v4
	v_not_b32_e32 v7, v9
	v_ashrrev_i32_e32 v6, 31, v6
	v_xor_b32_e32 v5, vcc_lo, v5
	v_cmp_gt_i32_e32 vcc_lo, 0, v9
	v_and_b32_e32 v4, v4, v81
	v_not_b32_e32 v9, v79
	v_ashrrev_i32_e32 v7, 31, v7
	v_xor_b32_e32 v6, s0, v6
	v_cmp_gt_i32_e64 s0, 0, v79
	v_and_b32_e32 v4, v4, v5
	v_not_b32_e32 v5, v80
	v_ashrrev_i32_e32 v9, 31, v9
	v_xor_b32_e32 v7, vcc_lo, v7
	v_cmp_gt_i32_e32 vcc_lo, 0, v80
	v_and_b32_e32 v4, v4, v6
	v_not_b32_e32 v6, v8
	v_ashrrev_i32_e32 v5, 31, v5
	v_xor_b32_e32 v9, s0, v9
	v_mul_u32_u24_e32 v3, 9, v3
	v_and_b32_e32 v4, v4, v7
	v_cmp_gt_i32_e64 s0, 0, v8
	v_ashrrev_i32_e32 v6, 31, v6
	v_xor_b32_e32 v5, vcc_lo, v5
	v_add_lshl_u32 v81, v2, v3, 2
	v_and_b32_e32 v4, v4, v9
	s_delay_alu instid0(VALU_DEP_4) | instskip(SKIP_2) | instid1(VALU_DEP_1)
	v_xor_b32_e32 v3, s0, v6
	ds_load_b32 v79, v81 offset:32
	v_and_b32_e32 v4, v4, v5
	; wave barrier
	v_and_b32_e32 v3, v4, v3
	s_delay_alu instid0(VALU_DEP_1) | instskip(SKIP_1) | instid1(VALU_DEP_2)
	v_mbcnt_lo_u32_b32 v80, v3, 0
	v_cmp_ne_u32_e64 s0, 0, v3
	v_cmp_eq_u32_e32 vcc_lo, 0, v80
	s_delay_alu instid0(VALU_DEP_2) | instskip(NEXT) | instid1(SALU_CYCLE_1)
	s_and_b32 s3, s0, vcc_lo
	s_and_saveexec_b32 s0, s3
	s_cbranch_execz .LBB24_251
; %bb.250:
	s_waitcnt lgkmcnt(0)
	v_bcnt_u32_b32 v3, v3, v79
	ds_store_b32 v81, v3 offset:32
.LBB24_251:
	s_or_b32 exec_lo, exec_lo, s0
	v_and_b32_e32 v3, 0xff, v16
	; wave barrier
	s_delay_alu instid0(VALU_DEP_1) | instskip(NEXT) | instid1(VALU_DEP_1)
	v_lshrrev_b32_e32 v3, s60, v3
	v_and_b32_e32 v3, s1, v3
	s_delay_alu instid0(VALU_DEP_1)
	v_and_b32_e32 v4, 1, v3
	v_lshlrev_b32_e32 v5, 30, v3
	v_lshlrev_b32_e32 v6, 29, v3
	;; [unrolled: 1-line block ×4, first 2 shown]
	v_add_co_u32 v4, s0, v4, -1
	s_delay_alu instid0(VALU_DEP_1)
	v_cndmask_b32_e64 v8, 0, 1, s0
	v_not_b32_e32 v84, v5
	v_cmp_gt_i32_e64 s0, 0, v5
	v_not_b32_e32 v5, v6
	v_lshlrev_b32_e32 v82, 26, v3
	v_cmp_ne_u32_e32 vcc_lo, 0, v8
	v_ashrrev_i32_e32 v84, 31, v84
	v_lshlrev_b32_e32 v83, 25, v3
	v_ashrrev_i32_e32 v5, 31, v5
	v_lshlrev_b32_e32 v8, 24, v3
	v_xor_b32_e32 v4, vcc_lo, v4
	v_cmp_gt_i32_e32 vcc_lo, 0, v6
	v_not_b32_e32 v6, v7
	v_xor_b32_e32 v84, s0, v84
	v_cmp_gt_i32_e64 s0, 0, v7
	v_and_b32_e32 v4, exec_lo, v4
	v_not_b32_e32 v7, v9
	v_ashrrev_i32_e32 v6, 31, v6
	v_xor_b32_e32 v5, vcc_lo, v5
	v_cmp_gt_i32_e32 vcc_lo, 0, v9
	v_and_b32_e32 v4, v4, v84
	v_not_b32_e32 v9, v82
	v_ashrrev_i32_e32 v7, 31, v7
	v_xor_b32_e32 v6, s0, v6
	v_cmp_gt_i32_e64 s0, 0, v82
	v_and_b32_e32 v4, v4, v5
	v_not_b32_e32 v5, v83
	v_ashrrev_i32_e32 v9, 31, v9
	v_xor_b32_e32 v7, vcc_lo, v7
	v_cmp_gt_i32_e32 vcc_lo, 0, v83
	v_and_b32_e32 v4, v4, v6
	v_not_b32_e32 v6, v8
	v_ashrrev_i32_e32 v5, 31, v5
	v_xor_b32_e32 v9, s0, v9
	v_mul_u32_u24_e32 v3, 9, v3
	v_and_b32_e32 v4, v4, v7
	v_cmp_gt_i32_e64 s0, 0, v8
	v_ashrrev_i32_e32 v6, 31, v6
	v_xor_b32_e32 v5, vcc_lo, v5
	v_add_lshl_u32 v84, v2, v3, 2
	v_and_b32_e32 v4, v4, v9
	s_delay_alu instid0(VALU_DEP_4) | instskip(SKIP_2) | instid1(VALU_DEP_1)
	v_xor_b32_e32 v3, s0, v6
	ds_load_b32 v82, v84 offset:32
	v_and_b32_e32 v4, v4, v5
	; wave barrier
	v_and_b32_e32 v3, v4, v3
	s_delay_alu instid0(VALU_DEP_1) | instskip(SKIP_1) | instid1(VALU_DEP_2)
	v_mbcnt_lo_u32_b32 v83, v3, 0
	v_cmp_ne_u32_e64 s0, 0, v3
	v_cmp_eq_u32_e32 vcc_lo, 0, v83
	s_delay_alu instid0(VALU_DEP_2) | instskip(NEXT) | instid1(SALU_CYCLE_1)
	s_and_b32 s3, s0, vcc_lo
	s_and_saveexec_b32 s0, s3
	s_cbranch_execz .LBB24_253
; %bb.252:
	s_waitcnt lgkmcnt(0)
	v_bcnt_u32_b32 v3, v3, v82
	ds_store_b32 v84, v3 offset:32
.LBB24_253:
	s_or_b32 exec_lo, exec_lo, s0
	v_and_b32_e32 v3, 0xff, v17
	; wave barrier
	s_delay_alu instid0(VALU_DEP_1) | instskip(NEXT) | instid1(VALU_DEP_1)
	v_lshrrev_b32_e32 v3, s60, v3
	v_and_b32_e32 v3, s1, v3
	s_delay_alu instid0(VALU_DEP_1)
	v_and_b32_e32 v4, 1, v3
	v_lshlrev_b32_e32 v5, 30, v3
	v_lshlrev_b32_e32 v6, 29, v3
	;; [unrolled: 1-line block ×4, first 2 shown]
	v_add_co_u32 v4, s0, v4, -1
	s_delay_alu instid0(VALU_DEP_1)
	v_cndmask_b32_e64 v8, 0, 1, s0
	v_not_b32_e32 v87, v5
	v_cmp_gt_i32_e64 s0, 0, v5
	v_not_b32_e32 v5, v6
	v_lshlrev_b32_e32 v85, 26, v3
	v_cmp_ne_u32_e32 vcc_lo, 0, v8
	v_ashrrev_i32_e32 v87, 31, v87
	v_lshlrev_b32_e32 v86, 25, v3
	v_ashrrev_i32_e32 v5, 31, v5
	v_lshlrev_b32_e32 v8, 24, v3
	v_xor_b32_e32 v4, vcc_lo, v4
	v_cmp_gt_i32_e32 vcc_lo, 0, v6
	v_not_b32_e32 v6, v7
	v_xor_b32_e32 v87, s0, v87
	v_cmp_gt_i32_e64 s0, 0, v7
	v_and_b32_e32 v4, exec_lo, v4
	v_not_b32_e32 v7, v9
	v_ashrrev_i32_e32 v6, 31, v6
	v_xor_b32_e32 v5, vcc_lo, v5
	v_cmp_gt_i32_e32 vcc_lo, 0, v9
	v_and_b32_e32 v4, v4, v87
	v_not_b32_e32 v9, v85
	v_ashrrev_i32_e32 v7, 31, v7
	v_xor_b32_e32 v6, s0, v6
	v_cmp_gt_i32_e64 s0, 0, v85
	v_and_b32_e32 v4, v4, v5
	v_not_b32_e32 v5, v86
	v_ashrrev_i32_e32 v9, 31, v9
	v_xor_b32_e32 v7, vcc_lo, v7
	v_cmp_gt_i32_e32 vcc_lo, 0, v86
	v_and_b32_e32 v4, v4, v6
	v_not_b32_e32 v6, v8
	v_ashrrev_i32_e32 v5, 31, v5
	v_xor_b32_e32 v9, s0, v9
	v_mul_u32_u24_e32 v3, 9, v3
	v_and_b32_e32 v4, v4, v7
	v_cmp_gt_i32_e64 s0, 0, v8
	v_ashrrev_i32_e32 v6, 31, v6
	v_xor_b32_e32 v5, vcc_lo, v5
	v_add_lshl_u32 v87, v2, v3, 2
	v_and_b32_e32 v4, v4, v9
	s_delay_alu instid0(VALU_DEP_4) | instskip(SKIP_2) | instid1(VALU_DEP_1)
	v_xor_b32_e32 v3, s0, v6
	ds_load_b32 v85, v87 offset:32
	v_and_b32_e32 v4, v4, v5
	; wave barrier
	v_and_b32_e32 v3, v4, v3
	s_delay_alu instid0(VALU_DEP_1) | instskip(SKIP_1) | instid1(VALU_DEP_2)
	v_mbcnt_lo_u32_b32 v86, v3, 0
	v_cmp_ne_u32_e64 s0, 0, v3
	v_cmp_eq_u32_e32 vcc_lo, 0, v86
	s_delay_alu instid0(VALU_DEP_2) | instskip(NEXT) | instid1(SALU_CYCLE_1)
	s_and_b32 s3, s0, vcc_lo
	s_and_saveexec_b32 s0, s3
	s_cbranch_execz .LBB24_255
; %bb.254:
	s_waitcnt lgkmcnt(0)
	v_bcnt_u32_b32 v3, v3, v85
	ds_store_b32 v87, v3 offset:32
.LBB24_255:
	s_or_b32 exec_lo, exec_lo, s0
	v_and_b32_e32 v3, 0xff, v18
	; wave barrier
	s_delay_alu instid0(VALU_DEP_1) | instskip(NEXT) | instid1(VALU_DEP_1)
	v_lshrrev_b32_e32 v3, s60, v3
	v_and_b32_e32 v3, s1, v3
	s_delay_alu instid0(VALU_DEP_1)
	v_and_b32_e32 v4, 1, v3
	v_lshlrev_b32_e32 v5, 30, v3
	v_lshlrev_b32_e32 v6, 29, v3
	;; [unrolled: 1-line block ×4, first 2 shown]
	v_add_co_u32 v4, s0, v4, -1
	s_delay_alu instid0(VALU_DEP_1)
	v_cndmask_b32_e64 v8, 0, 1, s0
	v_not_b32_e32 v90, v5
	v_cmp_gt_i32_e64 s0, 0, v5
	v_not_b32_e32 v5, v6
	v_lshlrev_b32_e32 v88, 26, v3
	v_cmp_ne_u32_e32 vcc_lo, 0, v8
	v_ashrrev_i32_e32 v90, 31, v90
	v_lshlrev_b32_e32 v89, 25, v3
	v_ashrrev_i32_e32 v5, 31, v5
	v_lshlrev_b32_e32 v8, 24, v3
	v_xor_b32_e32 v4, vcc_lo, v4
	v_cmp_gt_i32_e32 vcc_lo, 0, v6
	v_not_b32_e32 v6, v7
	v_xor_b32_e32 v90, s0, v90
	v_cmp_gt_i32_e64 s0, 0, v7
	v_and_b32_e32 v4, exec_lo, v4
	v_not_b32_e32 v7, v9
	v_ashrrev_i32_e32 v6, 31, v6
	v_xor_b32_e32 v5, vcc_lo, v5
	v_cmp_gt_i32_e32 vcc_lo, 0, v9
	v_and_b32_e32 v4, v4, v90
	v_not_b32_e32 v9, v88
	v_ashrrev_i32_e32 v7, 31, v7
	v_xor_b32_e32 v6, s0, v6
	v_cmp_gt_i32_e64 s0, 0, v88
	v_and_b32_e32 v4, v4, v5
	v_not_b32_e32 v5, v89
	v_ashrrev_i32_e32 v9, 31, v9
	v_xor_b32_e32 v7, vcc_lo, v7
	v_cmp_gt_i32_e32 vcc_lo, 0, v89
	v_and_b32_e32 v4, v4, v6
	v_not_b32_e32 v6, v8
	v_ashrrev_i32_e32 v5, 31, v5
	v_xor_b32_e32 v9, s0, v9
	v_mul_u32_u24_e32 v3, 9, v3
	v_and_b32_e32 v4, v4, v7
	v_cmp_gt_i32_e64 s0, 0, v8
	v_ashrrev_i32_e32 v6, 31, v6
	v_xor_b32_e32 v5, vcc_lo, v5
	v_add_lshl_u32 v90, v2, v3, 2
	v_and_b32_e32 v4, v4, v9
	s_delay_alu instid0(VALU_DEP_4) | instskip(SKIP_2) | instid1(VALU_DEP_1)
	v_xor_b32_e32 v3, s0, v6
	ds_load_b32 v88, v90 offset:32
	v_and_b32_e32 v4, v4, v5
	; wave barrier
	v_and_b32_e32 v3, v4, v3
	s_delay_alu instid0(VALU_DEP_1) | instskip(SKIP_1) | instid1(VALU_DEP_2)
	v_mbcnt_lo_u32_b32 v89, v3, 0
	v_cmp_ne_u32_e64 s0, 0, v3
	v_cmp_eq_u32_e32 vcc_lo, 0, v89
	s_delay_alu instid0(VALU_DEP_2) | instskip(NEXT) | instid1(SALU_CYCLE_1)
	s_and_b32 s3, s0, vcc_lo
	s_and_saveexec_b32 s0, s3
	s_cbranch_execz .LBB24_257
; %bb.256:
	s_waitcnt lgkmcnt(0)
	v_bcnt_u32_b32 v3, v3, v88
	ds_store_b32 v90, v3 offset:32
.LBB24_257:
	s_or_b32 exec_lo, exec_lo, s0
	v_and_b32_e32 v3, 0xff, v12
	; wave barrier
	s_delay_alu instid0(VALU_DEP_1) | instskip(NEXT) | instid1(VALU_DEP_1)
	v_lshrrev_b32_e32 v3, s60, v3
	v_and_b32_e32 v3, s1, v3
	s_delay_alu instid0(VALU_DEP_1)
	v_and_b32_e32 v4, 1, v3
	v_lshlrev_b32_e32 v5, 30, v3
	v_lshlrev_b32_e32 v6, 29, v3
	v_lshlrev_b32_e32 v7, 28, v3
	v_lshlrev_b32_e32 v9, 27, v3
	v_add_co_u32 v4, s0, v4, -1
	s_delay_alu instid0(VALU_DEP_1)
	v_cndmask_b32_e64 v8, 0, 1, s0
	v_not_b32_e32 v93, v5
	v_cmp_gt_i32_e64 s0, 0, v5
	v_not_b32_e32 v5, v6
	v_lshlrev_b32_e32 v91, 26, v3
	v_cmp_ne_u32_e32 vcc_lo, 0, v8
	v_ashrrev_i32_e32 v93, 31, v93
	v_lshlrev_b32_e32 v92, 25, v3
	v_ashrrev_i32_e32 v5, 31, v5
	v_lshlrev_b32_e32 v8, 24, v3
	v_xor_b32_e32 v4, vcc_lo, v4
	v_cmp_gt_i32_e32 vcc_lo, 0, v6
	v_not_b32_e32 v6, v7
	v_xor_b32_e32 v93, s0, v93
	v_cmp_gt_i32_e64 s0, 0, v7
	v_and_b32_e32 v4, exec_lo, v4
	v_not_b32_e32 v7, v9
	v_ashrrev_i32_e32 v6, 31, v6
	v_xor_b32_e32 v5, vcc_lo, v5
	v_cmp_gt_i32_e32 vcc_lo, 0, v9
	v_and_b32_e32 v4, v4, v93
	v_not_b32_e32 v9, v91
	v_ashrrev_i32_e32 v7, 31, v7
	v_xor_b32_e32 v6, s0, v6
	v_cmp_gt_i32_e64 s0, 0, v91
	v_and_b32_e32 v4, v4, v5
	v_not_b32_e32 v5, v92
	v_ashrrev_i32_e32 v9, 31, v9
	v_xor_b32_e32 v7, vcc_lo, v7
	v_cmp_gt_i32_e32 vcc_lo, 0, v92
	v_and_b32_e32 v4, v4, v6
	v_not_b32_e32 v6, v8
	v_ashrrev_i32_e32 v5, 31, v5
	v_xor_b32_e32 v9, s0, v9
	v_mul_u32_u24_e32 v3, 9, v3
	v_and_b32_e32 v4, v4, v7
	v_cmp_gt_i32_e64 s0, 0, v8
	v_ashrrev_i32_e32 v6, 31, v6
	v_xor_b32_e32 v5, vcc_lo, v5
	v_add_lshl_u32 v93, v2, v3, 2
	v_and_b32_e32 v4, v4, v9
	s_delay_alu instid0(VALU_DEP_4) | instskip(SKIP_2) | instid1(VALU_DEP_1)
	v_xor_b32_e32 v3, s0, v6
	ds_load_b32 v91, v93 offset:32
	v_and_b32_e32 v4, v4, v5
	; wave barrier
	v_and_b32_e32 v3, v4, v3
	s_delay_alu instid0(VALU_DEP_1) | instskip(SKIP_1) | instid1(VALU_DEP_2)
	v_mbcnt_lo_u32_b32 v92, v3, 0
	v_cmp_ne_u32_e64 s0, 0, v3
	v_cmp_eq_u32_e32 vcc_lo, 0, v92
	s_delay_alu instid0(VALU_DEP_2) | instskip(NEXT) | instid1(SALU_CYCLE_1)
	s_and_b32 s3, s0, vcc_lo
	s_and_saveexec_b32 s0, s3
	s_cbranch_execz .LBB24_259
; %bb.258:
	s_waitcnt lgkmcnt(0)
	v_bcnt_u32_b32 v3, v3, v91
	ds_store_b32 v93, v3 offset:32
.LBB24_259:
	s_or_b32 exec_lo, exec_lo, s0
	v_and_b32_e32 v3, 0xff, v13
	; wave barrier
	s_delay_alu instid0(VALU_DEP_1) | instskip(NEXT) | instid1(VALU_DEP_1)
	v_lshrrev_b32_e32 v3, s60, v3
	v_and_b32_e32 v3, s1, v3
	s_delay_alu instid0(VALU_DEP_1)
	v_and_b32_e32 v4, 1, v3
	v_lshlrev_b32_e32 v5, 30, v3
	v_lshlrev_b32_e32 v6, 29, v3
	;; [unrolled: 1-line block ×4, first 2 shown]
	v_add_co_u32 v4, s0, v4, -1
	s_delay_alu instid0(VALU_DEP_1)
	v_cndmask_b32_e64 v8, 0, 1, s0
	v_not_b32_e32 v96, v5
	v_cmp_gt_i32_e64 s0, 0, v5
	v_not_b32_e32 v5, v6
	v_lshlrev_b32_e32 v94, 26, v3
	v_cmp_ne_u32_e32 vcc_lo, 0, v8
	v_ashrrev_i32_e32 v96, 31, v96
	v_lshlrev_b32_e32 v95, 25, v3
	v_ashrrev_i32_e32 v5, 31, v5
	v_lshlrev_b32_e32 v8, 24, v3
	v_xor_b32_e32 v4, vcc_lo, v4
	v_cmp_gt_i32_e32 vcc_lo, 0, v6
	v_not_b32_e32 v6, v7
	v_xor_b32_e32 v96, s0, v96
	v_cmp_gt_i32_e64 s0, 0, v7
	v_and_b32_e32 v4, exec_lo, v4
	v_not_b32_e32 v7, v9
	v_ashrrev_i32_e32 v6, 31, v6
	v_xor_b32_e32 v5, vcc_lo, v5
	v_cmp_gt_i32_e32 vcc_lo, 0, v9
	v_and_b32_e32 v4, v4, v96
	v_not_b32_e32 v9, v94
	v_ashrrev_i32_e32 v7, 31, v7
	v_xor_b32_e32 v6, s0, v6
	v_cmp_gt_i32_e64 s0, 0, v94
	v_and_b32_e32 v4, v4, v5
	v_not_b32_e32 v5, v95
	v_ashrrev_i32_e32 v9, 31, v9
	v_xor_b32_e32 v7, vcc_lo, v7
	v_cmp_gt_i32_e32 vcc_lo, 0, v95
	v_and_b32_e32 v4, v4, v6
	v_not_b32_e32 v6, v8
	v_ashrrev_i32_e32 v5, 31, v5
	v_xor_b32_e32 v9, s0, v9
	v_mul_u32_u24_e32 v3, 9, v3
	v_and_b32_e32 v4, v4, v7
	v_cmp_gt_i32_e64 s0, 0, v8
	v_ashrrev_i32_e32 v6, 31, v6
	v_xor_b32_e32 v5, vcc_lo, v5
	v_add_lshl_u32 v96, v2, v3, 2
	v_and_b32_e32 v4, v4, v9
	s_delay_alu instid0(VALU_DEP_4) | instskip(SKIP_2) | instid1(VALU_DEP_1)
	v_xor_b32_e32 v3, s0, v6
	ds_load_b32 v94, v96 offset:32
	v_and_b32_e32 v4, v4, v5
	; wave barrier
	v_and_b32_e32 v3, v4, v3
	s_delay_alu instid0(VALU_DEP_1) | instskip(SKIP_1) | instid1(VALU_DEP_2)
	v_mbcnt_lo_u32_b32 v95, v3, 0
	v_cmp_ne_u32_e64 s0, 0, v3
	v_cmp_eq_u32_e32 vcc_lo, 0, v95
	s_delay_alu instid0(VALU_DEP_2) | instskip(NEXT) | instid1(SALU_CYCLE_1)
	s_and_b32 s3, s0, vcc_lo
	s_and_saveexec_b32 s0, s3
	s_cbranch_execz .LBB24_261
; %bb.260:
	s_waitcnt lgkmcnt(0)
	v_bcnt_u32_b32 v3, v3, v94
	ds_store_b32 v96, v3 offset:32
.LBB24_261:
	s_or_b32 exec_lo, exec_lo, s0
	v_and_b32_e32 v3, 0xff, v14
	; wave barrier
	v_add_nc_u32_e32 v100, 32, v34
	s_delay_alu instid0(VALU_DEP_2) | instskip(NEXT) | instid1(VALU_DEP_1)
	v_lshrrev_b32_e32 v3, s60, v3
	v_and_b32_e32 v3, s1, v3
	s_delay_alu instid0(VALU_DEP_1)
	v_and_b32_e32 v4, 1, v3
	v_lshlrev_b32_e32 v5, 30, v3
	v_lshlrev_b32_e32 v6, 29, v3
	;; [unrolled: 1-line block ×4, first 2 shown]
	v_add_co_u32 v4, s0, v4, -1
	s_delay_alu instid0(VALU_DEP_1)
	v_cndmask_b32_e64 v8, 0, 1, s0
	v_not_b32_e32 v99, v5
	v_cmp_gt_i32_e64 s0, 0, v5
	v_not_b32_e32 v5, v6
	v_lshlrev_b32_e32 v97, 26, v3
	v_cmp_ne_u32_e32 vcc_lo, 0, v8
	v_ashrrev_i32_e32 v99, 31, v99
	v_lshlrev_b32_e32 v98, 25, v3
	v_ashrrev_i32_e32 v5, 31, v5
	v_lshlrev_b32_e32 v8, 24, v3
	v_xor_b32_e32 v4, vcc_lo, v4
	v_cmp_gt_i32_e32 vcc_lo, 0, v6
	v_not_b32_e32 v6, v7
	v_xor_b32_e32 v99, s0, v99
	v_cmp_gt_i32_e64 s0, 0, v7
	v_and_b32_e32 v4, exec_lo, v4
	v_not_b32_e32 v7, v9
	v_ashrrev_i32_e32 v6, 31, v6
	v_xor_b32_e32 v5, vcc_lo, v5
	v_cmp_gt_i32_e32 vcc_lo, 0, v9
	v_and_b32_e32 v4, v4, v99
	v_not_b32_e32 v9, v97
	v_ashrrev_i32_e32 v7, 31, v7
	v_xor_b32_e32 v6, s0, v6
	v_cmp_gt_i32_e64 s0, 0, v97
	v_and_b32_e32 v4, v4, v5
	v_not_b32_e32 v5, v98
	v_ashrrev_i32_e32 v9, 31, v9
	v_xor_b32_e32 v7, vcc_lo, v7
	v_cmp_gt_i32_e32 vcc_lo, 0, v98
	v_and_b32_e32 v4, v4, v6
	v_not_b32_e32 v6, v8
	v_ashrrev_i32_e32 v5, 31, v5
	v_xor_b32_e32 v9, s0, v9
	v_mul_u32_u24_e32 v3, 9, v3
	v_and_b32_e32 v4, v4, v7
	v_cmp_gt_i32_e64 s0, 0, v8
	v_ashrrev_i32_e32 v6, 31, v6
	v_xor_b32_e32 v5, vcc_lo, v5
	v_add_lshl_u32 v99, v2, v3, 2
	v_and_b32_e32 v4, v4, v9
	s_delay_alu instid0(VALU_DEP_4) | instskip(SKIP_2) | instid1(VALU_DEP_1)
	v_xor_b32_e32 v2, s0, v6
	ds_load_b32 v97, v99 offset:32
	v_and_b32_e32 v3, v4, v5
	; wave barrier
	v_and_b32_e32 v2, v3, v2
	s_delay_alu instid0(VALU_DEP_1) | instskip(SKIP_1) | instid1(VALU_DEP_2)
	v_mbcnt_lo_u32_b32 v98, v2, 0
	v_cmp_ne_u32_e64 s0, 0, v2
	v_cmp_eq_u32_e32 vcc_lo, 0, v98
	s_delay_alu instid0(VALU_DEP_2) | instskip(NEXT) | instid1(SALU_CYCLE_1)
	s_and_b32 s3, s0, vcc_lo
	s_and_saveexec_b32 s0, s3
	s_cbranch_execz .LBB24_263
; %bb.262:
	s_waitcnt lgkmcnt(0)
	v_bcnt_u32_b32 v2, v2, v97
	ds_store_b32 v99, v2 offset:32
.LBB24_263:
	s_or_b32 exec_lo, exec_lo, s0
	; wave barrier
	s_waitcnt lgkmcnt(0)
	s_barrier
	buffer_gl0_inv
	ds_load_2addr_b32 v[8:9], v34 offset0:8 offset1:9
	ds_load_2addr_b32 v[6:7], v100 offset0:2 offset1:3
	;; [unrolled: 1-line block ×4, first 2 shown]
	ds_load_b32 v101, v100 offset:32
	v_min_u32_e32 v33, 0xe0, v33
	s_mov_b32 s0, exec_lo
	s_delay_alu instid0(VALU_DEP_1) | instskip(SKIP_3) | instid1(VALU_DEP_1)
	v_or_b32_e32 v104, 31, v33
	s_waitcnt lgkmcnt(3)
	v_add3_u32 v102, v9, v8, v6
	s_waitcnt lgkmcnt(2)
	v_add3_u32 v102, v102, v7, v4
	s_waitcnt lgkmcnt(1)
	s_delay_alu instid0(VALU_DEP_1) | instskip(SKIP_1) | instid1(VALU_DEP_1)
	v_add3_u32 v102, v102, v5, v2
	s_waitcnt lgkmcnt(0)
	v_add3_u32 v101, v102, v3, v101
	v_and_b32_e32 v102, 15, v51
	s_delay_alu instid0(VALU_DEP_2) | instskip(NEXT) | instid1(VALU_DEP_2)
	v_mov_b32_dpp v103, v101 row_shr:1 row_mask:0xf bank_mask:0xf
	v_cmp_ne_u32_e32 vcc_lo, 0, v102
	s_delay_alu instid0(VALU_DEP_2) | instskip(SKIP_1) | instid1(VALU_DEP_2)
	v_cndmask_b32_e32 v103, 0, v103, vcc_lo
	v_cmp_lt_u32_e32 vcc_lo, 1, v102
	v_add_nc_u32_e32 v101, v103, v101
	s_delay_alu instid0(VALU_DEP_1) | instskip(NEXT) | instid1(VALU_DEP_1)
	v_mov_b32_dpp v103, v101 row_shr:2 row_mask:0xf bank_mask:0xf
	v_cndmask_b32_e32 v103, 0, v103, vcc_lo
	v_cmp_lt_u32_e32 vcc_lo, 3, v102
	s_delay_alu instid0(VALU_DEP_2) | instskip(NEXT) | instid1(VALU_DEP_1)
	v_add_nc_u32_e32 v101, v101, v103
	v_mov_b32_dpp v103, v101 row_shr:4 row_mask:0xf bank_mask:0xf
	s_delay_alu instid0(VALU_DEP_1) | instskip(SKIP_1) | instid1(VALU_DEP_2)
	v_cndmask_b32_e32 v103, 0, v103, vcc_lo
	v_cmp_lt_u32_e32 vcc_lo, 7, v102
	v_add_nc_u32_e32 v101, v101, v103
	s_delay_alu instid0(VALU_DEP_1) | instskip(NEXT) | instid1(VALU_DEP_1)
	v_mov_b32_dpp v103, v101 row_shr:8 row_mask:0xf bank_mask:0xf
	v_cndmask_b32_e32 v102, 0, v103, vcc_lo
	v_bfe_i32 v103, v51, 4, 1
	s_delay_alu instid0(VALU_DEP_2) | instskip(SKIP_4) | instid1(VALU_DEP_2)
	v_add_nc_u32_e32 v102, v101, v102
	ds_swizzle_b32 v101, v102 offset:swizzle(BROADCAST,32,15)
	s_waitcnt lgkmcnt(0)
	v_and_b32_e32 v103, v103, v101
	v_lshrrev_b32_e32 v101, 5, v1
	v_add_nc_u32_e32 v33, v102, v103
	v_cmpx_eq_u32_e64 v104, v1
	s_cbranch_execz .LBB24_265
; %bb.264:
	s_delay_alu instid0(VALU_DEP_3)
	v_lshlrev_b32_e32 v102, 2, v101
	ds_store_b32 v102, v33
.LBB24_265:
	s_or_b32 exec_lo, exec_lo, s0
	s_delay_alu instid0(SALU_CYCLE_1)
	s_mov_b32 s0, exec_lo
	s_waitcnt lgkmcnt(0)
	s_barrier
	buffer_gl0_inv
	v_cmpx_gt_u32_e32 8, v1
	s_cbranch_execz .LBB24_267
; %bb.266:
	v_lshlrev_b32_e32 v102, 2, v1
	ds_load_b32 v103, v102
	s_waitcnt lgkmcnt(0)
	v_mov_b32_dpp v105, v103 row_shr:1 row_mask:0xf bank_mask:0xf
	v_and_b32_e32 v104, 7, v51
	s_delay_alu instid0(VALU_DEP_1) | instskip(NEXT) | instid1(VALU_DEP_3)
	v_cmp_ne_u32_e32 vcc_lo, 0, v104
	v_cndmask_b32_e32 v105, 0, v105, vcc_lo
	v_cmp_lt_u32_e32 vcc_lo, 1, v104
	s_delay_alu instid0(VALU_DEP_2) | instskip(NEXT) | instid1(VALU_DEP_1)
	v_add_nc_u32_e32 v103, v105, v103
	v_mov_b32_dpp v105, v103 row_shr:2 row_mask:0xf bank_mask:0xf
	s_delay_alu instid0(VALU_DEP_1) | instskip(SKIP_1) | instid1(VALU_DEP_2)
	v_cndmask_b32_e32 v105, 0, v105, vcc_lo
	v_cmp_lt_u32_e32 vcc_lo, 3, v104
	v_add_nc_u32_e32 v103, v103, v105
	s_delay_alu instid0(VALU_DEP_1) | instskip(NEXT) | instid1(VALU_DEP_1)
	v_mov_b32_dpp v105, v103 row_shr:4 row_mask:0xf bank_mask:0xf
	v_cndmask_b32_e32 v104, 0, v105, vcc_lo
	s_delay_alu instid0(VALU_DEP_1)
	v_add_nc_u32_e32 v103, v103, v104
	ds_store_b32 v102, v103
.LBB24_267:
	s_or_b32 exec_lo, exec_lo, s0
	v_mov_b32_e32 v102, 0
	s_mov_b32 s0, exec_lo
	s_waitcnt lgkmcnt(0)
	s_barrier
	buffer_gl0_inv
	v_cmpx_lt_u32_e32 31, v1
	s_cbranch_execz .LBB24_269
; %bb.268:
	v_lshl_add_u32 v101, v101, 2, -4
	ds_load_b32 v102, v101
.LBB24_269:
	s_or_b32 exec_lo, exec_lo, s0
	v_add_nc_u32_e32 v101, -1, v51
	s_waitcnt lgkmcnt(0)
	v_add_nc_u32_e32 v33, v102, v33
	s_mov_b32 s0, 0
	s_mov_b32 s3, exec_lo
	v_cmp_gt_i32_e32 vcc_lo, 0, v101
	v_cndmask_b32_e32 v101, v101, v51, vcc_lo
	v_cmp_eq_u32_e32 vcc_lo, 0, v51
	s_delay_alu instid0(VALU_DEP_2) | instskip(SKIP_4) | instid1(VALU_DEP_2)
	v_lshlrev_b32_e32 v101, 2, v101
	ds_bpermute_b32 v33, v101, v33
	s_waitcnt lgkmcnt(0)
	v_cndmask_b32_e32 v33, v33, v102, vcc_lo
	v_cmp_ne_u32_e32 vcc_lo, 0, v1
	v_cndmask_b32_e32 v33, 0, v33, vcc_lo
	s_delay_alu instid0(VALU_DEP_1) | instskip(NEXT) | instid1(VALU_DEP_1)
	v_add_nc_u32_e32 v8, v33, v8
	v_add_nc_u32_e32 v9, v8, v9
	s_delay_alu instid0(VALU_DEP_1) | instskip(NEXT) | instid1(VALU_DEP_1)
	v_add_nc_u32_e32 v6, v9, v6
	v_add_nc_u32_e32 v7, v6, v7
	;; [unrolled: 3-line block ×4, first 2 shown]
	ds_store_2addr_b32 v34, v33, v8 offset0:8 offset1:9
	ds_store_2addr_b32 v100, v9, v6 offset0:2 offset1:3
	;; [unrolled: 1-line block ×4, first 2 shown]
	ds_store_b32 v100, v3 offset:32
	s_waitcnt lgkmcnt(0)
	s_barrier
	buffer_gl0_inv
	ds_load_b32 v4, v38 offset:32
	ds_load_b32 v5, v41 offset:32
	;; [unrolled: 1-line block ×23, first 2 shown]
	v_add_nc_u32_e32 v34, 1, v1
	v_mov_b32_e32 v2, 0x1600
	s_delay_alu instid0(VALU_DEP_2)
	v_cmpx_ne_u32_e32 0x100, v34
	s_cbranch_execz .LBB24_271
; %bb.270:
	v_mul_u32_u24_e32 v2, 9, v34
	s_delay_alu instid0(VALU_DEP_1)
	v_lshlrev_b32_e32 v2, 2, v2
	ds_load_b32 v2, v2 offset:32
.LBB24_271:
	s_or_b32 exec_lo, exec_lo, s3
	s_waitcnt lgkmcnt(22)
	v_add3_u32 v60, v37, v36, v4
	s_waitcnt lgkmcnt(21)
	v_add3_u32 v57, v40, v39, v5
	v_lshl_add_u32 v4, s15, 8, v1
	v_mov_b32_e32 v5, 0
	s_waitcnt lgkmcnt(20)
	v_add3_u32 v54, v43, v42, v6
	s_waitcnt lgkmcnt(19)
	v_add3_u32 v50, v46, v45, v7
	;; [unrolled: 2-line block ×3, first 2 shown]
	s_waitcnt lgkmcnt(0)
	v_sub_nc_u32_e32 v52, v2, v3
	v_lshlrev_b64 v[6:7], 2, v[4:5]
	v_dual_mov_b32 v2, 0 :: v_dual_add_nc_u32 v63, v35, v0
	v_add3_u32 v48, v49, v48, v8
	v_add3_u32 v46, v56, v55, v33
	v_add3_u32 v45, v59, v58, v38
	v_add_co_u32 v6, vcc_lo, s66, v6
	v_add3_u32 v44, v62, v61, v41
	v_add3_u32 v43, v65, v64, v66
	v_add3_u32 v42, v68, v67, v69
	v_add3_u32 v41, v71, v70, v72
	v_add3_u32 v40, v74, v73, v75
	v_add3_u32 v39, v77, v76, v78
	v_add3_u32 v38, v80, v79, v81
	v_add3_u32 v37, v83, v82, v84
	v_add3_u32 v36, v86, v85, v87
	v_add3_u32 v35, v89, v88, v90
	v_add3_u32 v34, v92, v91, v93
	v_add3_u32 v33, v95, v94, v96
	v_add3_u32 v0, v98, v97, v99
	v_add_co_ci_u32_e32 v7, vcc_lo, s67, v7, vcc_lo
	v_or_b32_e32 v4, 2.0, v52
	s_barrier
	buffer_gl0_inv
	ds_store_b8 v63, v11 offset:2048
	ds_store_b8 v60, v19 offset:2048
	;; [unrolled: 1-line block ×22, first 2 shown]
	s_waitcnt lgkmcnt(0)
	s_barrier
	buffer_gl0_inv
	global_store_b32 v[6:7], v4, off
                                        ; implicit-def: $sgpr3
	s_branch .LBB24_274
	.p2align	6
.LBB24_272:                             ;   in Loop: Header=BB24_274 Depth=1
	s_or_b32 exec_lo, exec_lo, s4
.LBB24_273:                             ;   in Loop: Header=BB24_274 Depth=1
	s_delay_alu instid0(SALU_CYCLE_1) | instskip(SKIP_2) | instid1(VALU_DEP_2)
	s_or_b32 exec_lo, exec_lo, s3
	v_and_b32_e32 v8, 0x3fffffff, v11
	v_cmp_eq_u32_e64 s3, 0x80000000, v4
	v_add_nc_u32_e32 v2, v8, v2
	s_delay_alu instid0(VALU_DEP_2) | instskip(NEXT) | instid1(SALU_CYCLE_1)
	s_and_b32 s4, exec_lo, s3
	s_or_b32 s0, s4, s0
	s_delay_alu instid0(SALU_CYCLE_1)
	s_and_not1_b32 exec_lo, exec_lo, s0
	s_cbranch_execz .LBB24_279
.LBB24_274:                             ; =>This Loop Header: Depth=1
                                        ;     Child Loop BB24_277 Depth 2
	s_or_b32 s3, s3, exec_lo
	s_cmp_eq_u32 s63, 0
	s_cbranch_scc1 .LBB24_278
; %bb.275:                              ;   in Loop: Header=BB24_274 Depth=1
	s_add_i32 s63, s63, -1
	s_mov_b32 s3, exec_lo
	v_lshl_add_u32 v4, s63, 8, v1
	s_delay_alu instid0(VALU_DEP_1) | instskip(NEXT) | instid1(VALU_DEP_1)
	v_lshlrev_b64 v[8:9], 2, v[4:5]
	v_add_co_u32 v8, vcc_lo, s66, v8
	s_delay_alu instid0(VALU_DEP_2) | instskip(SKIP_3) | instid1(VALU_DEP_1)
	v_add_co_ci_u32_e32 v9, vcc_lo, s67, v9, vcc_lo
	global_load_b32 v11, v[8:9], off glc
	s_waitcnt vmcnt(0)
	v_and_b32_e32 v4, -2.0, v11
	v_cmpx_eq_u32_e32 0, v4
	s_cbranch_execz .LBB24_273
; %bb.276:                              ;   in Loop: Header=BB24_274 Depth=1
	s_mov_b32 s4, 0
.LBB24_277:                             ;   Parent Loop BB24_274 Depth=1
                                        ; =>  This Inner Loop Header: Depth=2
	global_load_b32 v11, v[8:9], off glc
	s_waitcnt vmcnt(0)
	v_and_b32_e32 v4, -2.0, v11
	s_delay_alu instid0(VALU_DEP_1) | instskip(SKIP_1) | instid1(SALU_CYCLE_1)
	v_cmp_ne_u32_e32 vcc_lo, 0, v4
	s_or_b32 s4, vcc_lo, s4
	s_and_not1_b32 exec_lo, exec_lo, s4
	s_cbranch_execnz .LBB24_277
	s_branch .LBB24_272
.LBB24_278:                             ;   in Loop: Header=BB24_274 Depth=1
                                        ; implicit-def: $sgpr63
	s_and_b32 s4, exec_lo, s3
	s_delay_alu instid0(SALU_CYCLE_1) | instskip(NEXT) | instid1(SALU_CYCLE_1)
	s_or_b32 s0, s4, s0
	s_and_not1_b32 exec_lo, exec_lo, s0
	s_cbranch_execnz .LBB24_274
.LBB24_279:
	s_or_b32 exec_lo, exec_lo, s0
	v_add_nc_u32_e32 v4, v2, v52
	v_lshlrev_b32_e32 v53, 3, v1
	v_lshlrev_b32_e32 v13, 3, v51
	v_sub_co_u32 v2, s0, v2, v3
	s_delay_alu instid0(VALU_DEP_4)
	v_or_b32_e32 v4, 0x80000000, v4
	s_lshl_b64 s[4:5], s[64:65], 3
	v_lshlrev_b32_e32 v14, 3, v10
	v_or_b32_e32 v5, 0x1000, v1
	v_add_nc_u32_e32 v8, 0x1300, v1
	global_store_b32 v[6:7], v4, off
	global_load_b64 v[11:12], v53, s[56:57]
	v_sub_co_ci_u32_e64 v4, null, 0, 0, s0
	s_add_u32 s0, s52, s4
	s_addc_u32 s3, s53, s5
	v_add_co_u32 v13, s0, s0, v13
	s_delay_alu instid0(VALU_DEP_1) | instskip(SKIP_1) | instid1(VALU_DEP_3)
	v_add_co_ci_u32_e64 v15, null, s3, 0, s0
	v_add_nc_u32_e32 v6, 0x1100, v1
	v_add_co_u32 v55, vcc_lo, v13, v14
	s_delay_alu instid0(VALU_DEP_3)
	v_add_co_ci_u32_e32 v56, vcc_lo, 0, v15, vcc_lo
	v_add_nc_u32_e32 v7, 0x1200, v1
	v_or_b32_e32 v9, 0x1400, v1
	v_add_nc_u32_e32 v10, 0x1500, v1
	v_lshlrev_b32_e32 v54, 3, v54
	v_lshlrev_b32_e32 v50, 3, v50
	;; [unrolled: 1-line block ×19, first 2 shown]
	s_add_i32 s2, s2, -1
	s_delay_alu instid0(SALU_CYCLE_1)
	s_cmp_eq_u32 s15, s2
	s_cselect_b32 s2, -1, 0
	s_waitcnt vmcnt(0)
	v_add_co_u32 v11, vcc_lo, v2, v11
	v_add_co_ci_u32_e32 v12, vcc_lo, v4, v12, vcc_lo
	v_add_co_u32 v58, vcc_lo, 0x1000, v55
	v_add_co_ci_u32_e32 v59, vcc_lo, 0, v56, vcc_lo
	ds_store_b64 v53, v[11:12]
	s_waitcnt lgkmcnt(0)
	s_waitcnt_vscnt null, 0x0
	s_barrier
	buffer_gl0_inv
	ds_load_u8 v2, v1 offset:2304
	ds_load_u8 v4, v1 offset:2560
	ds_load_u8 v32, v1 offset:2816
	ds_load_u8 v49, v1 offset:3072
	ds_load_u8 v51, v1 offset:3328
	ds_load_u8 v106, v1 offset:3584
	ds_load_u8 v107, v1 offset:3840
	ds_load_u8 v108, v1 offset:4096
	ds_load_u8 v109, v1 offset:4352
	ds_load_u8 v110, v1 offset:4608
	ds_load_u8 v111, v1 offset:4864
	ds_load_u8 v112, v1 offset:5120
	ds_load_u8 v113, v1 offset:5376
	ds_load_u8 v114, v1 offset:5632
	ds_load_u8 v115, v1 offset:5888
	ds_load_u8 v116, v1 offset:6144
	ds_load_u8 v117, v1 offset:6400
	ds_load_u8 v118, v1 offset:6656
	ds_load_u8 v119, v1 offset:6912
	ds_load_u8 v120, v1 offset:7168
	ds_load_u8 v121, v1 offset:7424
	s_waitcnt lgkmcnt(20)
	v_and_b32_e32 v11, 0xff, v2
	s_waitcnt lgkmcnt(19)
	v_and_b32_e32 v12, 0xff, v4
	;; [unrolled: 2-line block ×6, first 2 shown]
	v_and_b32_e32 v13, 0xff, v32
	s_waitcnt lgkmcnt(13)
	v_and_b32_e32 v18, 0xff, v108
	s_waitcnt lgkmcnt(12)
	;; [unrolled: 2-line block ×13, first 2 shown]
	v_and_b32_e32 v31, 0xff, v121
	v_and_b32_e32 v29, 0xff, v119
	v_lshrrev_b32_e32 v11, s60, v11
	v_lshrrev_b32_e32 v14, s60, v14
	;; [unrolled: 1-line block ×7, first 2 shown]
	ds_load_u8 v122, v1 offset:2048
	v_lshrrev_b32_e32 v17, s60, v17
	v_lshrrev_b32_e32 v13, s60, v13
	;; [unrolled: 1-line block ×14, first 2 shown]
	v_and_b32_e32 v11, s1, v11
	v_and_b32_e32 v14, s1, v14
	;; [unrolled: 1-line block ×21, first 2 shown]
	v_lshlrev_b32_e32 v29, 3, v11
	v_lshlrev_b32_e32 v25, 3, v14
	;; [unrolled: 1-line block ×21, first 2 shown]
	ds_load_b64 v[61:62], v11
	ds_load_b64 v[64:65], v12
	;; [unrolled: 1-line block ×6, first 2 shown]
	s_waitcnt lgkmcnt(6)
	v_and_b32_e32 v74, 0xff, v122
	s_delay_alu instid0(VALU_DEP_1)
	v_lshrrev_b32_e32 v82, s60, v74
	ds_load_b64 v[74:75], v21
	ds_load_b64 v[76:77], v22
	;; [unrolled: 1-line block ×4, first 2 shown]
	v_and_b32_e32 v90, s1, v82
	ds_load_b64 v[82:83], v14
	ds_load_b64 v[84:85], v15
	;; [unrolled: 1-line block ×4, first 2 shown]
	v_lshlrev_b32_e32 v123, 3, v90
	s_waitcnt lgkmcnt(11)
	v_add_co_u32 v66, vcc_lo, s50, v66
	v_add_co_ci_u32_e32 v67, vcc_lo, s51, v67, vcc_lo
	s_waitcnt lgkmcnt(10)
	v_add_co_u32 v68, vcc_lo, s50, v68
	v_add_co_ci_u32_e32 v69, vcc_lo, s51, v69, vcc_lo
	;; [unrolled: 3-line block ×7, first 2 shown]
	s_waitcnt lgkmcnt(4)
	v_add_co_u32 v80, vcc_lo, s50, v80
	ds_load_b64 v[90:91], v13
	ds_load_b64 v[92:93], v18
	;; [unrolled: 1-line block ×8, first 2 shown]
	v_add_co_ci_u32_e32 v81, vcc_lo, s51, v81, vcc_lo
	s_waitcnt lgkmcnt(11)
	v_add_co_u32 v82, vcc_lo, s50, v82
	v_add_co_ci_u32_e32 v83, vcc_lo, s51, v83, vcc_lo
	s_waitcnt lgkmcnt(10)
	v_add_co_u32 v84, vcc_lo, s50, v84
	;; [unrolled: 3-line block ×8, first 2 shown]
	v_add_co_ci_u32_e32 v97, vcc_lo, s51, v97, vcc_lo
	v_add_co_u32 v124, vcc_lo, s50, v61
	v_add_co_ci_u32_e32 v125, vcc_lo, s51, v62, vcc_lo
	v_add_co_u32 v126, vcc_lo, s50, v64
	;; [unrolled: 2-line block ×19, first 2 shown]
	v_add_co_ci_u32_e32 v95, vcc_lo, 0, v125, vcc_lo
	s_waitcnt lgkmcnt(3)
	v_add_co_u32 v96, vcc_lo, s50, v98
	v_add_co_ci_u32_e32 v97, vcc_lo, s51, v99, vcc_lo
	s_waitcnt lgkmcnt(2)
	v_add_co_u32 v98, vcc_lo, s50, v100
	;; [unrolled: 3-line block ×4, first 2 shown]
	v_add_co_ci_u32_e32 v103, vcc_lo, s51, v105, vcc_lo
	v_add_co_u32 v96, vcc_lo, v96, v1
	v_add_co_ci_u32_e32 v97, vcc_lo, 0, v97, vcc_lo
	v_add_co_u32 v98, vcc_lo, v98, v1
	;; [unrolled: 2-line block ×5, first 2 shown]
	v_add_co_ci_u32_e32 v105, vcc_lo, 0, v127, vcc_lo
	s_clause 0x15
	global_store_b8 v[96:97], v122, off
	global_store_b8 v[98:99], v2, off offset:256
	global_store_b8 v[100:101], v4, off offset:512
	;; [unrolled: 1-line block ×15, first 2 shown]
	global_store_b8 v[86:87], v116, off
	global_store_b8 v[88:89], v117, off
	;; [unrolled: 1-line block ×6, first 2 shown]
	s_clause 0x15
	global_load_b64 v[61:62], v[55:56], off
	global_load_b64 v[64:65], v[55:56], off offset:256
	global_load_b64 v[66:67], v[55:56], off offset:512
	;; [unrolled: 1-line block ×15, first 2 shown]
	global_load_b64 v[92:93], v[58:59], off
	global_load_b64 v[94:95], v[58:59], off offset:256
	global_load_b64 v[96:97], v[58:59], off offset:512
	;; [unrolled: 1-line block ×5, first 2 shown]
	v_mov_b32_e32 v2, 0
	v_lshlrev_b32_e32 v32, 3, v63
	v_lshlrev_b32_e32 v49, 3, v60
	;; [unrolled: 1-line block ×4, first 2 shown]
	v_dual_mov_b32 v4, v2 :: v_dual_lshlrev_b32 v117, 3, v6
	v_lshlrev_b32_e32 v118, 3, v7
	v_lshlrev_b32_e32 v119, 3, v8
	;; [unrolled: 1-line block ×4, first 2 shown]
	s_waitcnt vmcnt(0)
	s_waitcnt_vscnt null, 0x0
	s_barrier
	buffer_gl0_inv
	v_add_nc_u32_e32 v102, 0x1000, v53
	v_add_nc_u32_e32 v103, 0x1800, v53
	v_or_b32_e32 v104, 0x2000, v53
	v_add_nc_u32_e32 v105, 0x2800, v53
	v_add_nc_u32_e32 v106, 0x3000, v53
	v_add_nc_u32_e32 v107, 0x3800, v53
	v_or_b32_e32 v108, 0x4000, v53
	v_add_nc_u32_e32 v109, 0x4800, v53
	v_add_nc_u32_e32 v110, 0x5000, v53
	v_add_nc_u32_e32 v111, 0x5800, v53
	v_or_b32_e32 v112, 0x6000, v53
	v_add_nc_u32_e32 v113, 0x6800, v53
	v_add_nc_u32_e32 v114, 0x7000, v53
	v_add_nc_u32_e32 v115, 0x7800, v53
	ds_store_b64 v32, v[61:62] offset:2048
	ds_store_b64 v49, v[64:65] offset:2048
	;; [unrolled: 1-line block ×22, first 2 shown]
	s_waitcnt lgkmcnt(0)
	s_barrier
	buffer_gl0_inv
	ds_load_2addr_stride64_b64 v[5:8], v53 offset0:4 offset1:8
	ds_load_2addr_stride64_b64 v[32:35], v53 offset0:12 offset1:16
	ds_load_b64 v[9:10], v123
	ds_load_b64 v[62:63], v29
	ds_load_b64 v[29:30], v30
	ds_load_b64 v[64:65], v31
	ds_load_2addr_stride64_b64 v[36:39], v53 offset0:20 offset1:24
	ds_load_2addr_stride64_b64 v[40:43], v53 offset0:28 offset1:32
	ds_load_b64 v[66:67], v25
	ds_load_b64 v[68:69], v26
	ds_load_b64 v[70:71], v27
	ds_load_b64 v[72:73], v28
	;; [unrolled: 6-line block ×5, first 2 shown]
	ds_load_2addr_stride64_b64 v[58:61], v53 offset0:84 offset1:88
	ds_load_b64 v[96:97], v11
	ds_load_b64 v[11:12], v12
	s_waitcnt lgkmcnt(30)
	v_lshlrev_b64 v[9:10], 3, v[9:10]
	s_waitcnt lgkmcnt(29)
	v_lshlrev_b64 v[62:63], 3, v[62:63]
	s_waitcnt lgkmcnt(28)
	v_lshlrev_b64 v[29:30], 3, v[29:30]
	s_waitcnt lgkmcnt(27)
	v_lshlrev_b64 v[64:65], 3, v[64:65]
	s_waitcnt lgkmcnt(24)
	v_lshlrev_b64 v[66:67], 3, v[66:67]
	s_waitcnt lgkmcnt(23)
	v_lshlrev_b64 v[68:69], 3, v[68:69]
	v_add_co_u32 v0, vcc_lo, s54, v9
	v_add_co_ci_u32_e32 v10, vcc_lo, s55, v10, vcc_lo
	v_add_co_u32 v13, vcc_lo, s54, v62
	v_add_co_ci_u32_e32 v20, vcc_lo, s55, v63, vcc_lo
	;; [unrolled: 2-line block ×4, first 2 shown]
	s_waitcnt lgkmcnt(22)
	v_lshlrev_b64 v[70:71], 3, v[70:71]
	v_add_co_u32 v63, vcc_lo, s54, v66
	v_add_co_ci_u32_e32 v64, vcc_lo, s55, v67, vcc_lo
	s_waitcnt lgkmcnt(21)
	v_lshlrev_b64 v[72:73], 3, v[72:73]
	v_add_co_u32 v65, vcc_lo, s54, v68
	v_add_co_ci_u32_e32 v66, vcc_lo, s55, v69, vcc_lo
	;; [unrolled: 4-line block ×16, first 2 shown]
	v_add_co_u32 v95, vcc_lo, s54, v96
	v_add_co_ci_u32_e32 v96, vcc_lo, s55, v97, vcc_lo
	v_add_co_u32 v97, vcc_lo, s54, v11
	v_add_co_ci_u32_e32 v98, vcc_lo, s55, v12, vcc_lo
	v_add_co_u32 v9, vcc_lo, v0, v53
	v_add_co_ci_u32_e32 v10, vcc_lo, 0, v10, vcc_lo
	v_add_co_u32 v11, vcc_lo, v13, v53
	v_add_co_ci_u32_e32 v12, vcc_lo, 0, v20, vcc_lo
	v_add_co_u32 v18, vcc_lo, v29, v102
	v_add_co_ci_u32_e32 v19, vcc_lo, 0, v30, vcc_lo
	v_add_co_u32 v29, vcc_lo, v31, v103
	v_add_co_ci_u32_e32 v30, vcc_lo, 0, v62, vcc_lo
	v_add_co_u32 v62, vcc_lo, v63, v104
	v_add_co_ci_u32_e32 v63, vcc_lo, 0, v64, vcc_lo
	v_add_co_u32 v64, vcc_lo, v65, v105
	v_add_co_ci_u32_e32 v65, vcc_lo, 0, v66, vcc_lo
	v_add_co_u32 v66, vcc_lo, v67, v106
	v_add_co_ci_u32_e32 v67, vcc_lo, 0, v68, vcc_lo
	v_add_co_u32 v68, vcc_lo, v69, v107
	v_add_co_ci_u32_e32 v69, vcc_lo, 0, v70, vcc_lo
	v_add_co_u32 v70, vcc_lo, v71, v108
	v_add_co_ci_u32_e32 v71, vcc_lo, 0, v72, vcc_lo
	v_add_co_u32 v72, vcc_lo, v73, v109
	v_add_co_ci_u32_e32 v73, vcc_lo, 0, v74, vcc_lo
	v_add_co_u32 v74, vcc_lo, v75, v110
	v_add_co_ci_u32_e32 v75, vcc_lo, 0, v76, vcc_lo
	v_add_co_u32 v76, vcc_lo, v77, v111
	v_add_co_ci_u32_e32 v77, vcc_lo, 0, v78, vcc_lo
	v_add_co_u32 v78, vcc_lo, v79, v112
	v_add_co_ci_u32_e32 v79, vcc_lo, 0, v80, vcc_lo
	v_add_co_u32 v80, vcc_lo, v81, v113
	v_add_co_ci_u32_e32 v81, vcc_lo, 0, v82, vcc_lo
	v_add_co_u32 v82, vcc_lo, v83, v114
	v_add_co_ci_u32_e32 v83, vcc_lo, 0, v84, vcc_lo
	v_add_co_u32 v84, vcc_lo, v85, v115
	v_add_co_ci_u32_e32 v85, vcc_lo, 0, v86, vcc_lo
	v_add_co_u32 v86, vcc_lo, v87, v116
	v_add_co_ci_u32_e32 v87, vcc_lo, 0, v88, vcc_lo
	v_add_co_u32 v88, vcc_lo, v89, v117
	v_add_co_ci_u32_e32 v89, vcc_lo, 0, v90, vcc_lo
	v_add_co_u32 v90, vcc_lo, v91, v118
	v_add_co_ci_u32_e32 v91, vcc_lo, 0, v92, vcc_lo
	v_add_co_u32 v92, vcc_lo, v93, v119
	v_add_co_ci_u32_e32 v93, vcc_lo, 0, v94, vcc_lo
	v_add_co_u32 v94, vcc_lo, v95, v120
	v_add_co_ci_u32_e32 v95, vcc_lo, 0, v96, vcc_lo
	v_add_co_u32 v96, vcc_lo, v97, v121
	v_add_co_ci_u32_e32 v97, vcc_lo, 0, v98, vcc_lo
	s_clause 0x15
	global_store_b64 v[9:10], v[5:6], off
	global_store_b64 v[11:12], v[7:8], off offset:2048
	global_store_b64 v[18:19], v[32:33], off
	global_store_b64 v[29:30], v[34:35], off
	;; [unrolled: 1-line block ×20, first 2 shown]
.LBB24_280:
	s_and_b32 vcc_lo, exec_lo, s2
	s_cbranch_vccnz .LBB24_282
; %bb.281:
	s_nop 0
	s_sendmsg sendmsg(MSG_DEALLOC_VGPRS)
	s_endpgm
.LBB24_282:
	ds_load_b64 v[5:6], v53
	v_lshlrev_b64 v[0:1], 3, v[1:2]
	v_add_co_u32 v2, vcc_lo, v3, v52
	v_add_co_ci_u32_e32 v3, vcc_lo, 0, v4, vcc_lo
	s_delay_alu instid0(VALU_DEP_3) | instskip(NEXT) | instid1(VALU_DEP_4)
	v_add_co_u32 v0, vcc_lo, s58, v0
	v_add_co_ci_u32_e32 v1, vcc_lo, s59, v1, vcc_lo
	s_waitcnt lgkmcnt(0)
	v_add_co_u32 v2, vcc_lo, v2, v5
	v_add_co_ci_u32_e32 v3, vcc_lo, v3, v6, vcc_lo
	global_store_b64 v[0:1], v[2:3], off
	s_nop 0
	s_sendmsg sendmsg(MSG_DEALLOC_VGPRS)
	s_endpgm
.LBB24_283:
	global_load_b64 v[5:6], v[49:50], off
	s_or_b32 exec_lo, exec_lo, s47
                                        ; implicit-def: $vgpr7_vgpr8
	s_and_saveexec_b32 s47, s2
	s_cbranch_execz .LBB24_151
.LBB24_284:
	global_load_b64 v[7:8], v[49:50], off offset:256
	s_or_b32 exec_lo, exec_lo, s47
                                        ; implicit-def: $vgpr9_vgpr10
	s_and_saveexec_b32 s2, s3
	s_cbranch_execz .LBB24_152
.LBB24_285:
	global_load_b64 v[9:10], v[49:50], off offset:512
	s_or_b32 exec_lo, exec_lo, s2
                                        ; implicit-def: $vgpr11_vgpr12
	s_and_saveexec_b32 s2, s4
	s_cbranch_execz .LBB24_153
.LBB24_286:
	global_load_b64 v[11:12], v[49:50], off offset:768
	s_or_b32 exec_lo, exec_lo, s2
                                        ; implicit-def: $vgpr13_vgpr14
	s_and_saveexec_b32 s2, s5
	s_cbranch_execz .LBB24_154
.LBB24_287:
	global_load_b64 v[13:14], v[49:50], off offset:1024
	s_or_b32 exec_lo, exec_lo, s2
                                        ; implicit-def: $vgpr15_vgpr16
	s_and_saveexec_b32 s2, s6
	s_cbranch_execz .LBB24_155
.LBB24_288:
	global_load_b64 v[15:16], v[49:50], off offset:1280
	s_or_b32 exec_lo, exec_lo, s2
                                        ; implicit-def: $vgpr17_vgpr18
	s_and_saveexec_b32 s2, s7
	s_cbranch_execz .LBB24_156
.LBB24_289:
	global_load_b64 v[17:18], v[49:50], off offset:1536
	s_or_b32 exec_lo, exec_lo, s2
                                        ; implicit-def: $vgpr19_vgpr20
	s_and_saveexec_b32 s2, s8
	s_cbranch_execz .LBB24_157
.LBB24_290:
	global_load_b64 v[19:20], v[49:50], off offset:1792
	s_or_b32 exec_lo, exec_lo, s2
                                        ; implicit-def: $vgpr21_vgpr22
	s_and_saveexec_b32 s2, s9
	s_cbranch_execz .LBB24_158
.LBB24_291:
	global_load_b64 v[21:22], v[49:50], off offset:2048
	s_or_b32 exec_lo, exec_lo, s2
                                        ; implicit-def: $vgpr23_vgpr24
	s_and_saveexec_b32 s2, s10
	s_cbranch_execz .LBB24_159
.LBB24_292:
	global_load_b64 v[23:24], v[49:50], off offset:2304
	s_or_b32 exec_lo, exec_lo, s2
                                        ; implicit-def: $vgpr25_vgpr26
	s_and_saveexec_b32 s2, s11
	s_cbranch_execz .LBB24_160
.LBB24_293:
	global_load_b64 v[25:26], v[49:50], off offset:2560
	s_or_b32 exec_lo, exec_lo, s2
                                        ; implicit-def: $vgpr27_vgpr28
	s_and_saveexec_b32 s2, s12
	s_cbranch_execz .LBB24_161
.LBB24_294:
	global_load_b64 v[27:28], v[49:50], off offset:2816
	s_or_b32 exec_lo, exec_lo, s2
                                        ; implicit-def: $vgpr29_vgpr30
	s_and_saveexec_b32 s2, s13
	s_cbranch_execz .LBB24_162
.LBB24_295:
	global_load_b64 v[29:30], v[49:50], off offset:3072
	s_or_b32 exec_lo, exec_lo, s2
                                        ; implicit-def: $vgpr31_vgpr32
	s_and_saveexec_b32 s2, s14
	s_cbranch_execz .LBB24_163
.LBB24_296:
	global_load_b64 v[31:32], v[49:50], off offset:3328
	s_or_b32 exec_lo, exec_lo, s2
                                        ; implicit-def: $vgpr33_vgpr34
	s_and_saveexec_b32 s2, s16
	s_cbranch_execz .LBB24_164
.LBB24_297:
	global_load_b64 v[33:34], v[49:50], off offset:3584
	s_or_b32 exec_lo, exec_lo, s2
                                        ; implicit-def: $vgpr35_vgpr36
	s_and_saveexec_b32 s2, s18
	s_cbranch_execz .LBB24_165
.LBB24_298:
	global_load_b64 v[35:36], v[49:50], off offset:3840
	s_or_b32 exec_lo, exec_lo, s2
                                        ; implicit-def: $vgpr37_vgpr38
	s_and_saveexec_b32 s2, s23
	s_cbranch_execz .LBB24_166
.LBB24_299:
	v_add_co_u32 v37, vcc_lo, 0x1000, v49
	v_add_co_ci_u32_e32 v38, vcc_lo, 0, v50, vcc_lo
	global_load_b64 v[37:38], v[37:38], off
	s_or_b32 exec_lo, exec_lo, s2
                                        ; implicit-def: $vgpr39_vgpr40
	s_and_saveexec_b32 s2, s21
	s_cbranch_execz .LBB24_167
.LBB24_300:
	v_add_co_u32 v39, vcc_lo, 0x1000, v49
	v_add_co_ci_u32_e32 v40, vcc_lo, 0, v50, vcc_lo
	global_load_b64 v[39:40], v[39:40], off offset:256
	s_or_b32 exec_lo, exec_lo, s2
                                        ; implicit-def: $vgpr41_vgpr42
	s_and_saveexec_b32 s2, s22
	s_cbranch_execz .LBB24_168
.LBB24_301:
	v_add_co_u32 v41, vcc_lo, 0x1000, v49
	v_add_co_ci_u32_e32 v42, vcc_lo, 0, v50, vcc_lo
	global_load_b64 v[41:42], v[41:42], off offset:512
	s_or_b32 exec_lo, exec_lo, s2
                                        ; implicit-def: $vgpr43_vgpr44
	s_and_saveexec_b32 s2, s19
	s_cbranch_execz .LBB24_169
.LBB24_302:
	v_add_co_u32 v43, vcc_lo, 0x1000, v49
	v_add_co_ci_u32_e32 v44, vcc_lo, 0, v50, vcc_lo
	global_load_b64 v[43:44], v[43:44], off offset:768
	s_or_b32 exec_lo, exec_lo, s2
                                        ; implicit-def: $vgpr45_vgpr46
	s_and_saveexec_b32 s2, s20
	s_cbranch_execz .LBB24_170
.LBB24_303:
	v_add_co_u32 v45, vcc_lo, 0x1000, v49
	v_add_co_ci_u32_e32 v46, vcc_lo, 0, v50, vcc_lo
	global_load_b64 v[45:46], v[45:46], off offset:1024
	s_or_b32 exec_lo, exec_lo, s2
                                        ; implicit-def: $vgpr47_vgpr48
	s_and_saveexec_b32 s2, s17
	s_cbranch_execz .LBB24_171
.LBB24_304:
	v_add_co_u32 v47, vcc_lo, 0x1000, v49
	v_add_co_ci_u32_e32 v48, vcc_lo, 0, v50, vcc_lo
	global_load_b64 v[47:48], v[47:48], off offset:1280
	s_or_b32 exec_lo, exec_lo, s2
                                        ; implicit-def: $vgpr115
	s_and_saveexec_b32 s2, s40
	s_cbranch_execz .LBB24_172
.LBB24_305:
	ds_load_u8 v49, v1 offset:2048
	s_waitcnt lgkmcnt(0)
	v_lshrrev_b32_e32 v49, s60, v49
	s_delay_alu instid0(VALU_DEP_1)
	v_and_b32_e32 v115, s68, v49
	s_or_b32 exec_lo, exec_lo, s2
                                        ; implicit-def: $vgpr114
	s_and_saveexec_b32 s2, s45
	s_cbranch_execz .LBB24_173
.LBB24_306:
	ds_load_u8 v49, v1 offset:2304
	s_waitcnt lgkmcnt(0)
	v_lshrrev_b32_e32 v49, s60, v49
	s_delay_alu instid0(VALU_DEP_1)
	v_and_b32_e32 v114, s68, v49
	s_or_b32 exec_lo, exec_lo, s2
                                        ; implicit-def: $vgpr113
	s_and_saveexec_b32 s2, s46
	s_cbranch_execz .LBB24_174
.LBB24_307:
	ds_load_u8 v49, v1 offset:2560
	s_waitcnt lgkmcnt(0)
	v_lshrrev_b32_e32 v49, s60, v49
	s_delay_alu instid0(VALU_DEP_1)
	v_and_b32_e32 v113, s68, v49
	s_or_b32 exec_lo, exec_lo, s2
                                        ; implicit-def: $vgpr112
	s_and_saveexec_b32 s2, s44
	s_cbranch_execz .LBB24_175
.LBB24_308:
	ds_load_u8 v49, v1 offset:2816
	s_waitcnt lgkmcnt(0)
	v_lshrrev_b32_e32 v49, s60, v49
	s_delay_alu instid0(VALU_DEP_1)
	v_and_b32_e32 v112, s68, v49
	s_or_b32 exec_lo, exec_lo, s2
                                        ; implicit-def: $vgpr111
	s_and_saveexec_b32 s2, s43
	s_cbranch_execz .LBB24_176
.LBB24_309:
	ds_load_u8 v49, v1 offset:3072
	s_waitcnt lgkmcnt(0)
	v_lshrrev_b32_e32 v49, s60, v49
	s_delay_alu instid0(VALU_DEP_1)
	v_and_b32_e32 v111, s68, v49
	s_or_b32 exec_lo, exec_lo, s2
                                        ; implicit-def: $vgpr110
	s_and_saveexec_b32 s2, s42
	s_cbranch_execz .LBB24_177
.LBB24_310:
	ds_load_u8 v49, v1 offset:3328
	s_waitcnt lgkmcnt(0)
	v_lshrrev_b32_e32 v49, s60, v49
	s_delay_alu instid0(VALU_DEP_1)
	v_and_b32_e32 v110, s68, v49
	s_or_b32 exec_lo, exec_lo, s2
                                        ; implicit-def: $vgpr109
	s_and_saveexec_b32 s2, s41
	s_cbranch_execz .LBB24_178
.LBB24_311:
	ds_load_u8 v49, v1 offset:3584
	s_waitcnt lgkmcnt(0)
	v_lshrrev_b32_e32 v49, s60, v49
	s_delay_alu instid0(VALU_DEP_1)
	v_and_b32_e32 v109, s68, v49
	s_or_b32 exec_lo, exec_lo, s2
                                        ; implicit-def: $vgpr108
	s_and_saveexec_b32 s2, s39
	s_cbranch_execz .LBB24_179
.LBB24_312:
	ds_load_u8 v49, v1 offset:3840
	s_waitcnt lgkmcnt(0)
	v_lshrrev_b32_e32 v49, s60, v49
	s_delay_alu instid0(VALU_DEP_1)
	v_and_b32_e32 v108, s68, v49
	s_or_b32 exec_lo, exec_lo, s2
                                        ; implicit-def: $vgpr107
	s_and_saveexec_b32 s2, s38
	s_cbranch_execz .LBB24_180
.LBB24_313:
	ds_load_u8 v49, v1 offset:4096
	s_waitcnt lgkmcnt(0)
	v_lshrrev_b32_e32 v49, s60, v49
	s_delay_alu instid0(VALU_DEP_1)
	v_and_b32_e32 v107, s68, v49
	s_or_b32 exec_lo, exec_lo, s2
                                        ; implicit-def: $vgpr106
	s_and_saveexec_b32 s2, s37
	s_cbranch_execz .LBB24_181
.LBB24_314:
	ds_load_u8 v49, v1 offset:4352
	s_waitcnt lgkmcnt(0)
	v_lshrrev_b32_e32 v49, s60, v49
	s_delay_alu instid0(VALU_DEP_1)
	v_and_b32_e32 v106, s68, v49
	s_or_b32 exec_lo, exec_lo, s2
                                        ; implicit-def: $vgpr105
	s_and_saveexec_b32 s2, s36
	s_cbranch_execz .LBB24_182
.LBB24_315:
	ds_load_u8 v49, v1 offset:4608
	s_waitcnt lgkmcnt(0)
	v_lshrrev_b32_e32 v49, s60, v49
	s_delay_alu instid0(VALU_DEP_1)
	v_and_b32_e32 v105, s68, v49
	s_or_b32 exec_lo, exec_lo, s2
                                        ; implicit-def: $vgpr104
	s_and_saveexec_b32 s2, s35
	s_cbranch_execz .LBB24_183
.LBB24_316:
	ds_load_u8 v49, v1 offset:4864
	s_waitcnt lgkmcnt(0)
	v_lshrrev_b32_e32 v49, s60, v49
	s_delay_alu instid0(VALU_DEP_1)
	v_and_b32_e32 v104, s68, v49
	s_or_b32 exec_lo, exec_lo, s2
                                        ; implicit-def: $vgpr103
	s_and_saveexec_b32 s2, s34
	s_cbranch_execz .LBB24_184
.LBB24_317:
	ds_load_u8 v49, v1 offset:5120
	s_waitcnt lgkmcnt(0)
	v_lshrrev_b32_e32 v49, s60, v49
	s_delay_alu instid0(VALU_DEP_1)
	v_and_b32_e32 v103, s68, v49
	s_or_b32 exec_lo, exec_lo, s2
                                        ; implicit-def: $vgpr102
	s_and_saveexec_b32 s2, s33
	s_cbranch_execz .LBB24_185
.LBB24_318:
	ds_load_u8 v49, v1 offset:5376
	s_waitcnt lgkmcnt(0)
	v_lshrrev_b32_e32 v49, s60, v49
	s_delay_alu instid0(VALU_DEP_1)
	v_and_b32_e32 v102, s68, v49
	s_or_b32 exec_lo, exec_lo, s2
                                        ; implicit-def: $vgpr101
	s_and_saveexec_b32 s2, s31
	s_cbranch_execz .LBB24_186
.LBB24_319:
	ds_load_u8 v49, v1 offset:5632
	s_waitcnt lgkmcnt(0)
	v_lshrrev_b32_e32 v49, s60, v49
	s_delay_alu instid0(VALU_DEP_1)
	v_and_b32_e32 v101, s68, v49
	s_or_b32 exec_lo, exec_lo, s2
                                        ; implicit-def: $vgpr100
	s_and_saveexec_b32 s2, s30
	s_cbranch_execz .LBB24_187
.LBB24_320:
	ds_load_u8 v49, v1 offset:5888
	s_waitcnt lgkmcnt(0)
	v_lshrrev_b32_e32 v49, s60, v49
	s_delay_alu instid0(VALU_DEP_1)
	v_and_b32_e32 v100, s68, v49
	s_or_b32 exec_lo, exec_lo, s2
                                        ; implicit-def: $vgpr99
	s_and_saveexec_b32 s2, s29
	s_cbranch_execz .LBB24_188
.LBB24_321:
	ds_load_u8 v49, v1 offset:6144
	s_waitcnt lgkmcnt(0)
	v_lshrrev_b32_e32 v49, s60, v49
	s_delay_alu instid0(VALU_DEP_1)
	v_and_b32_e32 v99, s68, v49
	s_or_b32 exec_lo, exec_lo, s2
                                        ; implicit-def: $vgpr98
	s_and_saveexec_b32 s2, s28
	s_cbranch_execz .LBB24_189
.LBB24_322:
	ds_load_u8 v49, v1 offset:6400
	s_waitcnt lgkmcnt(0)
	v_lshrrev_b32_e32 v49, s60, v49
	s_delay_alu instid0(VALU_DEP_1)
	v_and_b32_e32 v98, s68, v49
	s_or_b32 exec_lo, exec_lo, s2
                                        ; implicit-def: $vgpr97
	s_and_saveexec_b32 s2, s27
	s_cbranch_execz .LBB24_190
.LBB24_323:
	ds_load_u8 v49, v1 offset:6656
	s_waitcnt lgkmcnt(0)
	v_lshrrev_b32_e32 v49, s60, v49
	s_delay_alu instid0(VALU_DEP_1)
	v_and_b32_e32 v97, s68, v49
	s_or_b32 exec_lo, exec_lo, s2
                                        ; implicit-def: $vgpr96
	s_and_saveexec_b32 s2, s26
	s_cbranch_execz .LBB24_191
.LBB24_324:
	ds_load_u8 v49, v1 offset:6912
	s_waitcnt lgkmcnt(0)
	v_lshrrev_b32_e32 v49, s60, v49
	s_delay_alu instid0(VALU_DEP_1)
	v_and_b32_e32 v96, s68, v49
	s_or_b32 exec_lo, exec_lo, s2
                                        ; implicit-def: $vgpr50
	s_and_saveexec_b32 s2, s25
	s_cbranch_execz .LBB24_192
.LBB24_325:
	ds_load_u8 v49, v1 offset:7168
	s_waitcnt lgkmcnt(0)
	v_lshrrev_b32_e32 v49, s60, v49
	s_delay_alu instid0(VALU_DEP_1)
	v_and_b32_e32 v50, s68, v49
	s_or_b32 exec_lo, exec_lo, s2
                                        ; implicit-def: $vgpr49
	s_and_saveexec_b32 s2, s24
	s_cbranch_execnz .LBB24_193
	s_branch .LBB24_194
.LBB24_326:
	v_lshlrev_b32_e32 v5, 3, v115
	ds_load_b64 v[5:6], v5
	ds_load_b64 v[7:8], v53 offset:2048
	s_waitcnt lgkmcnt(1)
	v_lshlrev_b64 v[5:6], 3, v[5:6]
	s_delay_alu instid0(VALU_DEP_1) | instskip(NEXT) | instid1(VALU_DEP_2)
	v_add_co_u32 v5, vcc_lo, s54, v5
	v_add_co_ci_u32_e32 v6, vcc_lo, s55, v6, vcc_lo
	s_delay_alu instid0(VALU_DEP_2) | instskip(NEXT) | instid1(VALU_DEP_2)
	v_add_co_u32 v5, vcc_lo, v5, v53
	v_add_co_ci_u32_e32 v6, vcc_lo, 0, v6, vcc_lo
	s_waitcnt lgkmcnt(0)
	global_store_b64 v[5:6], v[7:8], off
	s_or_b32 exec_lo, exec_lo, s2
	s_and_saveexec_b32 s2, s45
	s_cbranch_execz .LBB24_196
.LBB24_327:
	v_lshlrev_b32_e32 v5, 3, v114
	v_lshlrev_b32_e32 v9, 3, v1
	ds_load_b64 v[5:6], v5
	ds_load_b64 v[7:8], v9 offset:4096
	s_waitcnt lgkmcnt(1)
	v_lshlrev_b64 v[5:6], 3, v[5:6]
	s_delay_alu instid0(VALU_DEP_1) | instskip(NEXT) | instid1(VALU_DEP_2)
	v_add_co_u32 v5, vcc_lo, s54, v5
	v_add_co_ci_u32_e32 v6, vcc_lo, s55, v6, vcc_lo
	s_delay_alu instid0(VALU_DEP_2) | instskip(NEXT) | instid1(VALU_DEP_2)
	v_add_co_u32 v5, vcc_lo, v5, v9
	v_add_co_ci_u32_e32 v6, vcc_lo, 0, v6, vcc_lo
	s_waitcnt lgkmcnt(0)
	global_store_b64 v[5:6], v[7:8], off offset:2048
	s_or_b32 exec_lo, exec_lo, s2
	s_and_saveexec_b32 s2, s46
	s_cbranch_execz .LBB24_197
.LBB24_328:
	v_lshlrev_b32_e32 v5, 3, v113
	v_lshlrev_b32_e32 v7, 3, v1
	v_lshlrev_b32_e32 v9, 3, v95
	ds_load_b64 v[5:6], v5
	ds_load_b64 v[7:8], v7 offset:6144
	s_waitcnt lgkmcnt(1)
	v_lshlrev_b64 v[5:6], 3, v[5:6]
	s_delay_alu instid0(VALU_DEP_1) | instskip(NEXT) | instid1(VALU_DEP_2)
	v_add_co_u32 v5, vcc_lo, s54, v5
	v_add_co_ci_u32_e32 v6, vcc_lo, s55, v6, vcc_lo
	s_delay_alu instid0(VALU_DEP_2) | instskip(NEXT) | instid1(VALU_DEP_2)
	v_add_co_u32 v5, vcc_lo, v5, v9
	v_add_co_ci_u32_e32 v6, vcc_lo, 0, v6, vcc_lo
	s_waitcnt lgkmcnt(0)
	global_store_b64 v[5:6], v[7:8], off
	s_or_b32 exec_lo, exec_lo, s2
	s_and_saveexec_b32 s2, s44
	s_cbranch_execz .LBB24_198
.LBB24_329:
	v_lshlrev_b32_e32 v5, 3, v112
	v_lshlrev_b32_e32 v7, 3, v1
	;; [unrolled: 1-line block ×3, first 2 shown]
	ds_load_b64 v[5:6], v5
	ds_load_b64 v[7:8], v7 offset:8192
	s_waitcnt lgkmcnt(1)
	v_lshlrev_b64 v[5:6], 3, v[5:6]
	s_delay_alu instid0(VALU_DEP_1) | instskip(NEXT) | instid1(VALU_DEP_2)
	v_add_co_u32 v5, vcc_lo, s54, v5
	v_add_co_ci_u32_e32 v6, vcc_lo, s55, v6, vcc_lo
	s_delay_alu instid0(VALU_DEP_2) | instskip(NEXT) | instid1(VALU_DEP_2)
	v_add_co_u32 v5, vcc_lo, v5, v9
	v_add_co_ci_u32_e32 v6, vcc_lo, 0, v6, vcc_lo
	s_waitcnt lgkmcnt(0)
	global_store_b64 v[5:6], v[7:8], off
	s_or_b32 exec_lo, exec_lo, s2
	s_and_saveexec_b32 s2, s43
	s_cbranch_execz .LBB24_199
.LBB24_330:
	v_lshlrev_b32_e32 v5, 3, v111
	v_lshlrev_b32_e32 v7, 3, v1
	;; [unrolled: 1-line block ×3, first 2 shown]
	ds_load_b64 v[5:6], v5
	ds_load_b64 v[7:8], v7 offset:10240
	s_waitcnt lgkmcnt(1)
	v_lshlrev_b64 v[5:6], 3, v[5:6]
	s_delay_alu instid0(VALU_DEP_1) | instskip(NEXT) | instid1(VALU_DEP_2)
	v_add_co_u32 v5, vcc_lo, s54, v5
	v_add_co_ci_u32_e32 v6, vcc_lo, s55, v6, vcc_lo
	s_delay_alu instid0(VALU_DEP_2) | instskip(NEXT) | instid1(VALU_DEP_2)
	v_add_co_u32 v5, vcc_lo, v5, v9
	v_add_co_ci_u32_e32 v6, vcc_lo, 0, v6, vcc_lo
	s_waitcnt lgkmcnt(0)
	global_store_b64 v[5:6], v[7:8], off
	s_or_b32 exec_lo, exec_lo, s2
	s_and_saveexec_b32 s2, s42
	s_cbranch_execz .LBB24_200
.LBB24_331:
	v_lshlrev_b32_e32 v5, 3, v110
	v_lshlrev_b32_e32 v7, 3, v1
	;; [unrolled: 1-line block ×3, first 2 shown]
	ds_load_b64 v[5:6], v5
	ds_load_b64 v[7:8], v7 offset:12288
	s_waitcnt lgkmcnt(1)
	v_lshlrev_b64 v[5:6], 3, v[5:6]
	s_delay_alu instid0(VALU_DEP_1) | instskip(NEXT) | instid1(VALU_DEP_2)
	v_add_co_u32 v5, vcc_lo, s54, v5
	v_add_co_ci_u32_e32 v6, vcc_lo, s55, v6, vcc_lo
	s_delay_alu instid0(VALU_DEP_2) | instskip(NEXT) | instid1(VALU_DEP_2)
	v_add_co_u32 v5, vcc_lo, v5, v9
	v_add_co_ci_u32_e32 v6, vcc_lo, 0, v6, vcc_lo
	s_waitcnt lgkmcnt(0)
	global_store_b64 v[5:6], v[7:8], off
	s_or_b32 exec_lo, exec_lo, s2
	s_and_saveexec_b32 s2, s41
	s_cbranch_execz .LBB24_201
.LBB24_332:
	v_lshlrev_b32_e32 v5, 3, v109
	v_lshlrev_b32_e32 v7, 3, v1
	;; [unrolled: 1-line block ×3, first 2 shown]
	ds_load_b64 v[5:6], v5
	ds_load_b64 v[7:8], v7 offset:14336
	s_waitcnt lgkmcnt(1)
	v_lshlrev_b64 v[5:6], 3, v[5:6]
	s_delay_alu instid0(VALU_DEP_1) | instskip(NEXT) | instid1(VALU_DEP_2)
	v_add_co_u32 v5, vcc_lo, s54, v5
	v_add_co_ci_u32_e32 v6, vcc_lo, s55, v6, vcc_lo
	s_delay_alu instid0(VALU_DEP_2) | instskip(NEXT) | instid1(VALU_DEP_2)
	v_add_co_u32 v5, vcc_lo, v5, v9
	v_add_co_ci_u32_e32 v6, vcc_lo, 0, v6, vcc_lo
	s_waitcnt lgkmcnt(0)
	global_store_b64 v[5:6], v[7:8], off
	s_or_b32 exec_lo, exec_lo, s2
	s_and_saveexec_b32 s2, s39
	s_cbranch_execz .LBB24_202
.LBB24_333:
	v_lshlrev_b32_e32 v5, 3, v108
	v_lshlrev_b32_e32 v7, 3, v1
	;; [unrolled: 1-line block ×3, first 2 shown]
	ds_load_b64 v[5:6], v5
	ds_load_b64 v[7:8], v7 offset:16384
	s_waitcnt lgkmcnt(1)
	v_lshlrev_b64 v[5:6], 3, v[5:6]
	s_delay_alu instid0(VALU_DEP_1) | instskip(NEXT) | instid1(VALU_DEP_2)
	v_add_co_u32 v5, vcc_lo, s54, v5
	v_add_co_ci_u32_e32 v6, vcc_lo, s55, v6, vcc_lo
	s_delay_alu instid0(VALU_DEP_2) | instskip(NEXT) | instid1(VALU_DEP_2)
	v_add_co_u32 v5, vcc_lo, v5, v9
	v_add_co_ci_u32_e32 v6, vcc_lo, 0, v6, vcc_lo
	s_waitcnt lgkmcnt(0)
	global_store_b64 v[5:6], v[7:8], off
	s_or_b32 exec_lo, exec_lo, s2
	s_and_saveexec_b32 s2, s38
	s_cbranch_execz .LBB24_203
.LBB24_334:
	v_lshlrev_b32_e32 v5, 3, v107
	v_lshlrev_b32_e32 v7, 3, v1
	;; [unrolled: 1-line block ×3, first 2 shown]
	ds_load_b64 v[5:6], v5
	ds_load_b64 v[7:8], v7 offset:18432
	s_waitcnt lgkmcnt(1)
	v_lshlrev_b64 v[5:6], 3, v[5:6]
	s_delay_alu instid0(VALU_DEP_1) | instskip(NEXT) | instid1(VALU_DEP_2)
	v_add_co_u32 v5, vcc_lo, s54, v5
	v_add_co_ci_u32_e32 v6, vcc_lo, s55, v6, vcc_lo
	s_delay_alu instid0(VALU_DEP_2) | instskip(NEXT) | instid1(VALU_DEP_2)
	v_add_co_u32 v5, vcc_lo, v5, v9
	v_add_co_ci_u32_e32 v6, vcc_lo, 0, v6, vcc_lo
	s_waitcnt lgkmcnt(0)
	global_store_b64 v[5:6], v[7:8], off
	s_or_b32 exec_lo, exec_lo, s2
	s_and_saveexec_b32 s2, s37
	s_cbranch_execz .LBB24_204
.LBB24_335:
	v_lshlrev_b32_e32 v5, 3, v106
	v_lshlrev_b32_e32 v7, 3, v1
	;; [unrolled: 1-line block ×3, first 2 shown]
	ds_load_b64 v[5:6], v5
	ds_load_b64 v[7:8], v7 offset:20480
	s_waitcnt lgkmcnt(1)
	v_lshlrev_b64 v[5:6], 3, v[5:6]
	s_delay_alu instid0(VALU_DEP_1) | instskip(NEXT) | instid1(VALU_DEP_2)
	v_add_co_u32 v5, vcc_lo, s54, v5
	v_add_co_ci_u32_e32 v6, vcc_lo, s55, v6, vcc_lo
	s_delay_alu instid0(VALU_DEP_2) | instskip(NEXT) | instid1(VALU_DEP_2)
	v_add_co_u32 v5, vcc_lo, v5, v9
	v_add_co_ci_u32_e32 v6, vcc_lo, 0, v6, vcc_lo
	s_waitcnt lgkmcnt(0)
	global_store_b64 v[5:6], v[7:8], off
	s_or_b32 exec_lo, exec_lo, s2
	s_and_saveexec_b32 s2, s36
	s_cbranch_execz .LBB24_205
.LBB24_336:
	v_lshlrev_b32_e32 v5, 3, v105
	v_lshlrev_b32_e32 v7, 3, v1
	;; [unrolled: 1-line block ×3, first 2 shown]
	ds_load_b64 v[5:6], v5
	ds_load_b64 v[7:8], v7 offset:22528
	s_waitcnt lgkmcnt(1)
	v_lshlrev_b64 v[5:6], 3, v[5:6]
	s_delay_alu instid0(VALU_DEP_1) | instskip(NEXT) | instid1(VALU_DEP_2)
	v_add_co_u32 v5, vcc_lo, s54, v5
	v_add_co_ci_u32_e32 v6, vcc_lo, s55, v6, vcc_lo
	s_delay_alu instid0(VALU_DEP_2) | instskip(NEXT) | instid1(VALU_DEP_2)
	v_add_co_u32 v5, vcc_lo, v5, v9
	v_add_co_ci_u32_e32 v6, vcc_lo, 0, v6, vcc_lo
	s_waitcnt lgkmcnt(0)
	global_store_b64 v[5:6], v[7:8], off
	s_or_b32 exec_lo, exec_lo, s2
	s_and_saveexec_b32 s2, s35
	s_cbranch_execz .LBB24_206
.LBB24_337:
	v_lshlrev_b32_e32 v5, 3, v104
	v_lshlrev_b32_e32 v7, 3, v1
	;; [unrolled: 1-line block ×3, first 2 shown]
	ds_load_b64 v[5:6], v5
	ds_load_b64 v[7:8], v7 offset:24576
	s_waitcnt lgkmcnt(1)
	v_lshlrev_b64 v[5:6], 3, v[5:6]
	s_delay_alu instid0(VALU_DEP_1) | instskip(NEXT) | instid1(VALU_DEP_2)
	v_add_co_u32 v5, vcc_lo, s54, v5
	v_add_co_ci_u32_e32 v6, vcc_lo, s55, v6, vcc_lo
	s_delay_alu instid0(VALU_DEP_2) | instskip(NEXT) | instid1(VALU_DEP_2)
	v_add_co_u32 v5, vcc_lo, v5, v9
	v_add_co_ci_u32_e32 v6, vcc_lo, 0, v6, vcc_lo
	s_waitcnt lgkmcnt(0)
	global_store_b64 v[5:6], v[7:8], off
	s_or_b32 exec_lo, exec_lo, s2
	s_and_saveexec_b32 s2, s34
	s_cbranch_execz .LBB24_207
.LBB24_338:
	v_lshlrev_b32_e32 v5, 3, v103
	v_lshlrev_b32_e32 v7, 3, v1
	;; [unrolled: 1-line block ×3, first 2 shown]
	ds_load_b64 v[5:6], v5
	ds_load_b64 v[7:8], v7 offset:26624
	s_waitcnt lgkmcnt(1)
	v_lshlrev_b64 v[5:6], 3, v[5:6]
	s_delay_alu instid0(VALU_DEP_1) | instskip(NEXT) | instid1(VALU_DEP_2)
	v_add_co_u32 v5, vcc_lo, s54, v5
	v_add_co_ci_u32_e32 v6, vcc_lo, s55, v6, vcc_lo
	s_delay_alu instid0(VALU_DEP_2) | instskip(NEXT) | instid1(VALU_DEP_2)
	v_add_co_u32 v5, vcc_lo, v5, v9
	v_add_co_ci_u32_e32 v6, vcc_lo, 0, v6, vcc_lo
	s_waitcnt lgkmcnt(0)
	global_store_b64 v[5:6], v[7:8], off
	s_or_b32 exec_lo, exec_lo, s2
	s_and_saveexec_b32 s2, s33
	s_cbranch_execz .LBB24_208
.LBB24_339:
	v_lshlrev_b32_e32 v5, 3, v102
	v_lshlrev_b32_e32 v7, 3, v1
	;; [unrolled: 1-line block ×3, first 2 shown]
	ds_load_b64 v[5:6], v5
	ds_load_b64 v[7:8], v7 offset:28672
	s_waitcnt lgkmcnt(1)
	v_lshlrev_b64 v[5:6], 3, v[5:6]
	s_delay_alu instid0(VALU_DEP_1) | instskip(NEXT) | instid1(VALU_DEP_2)
	v_add_co_u32 v5, vcc_lo, s54, v5
	v_add_co_ci_u32_e32 v6, vcc_lo, s55, v6, vcc_lo
	s_delay_alu instid0(VALU_DEP_2) | instskip(NEXT) | instid1(VALU_DEP_2)
	v_add_co_u32 v5, vcc_lo, v5, v9
	v_add_co_ci_u32_e32 v6, vcc_lo, 0, v6, vcc_lo
	s_waitcnt lgkmcnt(0)
	global_store_b64 v[5:6], v[7:8], off
	s_or_b32 exec_lo, exec_lo, s2
	s_and_saveexec_b32 s2, s31
	s_cbranch_execz .LBB24_209
.LBB24_340:
	v_lshlrev_b32_e32 v5, 3, v101
	v_lshlrev_b32_e32 v7, 3, v1
	;; [unrolled: 1-line block ×3, first 2 shown]
	ds_load_b64 v[5:6], v5
	ds_load_b64 v[7:8], v7 offset:30720
	s_waitcnt lgkmcnt(1)
	v_lshlrev_b64 v[5:6], 3, v[5:6]
	s_delay_alu instid0(VALU_DEP_1) | instskip(NEXT) | instid1(VALU_DEP_2)
	v_add_co_u32 v5, vcc_lo, s54, v5
	v_add_co_ci_u32_e32 v6, vcc_lo, s55, v6, vcc_lo
	s_delay_alu instid0(VALU_DEP_2) | instskip(NEXT) | instid1(VALU_DEP_2)
	v_add_co_u32 v5, vcc_lo, v5, v9
	v_add_co_ci_u32_e32 v6, vcc_lo, 0, v6, vcc_lo
	s_waitcnt lgkmcnt(0)
	global_store_b64 v[5:6], v[7:8], off
	s_or_b32 exec_lo, exec_lo, s2
	s_and_saveexec_b32 s2, s30
	s_cbranch_execz .LBB24_210
.LBB24_341:
	v_lshlrev_b32_e32 v5, 3, v100
	v_lshlrev_b32_e32 v7, 3, v1
	;; [unrolled: 1-line block ×3, first 2 shown]
	ds_load_b64 v[5:6], v5
	ds_load_b64 v[7:8], v7 offset:32768
	s_waitcnt lgkmcnt(1)
	v_lshlrev_b64 v[5:6], 3, v[5:6]
	s_delay_alu instid0(VALU_DEP_1) | instskip(NEXT) | instid1(VALU_DEP_2)
	v_add_co_u32 v5, vcc_lo, s54, v5
	v_add_co_ci_u32_e32 v6, vcc_lo, s55, v6, vcc_lo
	s_delay_alu instid0(VALU_DEP_2) | instskip(NEXT) | instid1(VALU_DEP_2)
	v_add_co_u32 v5, vcc_lo, v5, v9
	v_add_co_ci_u32_e32 v6, vcc_lo, 0, v6, vcc_lo
	s_waitcnt lgkmcnt(0)
	global_store_b64 v[5:6], v[7:8], off
	s_or_b32 exec_lo, exec_lo, s2
	s_and_saveexec_b32 s2, s29
	s_cbranch_execz .LBB24_211
.LBB24_342:
	v_lshlrev_b32_e32 v5, 3, v99
	v_lshlrev_b32_e32 v7, 3, v1
	;; [unrolled: 1-line block ×3, first 2 shown]
	ds_load_b64 v[5:6], v5
	ds_load_b64 v[7:8], v7 offset:34816
	s_waitcnt lgkmcnt(1)
	v_lshlrev_b64 v[5:6], 3, v[5:6]
	s_delay_alu instid0(VALU_DEP_1) | instskip(NEXT) | instid1(VALU_DEP_2)
	v_add_co_u32 v5, vcc_lo, s54, v5
	v_add_co_ci_u32_e32 v6, vcc_lo, s55, v6, vcc_lo
	s_delay_alu instid0(VALU_DEP_2) | instskip(NEXT) | instid1(VALU_DEP_2)
	v_add_co_u32 v5, vcc_lo, v5, v9
	v_add_co_ci_u32_e32 v6, vcc_lo, 0, v6, vcc_lo
	s_waitcnt lgkmcnt(0)
	global_store_b64 v[5:6], v[7:8], off
	s_or_b32 exec_lo, exec_lo, s2
	s_and_saveexec_b32 s2, s28
	s_cbranch_execz .LBB24_212
.LBB24_343:
	v_lshlrev_b32_e32 v5, 3, v98
	v_lshlrev_b32_e32 v7, 3, v1
	;; [unrolled: 1-line block ×3, first 2 shown]
	ds_load_b64 v[5:6], v5
	ds_load_b64 v[7:8], v7 offset:36864
	s_waitcnt lgkmcnt(1)
	v_lshlrev_b64 v[5:6], 3, v[5:6]
	s_delay_alu instid0(VALU_DEP_1) | instskip(NEXT) | instid1(VALU_DEP_2)
	v_add_co_u32 v5, vcc_lo, s54, v5
	v_add_co_ci_u32_e32 v6, vcc_lo, s55, v6, vcc_lo
	s_delay_alu instid0(VALU_DEP_2) | instskip(NEXT) | instid1(VALU_DEP_2)
	v_add_co_u32 v5, vcc_lo, v5, v9
	v_add_co_ci_u32_e32 v6, vcc_lo, 0, v6, vcc_lo
	s_waitcnt lgkmcnt(0)
	global_store_b64 v[5:6], v[7:8], off
	s_or_b32 exec_lo, exec_lo, s2
	s_and_saveexec_b32 s2, s27
	s_cbranch_execz .LBB24_213
.LBB24_344:
	v_lshlrev_b32_e32 v5, 3, v97
	v_lshlrev_b32_e32 v7, 3, v1
	;; [unrolled: 1-line block ×3, first 2 shown]
	ds_load_b64 v[5:6], v5
	ds_load_b64 v[7:8], v7 offset:38912
	s_waitcnt lgkmcnt(1)
	v_lshlrev_b64 v[5:6], 3, v[5:6]
	s_delay_alu instid0(VALU_DEP_1) | instskip(NEXT) | instid1(VALU_DEP_2)
	v_add_co_u32 v5, vcc_lo, s54, v5
	v_add_co_ci_u32_e32 v6, vcc_lo, s55, v6, vcc_lo
	s_delay_alu instid0(VALU_DEP_2) | instskip(NEXT) | instid1(VALU_DEP_2)
	v_add_co_u32 v5, vcc_lo, v5, v9
	v_add_co_ci_u32_e32 v6, vcc_lo, 0, v6, vcc_lo
	s_waitcnt lgkmcnt(0)
	global_store_b64 v[5:6], v[7:8], off
	s_or_b32 exec_lo, exec_lo, s2
	s_and_saveexec_b32 s2, s26
	s_cbranch_execz .LBB24_214
.LBB24_345:
	v_lshlrev_b32_e32 v5, 3, v96
	v_lshlrev_b32_e32 v7, 3, v1
	;; [unrolled: 1-line block ×3, first 2 shown]
	ds_load_b64 v[5:6], v5
	ds_load_b64 v[7:8], v7 offset:40960
	s_waitcnt lgkmcnt(1)
	v_lshlrev_b64 v[5:6], 3, v[5:6]
	s_delay_alu instid0(VALU_DEP_1) | instskip(NEXT) | instid1(VALU_DEP_2)
	v_add_co_u32 v5, vcc_lo, s54, v5
	v_add_co_ci_u32_e32 v6, vcc_lo, s55, v6, vcc_lo
	s_delay_alu instid0(VALU_DEP_2) | instskip(NEXT) | instid1(VALU_DEP_2)
	v_add_co_u32 v5, vcc_lo, v5, v9
	v_add_co_ci_u32_e32 v6, vcc_lo, 0, v6, vcc_lo
	s_waitcnt lgkmcnt(0)
	global_store_b64 v[5:6], v[7:8], off
	s_or_b32 exec_lo, exec_lo, s2
	s_and_saveexec_b32 s2, s25
	s_cbranch_execz .LBB24_215
.LBB24_346:
	v_lshlrev_b32_e32 v5, 3, v50
	v_lshlrev_b32_e32 v7, 3, v1
	;; [unrolled: 1-line block ×3, first 2 shown]
	ds_load_b64 v[5:6], v5
	ds_load_b64 v[7:8], v7 offset:43008
	s_waitcnt lgkmcnt(1)
	v_lshlrev_b64 v[5:6], 3, v[5:6]
	s_delay_alu instid0(VALU_DEP_1) | instskip(NEXT) | instid1(VALU_DEP_2)
	v_add_co_u32 v5, vcc_lo, s54, v5
	v_add_co_ci_u32_e32 v6, vcc_lo, s55, v6, vcc_lo
	s_delay_alu instid0(VALU_DEP_2) | instskip(NEXT) | instid1(VALU_DEP_2)
	v_add_co_u32 v5, vcc_lo, v5, v9
	v_add_co_ci_u32_e32 v6, vcc_lo, 0, v6, vcc_lo
	s_waitcnt lgkmcnt(0)
	global_store_b64 v[5:6], v[7:8], off
	s_or_b32 exec_lo, exec_lo, s2
	s_and_saveexec_b32 s2, s24
	s_cbranch_execnz .LBB24_216
	s_branch .LBB24_217
	.section	.rodata,"a",@progbits
	.p2align	6, 0x0
	.amdhsa_kernel _ZN7rocprim17ROCPRIM_304000_NS6detail25onesweep_iteration_kernelINS1_34wrapped_radix_sort_onesweep_configINS0_14default_configEhN2at4cuda3cub6detail10OpaqueTypeILi8EEEEELb0EPKhPhPKSA_PSA_mNS0_19identity_decomposerEEEvT1_T2_T3_T4_jPT5_SO_PNS1_23onesweep_lookback_stateET6_jjj
		.amdhsa_group_segment_fixed_size 47104
		.amdhsa_private_segment_fixed_size 0
		.amdhsa_kernarg_size 336
		.amdhsa_user_sgpr_count 15
		.amdhsa_user_sgpr_dispatch_ptr 0
		.amdhsa_user_sgpr_queue_ptr 0
		.amdhsa_user_sgpr_kernarg_segment_ptr 1
		.amdhsa_user_sgpr_dispatch_id 0
		.amdhsa_user_sgpr_private_segment_size 0
		.amdhsa_wavefront_size32 1
		.amdhsa_uses_dynamic_stack 0
		.amdhsa_enable_private_segment 0
		.amdhsa_system_sgpr_workgroup_id_x 1
		.amdhsa_system_sgpr_workgroup_id_y 0
		.amdhsa_system_sgpr_workgroup_id_z 0
		.amdhsa_system_sgpr_workgroup_info 0
		.amdhsa_system_vgpr_workitem_id 2
		.amdhsa_next_free_vgpr 128
		.amdhsa_next_free_sgpr 72
		.amdhsa_reserve_vcc 1
		.amdhsa_float_round_mode_32 0
		.amdhsa_float_round_mode_16_64 0
		.amdhsa_float_denorm_mode_32 3
		.amdhsa_float_denorm_mode_16_64 3
		.amdhsa_dx10_clamp 1
		.amdhsa_ieee_mode 1
		.amdhsa_fp16_overflow 0
		.amdhsa_workgroup_processor_mode 1
		.amdhsa_memory_ordered 1
		.amdhsa_forward_progress 0
		.amdhsa_shared_vgpr_count 0
		.amdhsa_exception_fp_ieee_invalid_op 0
		.amdhsa_exception_fp_denorm_src 0
		.amdhsa_exception_fp_ieee_div_zero 0
		.amdhsa_exception_fp_ieee_overflow 0
		.amdhsa_exception_fp_ieee_underflow 0
		.amdhsa_exception_fp_ieee_inexact 0
		.amdhsa_exception_int_div_zero 0
	.end_amdhsa_kernel
	.section	.text._ZN7rocprim17ROCPRIM_304000_NS6detail25onesweep_iteration_kernelINS1_34wrapped_radix_sort_onesweep_configINS0_14default_configEhN2at4cuda3cub6detail10OpaqueTypeILi8EEEEELb0EPKhPhPKSA_PSA_mNS0_19identity_decomposerEEEvT1_T2_T3_T4_jPT5_SO_PNS1_23onesweep_lookback_stateET6_jjj,"axG",@progbits,_ZN7rocprim17ROCPRIM_304000_NS6detail25onesweep_iteration_kernelINS1_34wrapped_radix_sort_onesweep_configINS0_14default_configEhN2at4cuda3cub6detail10OpaqueTypeILi8EEEEELb0EPKhPhPKSA_PSA_mNS0_19identity_decomposerEEEvT1_T2_T3_T4_jPT5_SO_PNS1_23onesweep_lookback_stateET6_jjj,comdat
.Lfunc_end24:
	.size	_ZN7rocprim17ROCPRIM_304000_NS6detail25onesweep_iteration_kernelINS1_34wrapped_radix_sort_onesweep_configINS0_14default_configEhN2at4cuda3cub6detail10OpaqueTypeILi8EEEEELb0EPKhPhPKSA_PSA_mNS0_19identity_decomposerEEEvT1_T2_T3_T4_jPT5_SO_PNS1_23onesweep_lookback_stateET6_jjj, .Lfunc_end24-_ZN7rocprim17ROCPRIM_304000_NS6detail25onesweep_iteration_kernelINS1_34wrapped_radix_sort_onesweep_configINS0_14default_configEhN2at4cuda3cub6detail10OpaqueTypeILi8EEEEELb0EPKhPhPKSA_PSA_mNS0_19identity_decomposerEEEvT1_T2_T3_T4_jPT5_SO_PNS1_23onesweep_lookback_stateET6_jjj
                                        ; -- End function
	.section	.AMDGPU.csdata,"",@progbits
; Kernel info:
; codeLenInByte = 31396
; NumSgprs: 74
; NumVgprs: 128
; ScratchSize: 0
; MemoryBound: 0
; FloatMode: 240
; IeeeMode: 1
; LDSByteSize: 47104 bytes/workgroup (compile time only)
; SGPRBlocks: 9
; VGPRBlocks: 15
; NumSGPRsForWavesPerEU: 74
; NumVGPRsForWavesPerEU: 128
; Occupancy: 4
; WaveLimiterHint : 1
; COMPUTE_PGM_RSRC2:SCRATCH_EN: 0
; COMPUTE_PGM_RSRC2:USER_SGPR: 15
; COMPUTE_PGM_RSRC2:TRAP_HANDLER: 0
; COMPUTE_PGM_RSRC2:TGID_X_EN: 1
; COMPUTE_PGM_RSRC2:TGID_Y_EN: 0
; COMPUTE_PGM_RSRC2:TGID_Z_EN: 0
; COMPUTE_PGM_RSRC2:TIDIG_COMP_CNT: 2
	.section	.text._ZN7rocprim17ROCPRIM_304000_NS6detail25onesweep_iteration_kernelINS1_34wrapped_radix_sort_onesweep_configINS0_14default_configEhN2at4cuda3cub6detail10OpaqueTypeILi8EEEEELb0EPhSC_PSA_SD_mNS0_19identity_decomposerEEEvT1_T2_T3_T4_jPT5_SK_PNS1_23onesweep_lookback_stateET6_jjj,"axG",@progbits,_ZN7rocprim17ROCPRIM_304000_NS6detail25onesweep_iteration_kernelINS1_34wrapped_radix_sort_onesweep_configINS0_14default_configEhN2at4cuda3cub6detail10OpaqueTypeILi8EEEEELb0EPhSC_PSA_SD_mNS0_19identity_decomposerEEEvT1_T2_T3_T4_jPT5_SK_PNS1_23onesweep_lookback_stateET6_jjj,comdat
	.protected	_ZN7rocprim17ROCPRIM_304000_NS6detail25onesweep_iteration_kernelINS1_34wrapped_radix_sort_onesweep_configINS0_14default_configEhN2at4cuda3cub6detail10OpaqueTypeILi8EEEEELb0EPhSC_PSA_SD_mNS0_19identity_decomposerEEEvT1_T2_T3_T4_jPT5_SK_PNS1_23onesweep_lookback_stateET6_jjj ; -- Begin function _ZN7rocprim17ROCPRIM_304000_NS6detail25onesweep_iteration_kernelINS1_34wrapped_radix_sort_onesweep_configINS0_14default_configEhN2at4cuda3cub6detail10OpaqueTypeILi8EEEEELb0EPhSC_PSA_SD_mNS0_19identity_decomposerEEEvT1_T2_T3_T4_jPT5_SK_PNS1_23onesweep_lookback_stateET6_jjj
	.globl	_ZN7rocprim17ROCPRIM_304000_NS6detail25onesweep_iteration_kernelINS1_34wrapped_radix_sort_onesweep_configINS0_14default_configEhN2at4cuda3cub6detail10OpaqueTypeILi8EEEEELb0EPhSC_PSA_SD_mNS0_19identity_decomposerEEEvT1_T2_T3_T4_jPT5_SK_PNS1_23onesweep_lookback_stateET6_jjj
	.p2align	8
	.type	_ZN7rocprim17ROCPRIM_304000_NS6detail25onesweep_iteration_kernelINS1_34wrapped_radix_sort_onesweep_configINS0_14default_configEhN2at4cuda3cub6detail10OpaqueTypeILi8EEEEELb0EPhSC_PSA_SD_mNS0_19identity_decomposerEEEvT1_T2_T3_T4_jPT5_SK_PNS1_23onesweep_lookback_stateET6_jjj,@function
_ZN7rocprim17ROCPRIM_304000_NS6detail25onesweep_iteration_kernelINS1_34wrapped_radix_sort_onesweep_configINS0_14default_configEhN2at4cuda3cub6detail10OpaqueTypeILi8EEEEELb0EPhSC_PSA_SD_mNS0_19identity_decomposerEEEvT1_T2_T3_T4_jPT5_SK_PNS1_23onesweep_lookback_stateET6_jjj: ; @_ZN7rocprim17ROCPRIM_304000_NS6detail25onesweep_iteration_kernelINS1_34wrapped_radix_sort_onesweep_configINS0_14default_configEhN2at4cuda3cub6detail10OpaqueTypeILi8EEEEELb0EPhSC_PSA_SD_mNS0_19identity_decomposerEEEvT1_T2_T3_T4_jPT5_SK_PNS1_23onesweep_lookback_stateET6_jjj
; %bb.0:
	s_clause 0x3
	s_load_b128 s[60:63], s[0:1], 0x44
	s_load_b256 s[48:55], s[0:1], 0x0
	s_load_b128 s[56:59], s[0:1], 0x28
	s_load_b64 s[66:67], s[0:1], 0x38
	v_and_b32_e32 v1, 0x3ff, v0
	v_mbcnt_lo_u32_b32 v51, -1, 0
	s_waitcnt lgkmcnt(0)
	s_mov_b32 s63, s15
	s_mul_i32 s64, s15, 0x1600
	s_cmp_ge_u32 s15, s62
	s_cbranch_scc0 .LBB25_218
; %bb.1:
	s_load_b32 s2, s[0:1], 0x20
	v_and_b32_e32 v21, 0xe0, v1
	s_mul_i32 s47, s62, 0xffffea00
	v_dual_mov_b32 v11, 0xff :: v_dual_mov_b32 v12, 0xff
	s_mov_b32 s65, 0
	s_delay_alu instid0(VALU_DEP_2) | instskip(NEXT) | instid1(VALU_DEP_1)
	v_mul_u32_u24_e32 v10, 22, v21
	v_or_b32_e32 v4, v51, v10
	s_waitcnt lgkmcnt(0)
	s_add_i32 s47, s47, s2
	s_add_u32 s2, s48, s64
	s_addc_u32 s3, s49, 0
	v_add_co_u32 v2, s2, s2, v51
	s_delay_alu instid0(VALU_DEP_1) | instskip(SKIP_1) | instid1(VALU_DEP_3)
	v_add_co_ci_u32_e64 v3, null, s3, 0, s2
	v_cmp_gt_u32_e32 vcc_lo, s47, v4
	v_add_co_u32 v2, s2, v2, v10
	s_delay_alu instid0(VALU_DEP_1)
	v_add_co_ci_u32_e64 v3, s2, 0, v3, s2
	s_and_saveexec_b32 s2, vcc_lo
	s_cbranch_execz .LBB25_3
; %bb.2:
	global_load_u8 v12, v[2:3], off
.LBB25_3:
	s_or_b32 exec_lo, exec_lo, s2
	v_add_nc_u32_e32 v5, 32, v4
	s_delay_alu instid0(VALU_DEP_1) | instskip(NEXT) | instid1(VALU_DEP_1)
	v_cmp_gt_u32_e64 s2, s47, v5
	s_and_saveexec_b32 s3, s2
	s_cbranch_execz .LBB25_5
; %bb.4:
	global_load_u8 v11, v[2:3], off offset:32
.LBB25_5:
	s_or_b32 exec_lo, exec_lo, s3
	v_dual_mov_b32 v14, 0xff :: v_dual_add_nc_u32 v5, 64, v4
	v_mov_b32_e32 v13, 0xff
	s_delay_alu instid0(VALU_DEP_2) | instskip(NEXT) | instid1(VALU_DEP_1)
	v_cmp_gt_u32_e64 s3, s47, v5
	s_and_saveexec_b32 s4, s3
	s_cbranch_execz .LBB25_7
; %bb.6:
	global_load_u8 v14, v[2:3], off offset:64
.LBB25_7:
	s_or_b32 exec_lo, exec_lo, s4
	v_add_nc_u32_e32 v5, 0x60, v4
	s_delay_alu instid0(VALU_DEP_1) | instskip(NEXT) | instid1(VALU_DEP_1)
	v_cmp_gt_u32_e64 s4, s47, v5
	s_and_saveexec_b32 s5, s4
	s_cbranch_execz .LBB25_9
; %bb.8:
	global_load_u8 v13, v[2:3], off offset:96
.LBB25_9:
	s_or_b32 exec_lo, exec_lo, s5
	v_add_nc_u32_e32 v5, 0x80, v4
	v_dual_mov_b32 v15, 0xff :: v_dual_mov_b32 v16, 0xff
	s_delay_alu instid0(VALU_DEP_2) | instskip(NEXT) | instid1(VALU_DEP_1)
	v_cmp_gt_u32_e64 s5, s47, v5
	s_and_saveexec_b32 s6, s5
	s_cbranch_execz .LBB25_11
; %bb.10:
	global_load_u8 v16, v[2:3], off offset:128
.LBB25_11:
	s_or_b32 exec_lo, exec_lo, s6
	v_add_nc_u32_e32 v5, 0xa0, v4
	s_delay_alu instid0(VALU_DEP_1) | instskip(NEXT) | instid1(VALU_DEP_1)
	v_cmp_gt_u32_e64 s6, s47, v5
	s_and_saveexec_b32 s7, s6
	s_cbranch_execz .LBB25_13
; %bb.12:
	global_load_u8 v15, v[2:3], off offset:160
.LBB25_13:
	s_or_b32 exec_lo, exec_lo, s7
	v_add_nc_u32_e32 v5, 0xc0, v4
	v_dual_mov_b32 v17, 0xff :: v_dual_mov_b32 v18, 0xff
	;; [unrolled: 19-line block ×9, first 2 shown]
	s_delay_alu instid0(VALU_DEP_2) | instskip(NEXT) | instid1(VALU_DEP_1)
	v_cmp_gt_u32_e64 s20, s47, v5
	s_and_saveexec_b32 s17, s20
	s_cbranch_execz .LBB25_43
; %bb.42:
	global_load_u8 v33, v[2:3], off offset:640
.LBB25_43:
	s_or_b32 exec_lo, exec_lo, s17
	v_add_nc_u32_e32 v4, 0x2a0, v4
	s_delay_alu instid0(VALU_DEP_1) | instskip(NEXT) | instid1(VALU_DEP_1)
	v_cmp_gt_u32_e64 s17, s47, v4
	s_and_saveexec_b32 s24, s17
	s_cbranch_execz .LBB25_45
; %bb.44:
	global_load_u8 v32, v[2:3], off offset:672
.LBB25_45:
	s_or_b32 exec_lo, exec_lo, s24
	s_clause 0x1
	s_load_b32 s24, s[0:1], 0x5c
	s_load_b32 s62, s[0:1], 0x50
	s_add_u32 s25, s0, 0x50
	s_addc_u32 s26, s1, 0
	v_mov_b32_e32 v4, 0
	s_waitcnt vmcnt(0)
	v_and_b32_e32 v2, 0xff, v12
	s_delay_alu instid0(VALU_DEP_1) | instskip(SKIP_4) | instid1(SALU_CYCLE_1)
	v_lshrrev_b32_e32 v2, s60, v2
	s_waitcnt lgkmcnt(0)
	s_lshr_b32 s27, s24, 16
	s_cmp_lt_u32 s15, s62
	s_cselect_b32 s24, 12, 18
	s_add_u32 s24, s25, s24
	s_addc_u32 s25, s26, 0
	global_load_u16 v5, v4, s[24:25]
	s_lshl_b32 s24, -1, s61
	s_delay_alu instid0(SALU_CYCLE_1) | instskip(NEXT) | instid1(SALU_CYCLE_1)
	s_not_b32 s68, s24
	v_and_b32_e32 v6, s68, v2
	v_bfe_u32 v2, v0, 10, 10
	s_delay_alu instid0(VALU_DEP_2)
	v_and_b32_e32 v3, 1, v6
	v_lshlrev_b32_e32 v7, 30, v6
	v_lshlrev_b32_e32 v8, 29, v6
	;; [unrolled: 1-line block ×4, first 2 shown]
	v_add_co_u32 v3, s24, v3, -1
	s_delay_alu instid0(VALU_DEP_1)
	v_cndmask_b32_e64 v34, 0, 1, s24
	v_not_b32_e32 v38, v7
	v_cmp_gt_i32_e64 s25, 0, v7
	v_not_b32_e32 v7, v8
	v_lshlrev_b32_e32 v36, 26, v6
	v_cmp_ne_u32_e64 s24, 0, v34
	v_ashrrev_i32_e32 v38, 31, v38
	v_lshlrev_b32_e32 v37, 25, v6
	v_ashrrev_i32_e32 v7, 31, v7
	v_lshlrev_b32_e32 v34, 24, v6
	v_xor_b32_e32 v3, s24, v3
	v_cmp_gt_i32_e64 s24, 0, v8
	v_not_b32_e32 v8, v9
	v_xor_b32_e32 v38, s25, v38
	v_cmp_gt_i32_e64 s25, 0, v9
	v_and_b32_e32 v3, exec_lo, v3
	v_not_b32_e32 v9, v35
	v_ashrrev_i32_e32 v8, 31, v8
	v_xor_b32_e32 v7, s24, v7
	v_cmp_gt_i32_e64 s24, 0, v35
	v_and_b32_e32 v3, v3, v38
	v_not_b32_e32 v35, v36
	v_ashrrev_i32_e32 v9, 31, v9
	v_xor_b32_e32 v8, s25, v8
	v_cmp_gt_i32_e64 s25, 0, v36
	v_and_b32_e32 v3, v3, v7
	;; [unrolled: 5-line block ×4, first 2 shown]
	v_bfe_u32 v9, v0, 20, 10
	v_ashrrev_i32_e32 v8, 31, v8
	v_xor_b32_e32 v7, s24, v7
	v_mul_u32_u24_e32 v34, 9, v1
	v_and_b32_e32 v3, v3, v35
	v_mad_u32_u24 v9, v9, s27, v2
	v_xor_b32_e32 v8, s25, v8
	s_delay_alu instid0(VALU_DEP_4) | instskip(NEXT) | instid1(VALU_DEP_4)
	v_lshlrev_b32_e32 v35, 2, v34
	v_and_b32_e32 v7, v3, v7
	ds_store_2addr_b32 v35, v4, v4 offset0:8 offset1:9
	ds_store_2addr_b32 v35, v4, v4 offset0:10 offset1:11
	;; [unrolled: 1-line block ×4, first 2 shown]
	ds_store_b32 v35, v4 offset:64
	v_mul_u32_u24_e32 v4, 9, v6
	s_waitcnt vmcnt(0) lgkmcnt(0)
	s_barrier
	buffer_gl0_inv
	; wave barrier
	v_mad_u64_u32 v[2:3], null, v9, v5, v[1:2]
	v_and_b32_e32 v3, v7, v8
	s_delay_alu instid0(VALU_DEP_1) | instskip(NEXT) | instid1(VALU_DEP_3)
	v_mbcnt_lo_u32_b32 v34, v3, 0
	v_lshrrev_b32_e32 v2, 5, v2
	v_cmp_ne_u32_e64 s25, 0, v3
	s_delay_alu instid0(VALU_DEP_3) | instskip(NEXT) | instid1(VALU_DEP_3)
	v_cmp_eq_u32_e64 s24, 0, v34
	v_add_lshl_u32 v36, v2, v4, 2
	s_delay_alu instid0(VALU_DEP_2) | instskip(NEXT) | instid1(SALU_CYCLE_1)
	s_and_b32 s25, s25, s24
	s_and_saveexec_b32 s24, s25
	s_cbranch_execz .LBB25_47
; %bb.46:
	v_bcnt_u32_b32 v3, v3, 0
	ds_store_b32 v36, v3 offset:32
.LBB25_47:
	s_or_b32 exec_lo, exec_lo, s24
	v_and_b32_e32 v3, 0xff, v11
	; wave barrier
	s_delay_alu instid0(VALU_DEP_1) | instskip(NEXT) | instid1(VALU_DEP_1)
	v_lshrrev_b32_e32 v3, s60, v3
	v_and_b32_e32 v3, s68, v3
	s_delay_alu instid0(VALU_DEP_1)
	v_and_b32_e32 v4, 1, v3
	v_lshlrev_b32_e32 v5, 30, v3
	v_lshlrev_b32_e32 v6, 29, v3
	;; [unrolled: 1-line block ×4, first 2 shown]
	v_add_co_u32 v4, s24, v4, -1
	s_delay_alu instid0(VALU_DEP_1)
	v_cndmask_b32_e64 v8, 0, 1, s24
	v_not_b32_e32 v39, v5
	v_cmp_gt_i32_e64 s25, 0, v5
	v_not_b32_e32 v5, v6
	v_lshlrev_b32_e32 v37, 26, v3
	v_cmp_ne_u32_e64 s24, 0, v8
	v_ashrrev_i32_e32 v39, 31, v39
	v_lshlrev_b32_e32 v38, 25, v3
	v_ashrrev_i32_e32 v5, 31, v5
	v_lshlrev_b32_e32 v8, 24, v3
	v_xor_b32_e32 v4, s24, v4
	v_cmp_gt_i32_e64 s24, 0, v6
	v_not_b32_e32 v6, v7
	v_xor_b32_e32 v39, s25, v39
	v_cmp_gt_i32_e64 s25, 0, v7
	v_and_b32_e32 v4, exec_lo, v4
	v_not_b32_e32 v7, v9
	v_ashrrev_i32_e32 v6, 31, v6
	v_xor_b32_e32 v5, s24, v5
	v_cmp_gt_i32_e64 s24, 0, v9
	v_and_b32_e32 v4, v4, v39
	v_not_b32_e32 v9, v37
	v_ashrrev_i32_e32 v7, 31, v7
	v_xor_b32_e32 v6, s25, v6
	v_cmp_gt_i32_e64 s25, 0, v37
	v_and_b32_e32 v4, v4, v5
	v_not_b32_e32 v5, v38
	v_ashrrev_i32_e32 v9, 31, v9
	v_xor_b32_e32 v7, s24, v7
	v_cmp_gt_i32_e64 s24, 0, v38
	v_and_b32_e32 v4, v4, v6
	v_not_b32_e32 v6, v8
	v_ashrrev_i32_e32 v5, 31, v5
	v_xor_b32_e32 v9, s25, v9
	v_mul_u32_u24_e32 v3, 9, v3
	v_and_b32_e32 v4, v4, v7
	v_cmp_gt_i32_e64 s25, 0, v8
	v_ashrrev_i32_e32 v6, 31, v6
	v_xor_b32_e32 v5, s24, v5
	v_add_lshl_u32 v39, v2, v3, 2
	v_and_b32_e32 v4, v4, v9
	s_delay_alu instid0(VALU_DEP_4) | instskip(SKIP_2) | instid1(VALU_DEP_1)
	v_xor_b32_e32 v3, s25, v6
	ds_load_b32 v37, v39 offset:32
	v_and_b32_e32 v4, v4, v5
	; wave barrier
	v_and_b32_e32 v3, v4, v3
	s_delay_alu instid0(VALU_DEP_1) | instskip(SKIP_1) | instid1(VALU_DEP_2)
	v_mbcnt_lo_u32_b32 v38, v3, 0
	v_cmp_ne_u32_e64 s25, 0, v3
	v_cmp_eq_u32_e64 s24, 0, v38
	s_delay_alu instid0(VALU_DEP_1) | instskip(NEXT) | instid1(SALU_CYCLE_1)
	s_and_b32 s25, s25, s24
	s_and_saveexec_b32 s24, s25
	s_cbranch_execz .LBB25_49
; %bb.48:
	s_waitcnt lgkmcnt(0)
	v_bcnt_u32_b32 v3, v3, v37
	ds_store_b32 v39, v3 offset:32
.LBB25_49:
	s_or_b32 exec_lo, exec_lo, s24
	v_and_b32_e32 v3, 0xff, v14
	; wave barrier
	s_delay_alu instid0(VALU_DEP_1) | instskip(NEXT) | instid1(VALU_DEP_1)
	v_lshrrev_b32_e32 v3, s60, v3
	v_and_b32_e32 v3, s68, v3
	s_delay_alu instid0(VALU_DEP_1)
	v_and_b32_e32 v4, 1, v3
	v_lshlrev_b32_e32 v5, 30, v3
	v_lshlrev_b32_e32 v6, 29, v3
	;; [unrolled: 1-line block ×4, first 2 shown]
	v_add_co_u32 v4, s24, v4, -1
	s_delay_alu instid0(VALU_DEP_1)
	v_cndmask_b32_e64 v8, 0, 1, s24
	v_not_b32_e32 v42, v5
	v_cmp_gt_i32_e64 s25, 0, v5
	v_not_b32_e32 v5, v6
	v_lshlrev_b32_e32 v40, 26, v3
	v_cmp_ne_u32_e64 s24, 0, v8
	v_ashrrev_i32_e32 v42, 31, v42
	v_lshlrev_b32_e32 v41, 25, v3
	v_ashrrev_i32_e32 v5, 31, v5
	v_lshlrev_b32_e32 v8, 24, v3
	v_xor_b32_e32 v4, s24, v4
	v_cmp_gt_i32_e64 s24, 0, v6
	v_not_b32_e32 v6, v7
	v_xor_b32_e32 v42, s25, v42
	v_cmp_gt_i32_e64 s25, 0, v7
	v_and_b32_e32 v4, exec_lo, v4
	v_not_b32_e32 v7, v9
	v_ashrrev_i32_e32 v6, 31, v6
	v_xor_b32_e32 v5, s24, v5
	v_cmp_gt_i32_e64 s24, 0, v9
	v_and_b32_e32 v4, v4, v42
	v_not_b32_e32 v9, v40
	v_ashrrev_i32_e32 v7, 31, v7
	v_xor_b32_e32 v6, s25, v6
	v_cmp_gt_i32_e64 s25, 0, v40
	v_and_b32_e32 v4, v4, v5
	;; [unrolled: 5-line block ×3, first 2 shown]
	v_not_b32_e32 v6, v8
	v_ashrrev_i32_e32 v5, 31, v5
	v_xor_b32_e32 v9, s25, v9
	v_mul_u32_u24_e32 v3, 9, v3
	v_and_b32_e32 v4, v4, v7
	v_cmp_gt_i32_e64 s25, 0, v8
	v_ashrrev_i32_e32 v6, 31, v6
	v_xor_b32_e32 v5, s24, v5
	v_add_lshl_u32 v42, v2, v3, 2
	v_and_b32_e32 v4, v4, v9
	s_delay_alu instid0(VALU_DEP_4) | instskip(SKIP_2) | instid1(VALU_DEP_1)
	v_xor_b32_e32 v3, s25, v6
	ds_load_b32 v40, v42 offset:32
	v_and_b32_e32 v4, v4, v5
	; wave barrier
	v_and_b32_e32 v3, v4, v3
	s_delay_alu instid0(VALU_DEP_1) | instskip(SKIP_1) | instid1(VALU_DEP_2)
	v_mbcnt_lo_u32_b32 v41, v3, 0
	v_cmp_ne_u32_e64 s25, 0, v3
	v_cmp_eq_u32_e64 s24, 0, v41
	s_delay_alu instid0(VALU_DEP_1) | instskip(NEXT) | instid1(SALU_CYCLE_1)
	s_and_b32 s25, s25, s24
	s_and_saveexec_b32 s24, s25
	s_cbranch_execz .LBB25_51
; %bb.50:
	s_waitcnt lgkmcnt(0)
	v_bcnt_u32_b32 v3, v3, v40
	ds_store_b32 v42, v3 offset:32
.LBB25_51:
	s_or_b32 exec_lo, exec_lo, s24
	v_and_b32_e32 v3, 0xff, v13
	; wave barrier
	s_delay_alu instid0(VALU_DEP_1) | instskip(NEXT) | instid1(VALU_DEP_1)
	v_lshrrev_b32_e32 v3, s60, v3
	v_and_b32_e32 v3, s68, v3
	s_delay_alu instid0(VALU_DEP_1)
	v_and_b32_e32 v4, 1, v3
	v_lshlrev_b32_e32 v5, 30, v3
	v_lshlrev_b32_e32 v6, 29, v3
	;; [unrolled: 1-line block ×4, first 2 shown]
	v_add_co_u32 v4, s24, v4, -1
	s_delay_alu instid0(VALU_DEP_1)
	v_cndmask_b32_e64 v8, 0, 1, s24
	v_not_b32_e32 v45, v5
	v_cmp_gt_i32_e64 s25, 0, v5
	v_not_b32_e32 v5, v6
	v_lshlrev_b32_e32 v43, 26, v3
	v_cmp_ne_u32_e64 s24, 0, v8
	v_ashrrev_i32_e32 v45, 31, v45
	v_lshlrev_b32_e32 v44, 25, v3
	v_ashrrev_i32_e32 v5, 31, v5
	v_lshlrev_b32_e32 v8, 24, v3
	v_xor_b32_e32 v4, s24, v4
	v_cmp_gt_i32_e64 s24, 0, v6
	v_not_b32_e32 v6, v7
	v_xor_b32_e32 v45, s25, v45
	v_cmp_gt_i32_e64 s25, 0, v7
	v_and_b32_e32 v4, exec_lo, v4
	v_not_b32_e32 v7, v9
	v_ashrrev_i32_e32 v6, 31, v6
	v_xor_b32_e32 v5, s24, v5
	v_cmp_gt_i32_e64 s24, 0, v9
	v_and_b32_e32 v4, v4, v45
	v_not_b32_e32 v9, v43
	v_ashrrev_i32_e32 v7, 31, v7
	v_xor_b32_e32 v6, s25, v6
	v_cmp_gt_i32_e64 s25, 0, v43
	v_and_b32_e32 v4, v4, v5
	;; [unrolled: 5-line block ×3, first 2 shown]
	v_not_b32_e32 v6, v8
	v_ashrrev_i32_e32 v5, 31, v5
	v_xor_b32_e32 v9, s25, v9
	v_mul_u32_u24_e32 v3, 9, v3
	v_and_b32_e32 v4, v4, v7
	v_cmp_gt_i32_e64 s25, 0, v8
	v_ashrrev_i32_e32 v6, 31, v6
	v_xor_b32_e32 v5, s24, v5
	v_add_lshl_u32 v45, v2, v3, 2
	v_and_b32_e32 v4, v4, v9
	s_delay_alu instid0(VALU_DEP_4) | instskip(SKIP_2) | instid1(VALU_DEP_1)
	v_xor_b32_e32 v3, s25, v6
	ds_load_b32 v43, v45 offset:32
	v_and_b32_e32 v4, v4, v5
	; wave barrier
	v_and_b32_e32 v3, v4, v3
	s_delay_alu instid0(VALU_DEP_1) | instskip(SKIP_1) | instid1(VALU_DEP_2)
	v_mbcnt_lo_u32_b32 v44, v3, 0
	v_cmp_ne_u32_e64 s25, 0, v3
	v_cmp_eq_u32_e64 s24, 0, v44
	s_delay_alu instid0(VALU_DEP_1) | instskip(NEXT) | instid1(SALU_CYCLE_1)
	s_and_b32 s25, s25, s24
	s_and_saveexec_b32 s24, s25
	s_cbranch_execz .LBB25_53
; %bb.52:
	s_waitcnt lgkmcnt(0)
	v_bcnt_u32_b32 v3, v3, v43
	ds_store_b32 v45, v3 offset:32
.LBB25_53:
	s_or_b32 exec_lo, exec_lo, s24
	v_and_b32_e32 v3, 0xff, v16
	; wave barrier
	s_delay_alu instid0(VALU_DEP_1) | instskip(NEXT) | instid1(VALU_DEP_1)
	v_lshrrev_b32_e32 v3, s60, v3
	v_and_b32_e32 v3, s68, v3
	s_delay_alu instid0(VALU_DEP_1)
	v_and_b32_e32 v4, 1, v3
	v_lshlrev_b32_e32 v5, 30, v3
	v_lshlrev_b32_e32 v6, 29, v3
	;; [unrolled: 1-line block ×4, first 2 shown]
	v_add_co_u32 v4, s24, v4, -1
	s_delay_alu instid0(VALU_DEP_1)
	v_cndmask_b32_e64 v8, 0, 1, s24
	v_not_b32_e32 v48, v5
	v_cmp_gt_i32_e64 s25, 0, v5
	v_not_b32_e32 v5, v6
	v_lshlrev_b32_e32 v46, 26, v3
	v_cmp_ne_u32_e64 s24, 0, v8
	v_ashrrev_i32_e32 v48, 31, v48
	v_lshlrev_b32_e32 v47, 25, v3
	v_ashrrev_i32_e32 v5, 31, v5
	v_lshlrev_b32_e32 v8, 24, v3
	v_xor_b32_e32 v4, s24, v4
	v_cmp_gt_i32_e64 s24, 0, v6
	v_not_b32_e32 v6, v7
	v_xor_b32_e32 v48, s25, v48
	v_cmp_gt_i32_e64 s25, 0, v7
	v_and_b32_e32 v4, exec_lo, v4
	v_not_b32_e32 v7, v9
	v_ashrrev_i32_e32 v6, 31, v6
	v_xor_b32_e32 v5, s24, v5
	v_cmp_gt_i32_e64 s24, 0, v9
	v_and_b32_e32 v4, v4, v48
	v_not_b32_e32 v9, v46
	v_ashrrev_i32_e32 v7, 31, v7
	v_xor_b32_e32 v6, s25, v6
	v_cmp_gt_i32_e64 s25, 0, v46
	v_and_b32_e32 v4, v4, v5
	v_not_b32_e32 v5, v47
	v_ashrrev_i32_e32 v9, 31, v9
	v_xor_b32_e32 v7, s24, v7
	v_cmp_gt_i32_e64 s24, 0, v47
	v_and_b32_e32 v4, v4, v6
	v_not_b32_e32 v6, v8
	v_ashrrev_i32_e32 v5, 31, v5
	v_xor_b32_e32 v9, s25, v9
	v_mul_u32_u24_e32 v3, 9, v3
	v_and_b32_e32 v4, v4, v7
	v_cmp_gt_i32_e64 s25, 0, v8
	v_ashrrev_i32_e32 v6, 31, v6
	v_xor_b32_e32 v5, s24, v5
	v_add_lshl_u32 v48, v2, v3, 2
	v_and_b32_e32 v4, v4, v9
	s_delay_alu instid0(VALU_DEP_4) | instskip(SKIP_2) | instid1(VALU_DEP_1)
	v_xor_b32_e32 v3, s25, v6
	ds_load_b32 v46, v48 offset:32
	v_and_b32_e32 v4, v4, v5
	; wave barrier
	v_and_b32_e32 v3, v4, v3
	s_delay_alu instid0(VALU_DEP_1) | instskip(SKIP_1) | instid1(VALU_DEP_2)
	v_mbcnt_lo_u32_b32 v47, v3, 0
	v_cmp_ne_u32_e64 s25, 0, v3
	v_cmp_eq_u32_e64 s24, 0, v47
	s_delay_alu instid0(VALU_DEP_1) | instskip(NEXT) | instid1(SALU_CYCLE_1)
	s_and_b32 s25, s25, s24
	s_and_saveexec_b32 s24, s25
	s_cbranch_execz .LBB25_55
; %bb.54:
	s_waitcnt lgkmcnt(0)
	v_bcnt_u32_b32 v3, v3, v46
	ds_store_b32 v48, v3 offset:32
.LBB25_55:
	s_or_b32 exec_lo, exec_lo, s24
	v_and_b32_e32 v3, 0xff, v15
	; wave barrier
	s_delay_alu instid0(VALU_DEP_1) | instskip(NEXT) | instid1(VALU_DEP_1)
	v_lshrrev_b32_e32 v3, s60, v3
	v_and_b32_e32 v3, s68, v3
	s_delay_alu instid0(VALU_DEP_1)
	v_and_b32_e32 v4, 1, v3
	v_lshlrev_b32_e32 v5, 30, v3
	v_lshlrev_b32_e32 v6, 29, v3
	;; [unrolled: 1-line block ×4, first 2 shown]
	v_add_co_u32 v4, s24, v4, -1
	s_delay_alu instid0(VALU_DEP_1)
	v_cndmask_b32_e64 v8, 0, 1, s24
	v_not_b32_e32 v52, v5
	v_cmp_gt_i32_e64 s25, 0, v5
	v_not_b32_e32 v5, v6
	v_lshlrev_b32_e32 v49, 26, v3
	v_cmp_ne_u32_e64 s24, 0, v8
	v_ashrrev_i32_e32 v52, 31, v52
	v_lshlrev_b32_e32 v50, 25, v3
	v_ashrrev_i32_e32 v5, 31, v5
	v_lshlrev_b32_e32 v8, 24, v3
	v_xor_b32_e32 v4, s24, v4
	v_cmp_gt_i32_e64 s24, 0, v6
	v_not_b32_e32 v6, v7
	v_xor_b32_e32 v52, s25, v52
	v_cmp_gt_i32_e64 s25, 0, v7
	v_and_b32_e32 v4, exec_lo, v4
	v_not_b32_e32 v7, v9
	v_ashrrev_i32_e32 v6, 31, v6
	v_xor_b32_e32 v5, s24, v5
	v_cmp_gt_i32_e64 s24, 0, v9
	v_and_b32_e32 v4, v4, v52
	v_not_b32_e32 v9, v49
	v_ashrrev_i32_e32 v7, 31, v7
	v_xor_b32_e32 v6, s25, v6
	v_cmp_gt_i32_e64 s25, 0, v49
	v_and_b32_e32 v4, v4, v5
	;; [unrolled: 5-line block ×3, first 2 shown]
	v_not_b32_e32 v6, v8
	v_ashrrev_i32_e32 v5, 31, v5
	v_xor_b32_e32 v9, s25, v9
	v_mul_u32_u24_e32 v3, 9, v3
	v_and_b32_e32 v4, v4, v7
	v_cmp_gt_i32_e64 s25, 0, v8
	v_ashrrev_i32_e32 v6, 31, v6
	v_xor_b32_e32 v5, s24, v5
	v_add_lshl_u32 v52, v2, v3, 2
	v_and_b32_e32 v4, v4, v9
	s_delay_alu instid0(VALU_DEP_4) | instskip(SKIP_2) | instid1(VALU_DEP_1)
	v_xor_b32_e32 v3, s25, v6
	ds_load_b32 v49, v52 offset:32
	v_and_b32_e32 v4, v4, v5
	; wave barrier
	v_and_b32_e32 v3, v4, v3
	s_delay_alu instid0(VALU_DEP_1) | instskip(SKIP_1) | instid1(VALU_DEP_2)
	v_mbcnt_lo_u32_b32 v50, v3, 0
	v_cmp_ne_u32_e64 s25, 0, v3
	v_cmp_eq_u32_e64 s24, 0, v50
	s_delay_alu instid0(VALU_DEP_1) | instskip(NEXT) | instid1(SALU_CYCLE_1)
	s_and_b32 s25, s25, s24
	s_and_saveexec_b32 s24, s25
	s_cbranch_execz .LBB25_57
; %bb.56:
	s_waitcnt lgkmcnt(0)
	v_bcnt_u32_b32 v3, v3, v49
	ds_store_b32 v52, v3 offset:32
.LBB25_57:
	s_or_b32 exec_lo, exec_lo, s24
	v_and_b32_e32 v3, 0xff, v18
	; wave barrier
	s_delay_alu instid0(VALU_DEP_1) | instskip(NEXT) | instid1(VALU_DEP_1)
	v_lshrrev_b32_e32 v3, s60, v3
	v_and_b32_e32 v3, s68, v3
	s_delay_alu instid0(VALU_DEP_1)
	v_and_b32_e32 v4, 1, v3
	v_lshlrev_b32_e32 v5, 30, v3
	v_lshlrev_b32_e32 v6, 29, v3
	v_lshlrev_b32_e32 v7, 28, v3
	v_lshlrev_b32_e32 v9, 27, v3
	v_add_co_u32 v4, s24, v4, -1
	s_delay_alu instid0(VALU_DEP_1)
	v_cndmask_b32_e64 v8, 0, 1, s24
	v_not_b32_e32 v55, v5
	v_cmp_gt_i32_e64 s25, 0, v5
	v_not_b32_e32 v5, v6
	v_lshlrev_b32_e32 v53, 26, v3
	v_cmp_ne_u32_e64 s24, 0, v8
	v_ashrrev_i32_e32 v55, 31, v55
	v_lshlrev_b32_e32 v54, 25, v3
	v_ashrrev_i32_e32 v5, 31, v5
	v_lshlrev_b32_e32 v8, 24, v3
	v_xor_b32_e32 v4, s24, v4
	v_cmp_gt_i32_e64 s24, 0, v6
	v_not_b32_e32 v6, v7
	v_xor_b32_e32 v55, s25, v55
	v_cmp_gt_i32_e64 s25, 0, v7
	v_and_b32_e32 v4, exec_lo, v4
	v_not_b32_e32 v7, v9
	v_ashrrev_i32_e32 v6, 31, v6
	v_xor_b32_e32 v5, s24, v5
	v_cmp_gt_i32_e64 s24, 0, v9
	v_and_b32_e32 v4, v4, v55
	v_not_b32_e32 v9, v53
	v_ashrrev_i32_e32 v7, 31, v7
	v_xor_b32_e32 v6, s25, v6
	v_cmp_gt_i32_e64 s25, 0, v53
	v_and_b32_e32 v4, v4, v5
	v_not_b32_e32 v5, v54
	v_ashrrev_i32_e32 v9, 31, v9
	v_xor_b32_e32 v7, s24, v7
	v_cmp_gt_i32_e64 s24, 0, v54
	v_and_b32_e32 v4, v4, v6
	v_not_b32_e32 v6, v8
	v_ashrrev_i32_e32 v5, 31, v5
	v_xor_b32_e32 v9, s25, v9
	v_mul_u32_u24_e32 v3, 9, v3
	v_and_b32_e32 v4, v4, v7
	v_cmp_gt_i32_e64 s25, 0, v8
	v_ashrrev_i32_e32 v6, 31, v6
	v_xor_b32_e32 v5, s24, v5
	v_add_lshl_u32 v55, v2, v3, 2
	v_and_b32_e32 v4, v4, v9
	s_delay_alu instid0(VALU_DEP_4) | instskip(SKIP_2) | instid1(VALU_DEP_1)
	v_xor_b32_e32 v3, s25, v6
	ds_load_b32 v53, v55 offset:32
	v_and_b32_e32 v4, v4, v5
	; wave barrier
	v_and_b32_e32 v3, v4, v3
	s_delay_alu instid0(VALU_DEP_1) | instskip(SKIP_1) | instid1(VALU_DEP_2)
	v_mbcnt_lo_u32_b32 v54, v3, 0
	v_cmp_ne_u32_e64 s25, 0, v3
	v_cmp_eq_u32_e64 s24, 0, v54
	s_delay_alu instid0(VALU_DEP_1) | instskip(NEXT) | instid1(SALU_CYCLE_1)
	s_and_b32 s25, s25, s24
	s_and_saveexec_b32 s24, s25
	s_cbranch_execz .LBB25_59
; %bb.58:
	s_waitcnt lgkmcnt(0)
	v_bcnt_u32_b32 v3, v3, v53
	ds_store_b32 v55, v3 offset:32
.LBB25_59:
	s_or_b32 exec_lo, exec_lo, s24
	v_and_b32_e32 v3, 0xff, v17
	; wave barrier
	s_delay_alu instid0(VALU_DEP_1) | instskip(NEXT) | instid1(VALU_DEP_1)
	v_lshrrev_b32_e32 v3, s60, v3
	v_and_b32_e32 v3, s68, v3
	s_delay_alu instid0(VALU_DEP_1)
	v_and_b32_e32 v4, 1, v3
	v_lshlrev_b32_e32 v5, 30, v3
	v_lshlrev_b32_e32 v6, 29, v3
	;; [unrolled: 1-line block ×4, first 2 shown]
	v_add_co_u32 v4, s24, v4, -1
	s_delay_alu instid0(VALU_DEP_1)
	v_cndmask_b32_e64 v8, 0, 1, s24
	v_not_b32_e32 v58, v5
	v_cmp_gt_i32_e64 s25, 0, v5
	v_not_b32_e32 v5, v6
	v_lshlrev_b32_e32 v56, 26, v3
	v_cmp_ne_u32_e64 s24, 0, v8
	v_ashrrev_i32_e32 v58, 31, v58
	v_lshlrev_b32_e32 v57, 25, v3
	v_ashrrev_i32_e32 v5, 31, v5
	v_lshlrev_b32_e32 v8, 24, v3
	v_xor_b32_e32 v4, s24, v4
	v_cmp_gt_i32_e64 s24, 0, v6
	v_not_b32_e32 v6, v7
	v_xor_b32_e32 v58, s25, v58
	v_cmp_gt_i32_e64 s25, 0, v7
	v_and_b32_e32 v4, exec_lo, v4
	v_not_b32_e32 v7, v9
	v_ashrrev_i32_e32 v6, 31, v6
	v_xor_b32_e32 v5, s24, v5
	v_cmp_gt_i32_e64 s24, 0, v9
	v_and_b32_e32 v4, v4, v58
	v_not_b32_e32 v9, v56
	v_ashrrev_i32_e32 v7, 31, v7
	v_xor_b32_e32 v6, s25, v6
	v_cmp_gt_i32_e64 s25, 0, v56
	v_and_b32_e32 v4, v4, v5
	v_not_b32_e32 v5, v57
	v_ashrrev_i32_e32 v9, 31, v9
	v_xor_b32_e32 v7, s24, v7
	v_cmp_gt_i32_e64 s24, 0, v57
	v_and_b32_e32 v4, v4, v6
	v_not_b32_e32 v6, v8
	v_ashrrev_i32_e32 v5, 31, v5
	v_xor_b32_e32 v9, s25, v9
	v_mul_u32_u24_e32 v3, 9, v3
	v_and_b32_e32 v4, v4, v7
	v_cmp_gt_i32_e64 s25, 0, v8
	v_ashrrev_i32_e32 v6, 31, v6
	v_xor_b32_e32 v5, s24, v5
	v_add_lshl_u32 v58, v2, v3, 2
	v_and_b32_e32 v4, v4, v9
	s_delay_alu instid0(VALU_DEP_4) | instskip(SKIP_2) | instid1(VALU_DEP_1)
	v_xor_b32_e32 v3, s25, v6
	ds_load_b32 v56, v58 offset:32
	v_and_b32_e32 v4, v4, v5
	; wave barrier
	v_and_b32_e32 v3, v4, v3
	s_delay_alu instid0(VALU_DEP_1) | instskip(SKIP_1) | instid1(VALU_DEP_2)
	v_mbcnt_lo_u32_b32 v57, v3, 0
	v_cmp_ne_u32_e64 s25, 0, v3
	v_cmp_eq_u32_e64 s24, 0, v57
	s_delay_alu instid0(VALU_DEP_1) | instskip(NEXT) | instid1(SALU_CYCLE_1)
	s_and_b32 s25, s25, s24
	s_and_saveexec_b32 s24, s25
	s_cbranch_execz .LBB25_61
; %bb.60:
	s_waitcnt lgkmcnt(0)
	v_bcnt_u32_b32 v3, v3, v56
	ds_store_b32 v58, v3 offset:32
.LBB25_61:
	s_or_b32 exec_lo, exec_lo, s24
	v_and_b32_e32 v3, 0xff, v20
	; wave barrier
	s_delay_alu instid0(VALU_DEP_1) | instskip(NEXT) | instid1(VALU_DEP_1)
	v_lshrrev_b32_e32 v3, s60, v3
	v_and_b32_e32 v3, s68, v3
	s_delay_alu instid0(VALU_DEP_1)
	v_and_b32_e32 v4, 1, v3
	v_lshlrev_b32_e32 v5, 30, v3
	v_lshlrev_b32_e32 v6, 29, v3
	;; [unrolled: 1-line block ×4, first 2 shown]
	v_add_co_u32 v4, s24, v4, -1
	s_delay_alu instid0(VALU_DEP_1)
	v_cndmask_b32_e64 v8, 0, 1, s24
	v_not_b32_e32 v61, v5
	v_cmp_gt_i32_e64 s25, 0, v5
	v_not_b32_e32 v5, v6
	v_lshlrev_b32_e32 v59, 26, v3
	v_cmp_ne_u32_e64 s24, 0, v8
	v_ashrrev_i32_e32 v61, 31, v61
	v_lshlrev_b32_e32 v60, 25, v3
	v_ashrrev_i32_e32 v5, 31, v5
	v_lshlrev_b32_e32 v8, 24, v3
	v_xor_b32_e32 v4, s24, v4
	v_cmp_gt_i32_e64 s24, 0, v6
	v_not_b32_e32 v6, v7
	v_xor_b32_e32 v61, s25, v61
	v_cmp_gt_i32_e64 s25, 0, v7
	v_and_b32_e32 v4, exec_lo, v4
	v_not_b32_e32 v7, v9
	v_ashrrev_i32_e32 v6, 31, v6
	v_xor_b32_e32 v5, s24, v5
	v_cmp_gt_i32_e64 s24, 0, v9
	v_and_b32_e32 v4, v4, v61
	v_not_b32_e32 v9, v59
	v_ashrrev_i32_e32 v7, 31, v7
	v_xor_b32_e32 v6, s25, v6
	v_cmp_gt_i32_e64 s25, 0, v59
	v_and_b32_e32 v4, v4, v5
	;; [unrolled: 5-line block ×3, first 2 shown]
	v_not_b32_e32 v6, v8
	v_ashrrev_i32_e32 v5, 31, v5
	v_xor_b32_e32 v9, s25, v9
	v_mul_u32_u24_e32 v3, 9, v3
	v_and_b32_e32 v4, v4, v7
	v_cmp_gt_i32_e64 s25, 0, v8
	v_ashrrev_i32_e32 v6, 31, v6
	v_xor_b32_e32 v5, s24, v5
	v_add_lshl_u32 v61, v2, v3, 2
	v_and_b32_e32 v4, v4, v9
	s_delay_alu instid0(VALU_DEP_4) | instskip(SKIP_2) | instid1(VALU_DEP_1)
	v_xor_b32_e32 v3, s25, v6
	ds_load_b32 v59, v61 offset:32
	v_and_b32_e32 v4, v4, v5
	; wave barrier
	v_and_b32_e32 v3, v4, v3
	s_delay_alu instid0(VALU_DEP_1) | instskip(SKIP_1) | instid1(VALU_DEP_2)
	v_mbcnt_lo_u32_b32 v60, v3, 0
	v_cmp_ne_u32_e64 s25, 0, v3
	v_cmp_eq_u32_e64 s24, 0, v60
	s_delay_alu instid0(VALU_DEP_1) | instskip(NEXT) | instid1(SALU_CYCLE_1)
	s_and_b32 s25, s25, s24
	s_and_saveexec_b32 s24, s25
	s_cbranch_execz .LBB25_63
; %bb.62:
	s_waitcnt lgkmcnt(0)
	v_bcnt_u32_b32 v3, v3, v59
	ds_store_b32 v61, v3 offset:32
.LBB25_63:
	s_or_b32 exec_lo, exec_lo, s24
	v_and_b32_e32 v3, 0xff, v19
	; wave barrier
	s_delay_alu instid0(VALU_DEP_1) | instskip(NEXT) | instid1(VALU_DEP_1)
	v_lshrrev_b32_e32 v3, s60, v3
	v_and_b32_e32 v3, s68, v3
	s_delay_alu instid0(VALU_DEP_1)
	v_and_b32_e32 v4, 1, v3
	v_lshlrev_b32_e32 v5, 30, v3
	v_lshlrev_b32_e32 v6, 29, v3
	;; [unrolled: 1-line block ×4, first 2 shown]
	v_add_co_u32 v4, s24, v4, -1
	s_delay_alu instid0(VALU_DEP_1)
	v_cndmask_b32_e64 v8, 0, 1, s24
	v_not_b32_e32 v64, v5
	v_cmp_gt_i32_e64 s25, 0, v5
	v_not_b32_e32 v5, v6
	v_lshlrev_b32_e32 v62, 26, v3
	v_cmp_ne_u32_e64 s24, 0, v8
	v_ashrrev_i32_e32 v64, 31, v64
	v_lshlrev_b32_e32 v63, 25, v3
	v_ashrrev_i32_e32 v5, 31, v5
	v_lshlrev_b32_e32 v8, 24, v3
	v_xor_b32_e32 v4, s24, v4
	v_cmp_gt_i32_e64 s24, 0, v6
	v_not_b32_e32 v6, v7
	v_xor_b32_e32 v64, s25, v64
	v_cmp_gt_i32_e64 s25, 0, v7
	v_and_b32_e32 v4, exec_lo, v4
	v_not_b32_e32 v7, v9
	v_ashrrev_i32_e32 v6, 31, v6
	v_xor_b32_e32 v5, s24, v5
	v_cmp_gt_i32_e64 s24, 0, v9
	v_and_b32_e32 v4, v4, v64
	v_not_b32_e32 v9, v62
	v_ashrrev_i32_e32 v7, 31, v7
	v_xor_b32_e32 v6, s25, v6
	v_cmp_gt_i32_e64 s25, 0, v62
	v_and_b32_e32 v4, v4, v5
	;; [unrolled: 5-line block ×3, first 2 shown]
	v_not_b32_e32 v6, v8
	v_ashrrev_i32_e32 v5, 31, v5
	v_xor_b32_e32 v9, s25, v9
	v_mul_u32_u24_e32 v3, 9, v3
	v_and_b32_e32 v4, v4, v7
	v_cmp_gt_i32_e64 s25, 0, v8
	v_ashrrev_i32_e32 v6, 31, v6
	v_xor_b32_e32 v5, s24, v5
	v_add_lshl_u32 v64, v2, v3, 2
	v_and_b32_e32 v4, v4, v9
	s_delay_alu instid0(VALU_DEP_4) | instskip(SKIP_2) | instid1(VALU_DEP_1)
	v_xor_b32_e32 v3, s25, v6
	ds_load_b32 v62, v64 offset:32
	v_and_b32_e32 v4, v4, v5
	; wave barrier
	v_and_b32_e32 v3, v4, v3
	s_delay_alu instid0(VALU_DEP_1) | instskip(SKIP_1) | instid1(VALU_DEP_2)
	v_mbcnt_lo_u32_b32 v63, v3, 0
	v_cmp_ne_u32_e64 s25, 0, v3
	v_cmp_eq_u32_e64 s24, 0, v63
	s_delay_alu instid0(VALU_DEP_1) | instskip(NEXT) | instid1(SALU_CYCLE_1)
	s_and_b32 s25, s25, s24
	s_and_saveexec_b32 s24, s25
	s_cbranch_execz .LBB25_65
; %bb.64:
	s_waitcnt lgkmcnt(0)
	v_bcnt_u32_b32 v3, v3, v62
	ds_store_b32 v64, v3 offset:32
.LBB25_65:
	s_or_b32 exec_lo, exec_lo, s24
	v_and_b32_e32 v3, 0xff, v23
	; wave barrier
	s_delay_alu instid0(VALU_DEP_1) | instskip(NEXT) | instid1(VALU_DEP_1)
	v_lshrrev_b32_e32 v3, s60, v3
	v_and_b32_e32 v3, s68, v3
	s_delay_alu instid0(VALU_DEP_1)
	v_and_b32_e32 v4, 1, v3
	v_lshlrev_b32_e32 v5, 30, v3
	v_lshlrev_b32_e32 v6, 29, v3
	;; [unrolled: 1-line block ×4, first 2 shown]
	v_add_co_u32 v4, s24, v4, -1
	s_delay_alu instid0(VALU_DEP_1)
	v_cndmask_b32_e64 v8, 0, 1, s24
	v_not_b32_e32 v67, v5
	v_cmp_gt_i32_e64 s25, 0, v5
	v_not_b32_e32 v5, v6
	v_lshlrev_b32_e32 v65, 26, v3
	v_cmp_ne_u32_e64 s24, 0, v8
	v_ashrrev_i32_e32 v67, 31, v67
	v_lshlrev_b32_e32 v66, 25, v3
	v_ashrrev_i32_e32 v5, 31, v5
	v_lshlrev_b32_e32 v8, 24, v3
	v_xor_b32_e32 v4, s24, v4
	v_cmp_gt_i32_e64 s24, 0, v6
	v_not_b32_e32 v6, v7
	v_xor_b32_e32 v67, s25, v67
	v_cmp_gt_i32_e64 s25, 0, v7
	v_and_b32_e32 v4, exec_lo, v4
	v_not_b32_e32 v7, v9
	v_ashrrev_i32_e32 v6, 31, v6
	v_xor_b32_e32 v5, s24, v5
	v_cmp_gt_i32_e64 s24, 0, v9
	v_and_b32_e32 v4, v4, v67
	v_not_b32_e32 v9, v65
	v_ashrrev_i32_e32 v7, 31, v7
	v_xor_b32_e32 v6, s25, v6
	v_cmp_gt_i32_e64 s25, 0, v65
	v_and_b32_e32 v4, v4, v5
	;; [unrolled: 5-line block ×3, first 2 shown]
	v_not_b32_e32 v6, v8
	v_ashrrev_i32_e32 v5, 31, v5
	v_xor_b32_e32 v9, s25, v9
	v_mul_u32_u24_e32 v3, 9, v3
	v_and_b32_e32 v4, v4, v7
	v_cmp_gt_i32_e64 s25, 0, v8
	v_ashrrev_i32_e32 v6, 31, v6
	v_xor_b32_e32 v5, s24, v5
	v_add_lshl_u32 v67, v2, v3, 2
	v_and_b32_e32 v4, v4, v9
	s_delay_alu instid0(VALU_DEP_4) | instskip(SKIP_2) | instid1(VALU_DEP_1)
	v_xor_b32_e32 v3, s25, v6
	ds_load_b32 v65, v67 offset:32
	v_and_b32_e32 v4, v4, v5
	; wave barrier
	v_and_b32_e32 v3, v4, v3
	s_delay_alu instid0(VALU_DEP_1) | instskip(SKIP_1) | instid1(VALU_DEP_2)
	v_mbcnt_lo_u32_b32 v66, v3, 0
	v_cmp_ne_u32_e64 s25, 0, v3
	v_cmp_eq_u32_e64 s24, 0, v66
	s_delay_alu instid0(VALU_DEP_1) | instskip(NEXT) | instid1(SALU_CYCLE_1)
	s_and_b32 s25, s25, s24
	s_and_saveexec_b32 s24, s25
	s_cbranch_execz .LBB25_67
; %bb.66:
	s_waitcnt lgkmcnt(0)
	v_bcnt_u32_b32 v3, v3, v65
	ds_store_b32 v67, v3 offset:32
.LBB25_67:
	s_or_b32 exec_lo, exec_lo, s24
	v_and_b32_e32 v3, 0xff, v22
	; wave barrier
	s_delay_alu instid0(VALU_DEP_1) | instskip(NEXT) | instid1(VALU_DEP_1)
	v_lshrrev_b32_e32 v3, s60, v3
	v_and_b32_e32 v3, s68, v3
	s_delay_alu instid0(VALU_DEP_1)
	v_and_b32_e32 v4, 1, v3
	v_lshlrev_b32_e32 v5, 30, v3
	v_lshlrev_b32_e32 v6, 29, v3
	;; [unrolled: 1-line block ×4, first 2 shown]
	v_add_co_u32 v4, s24, v4, -1
	s_delay_alu instid0(VALU_DEP_1)
	v_cndmask_b32_e64 v8, 0, 1, s24
	v_not_b32_e32 v70, v5
	v_cmp_gt_i32_e64 s25, 0, v5
	v_not_b32_e32 v5, v6
	v_lshlrev_b32_e32 v68, 26, v3
	v_cmp_ne_u32_e64 s24, 0, v8
	v_ashrrev_i32_e32 v70, 31, v70
	v_lshlrev_b32_e32 v69, 25, v3
	v_ashrrev_i32_e32 v5, 31, v5
	v_lshlrev_b32_e32 v8, 24, v3
	v_xor_b32_e32 v4, s24, v4
	v_cmp_gt_i32_e64 s24, 0, v6
	v_not_b32_e32 v6, v7
	v_xor_b32_e32 v70, s25, v70
	v_cmp_gt_i32_e64 s25, 0, v7
	v_and_b32_e32 v4, exec_lo, v4
	v_not_b32_e32 v7, v9
	v_ashrrev_i32_e32 v6, 31, v6
	v_xor_b32_e32 v5, s24, v5
	v_cmp_gt_i32_e64 s24, 0, v9
	v_and_b32_e32 v4, v4, v70
	v_not_b32_e32 v9, v68
	v_ashrrev_i32_e32 v7, 31, v7
	v_xor_b32_e32 v6, s25, v6
	v_cmp_gt_i32_e64 s25, 0, v68
	v_and_b32_e32 v4, v4, v5
	;; [unrolled: 5-line block ×3, first 2 shown]
	v_not_b32_e32 v6, v8
	v_ashrrev_i32_e32 v5, 31, v5
	v_xor_b32_e32 v9, s25, v9
	v_mul_u32_u24_e32 v3, 9, v3
	v_and_b32_e32 v4, v4, v7
	v_cmp_gt_i32_e64 s25, 0, v8
	v_ashrrev_i32_e32 v6, 31, v6
	v_xor_b32_e32 v5, s24, v5
	v_add_lshl_u32 v70, v2, v3, 2
	v_and_b32_e32 v4, v4, v9
	s_delay_alu instid0(VALU_DEP_4) | instskip(SKIP_2) | instid1(VALU_DEP_1)
	v_xor_b32_e32 v3, s25, v6
	ds_load_b32 v68, v70 offset:32
	v_and_b32_e32 v4, v4, v5
	; wave barrier
	v_and_b32_e32 v3, v4, v3
	s_delay_alu instid0(VALU_DEP_1) | instskip(SKIP_1) | instid1(VALU_DEP_2)
	v_mbcnt_lo_u32_b32 v69, v3, 0
	v_cmp_ne_u32_e64 s25, 0, v3
	v_cmp_eq_u32_e64 s24, 0, v69
	s_delay_alu instid0(VALU_DEP_1) | instskip(NEXT) | instid1(SALU_CYCLE_1)
	s_and_b32 s25, s25, s24
	s_and_saveexec_b32 s24, s25
	s_cbranch_execz .LBB25_69
; %bb.68:
	s_waitcnt lgkmcnt(0)
	v_bcnt_u32_b32 v3, v3, v68
	ds_store_b32 v70, v3 offset:32
.LBB25_69:
	s_or_b32 exec_lo, exec_lo, s24
	v_and_b32_e32 v3, 0xff, v25
	; wave barrier
	s_delay_alu instid0(VALU_DEP_1) | instskip(NEXT) | instid1(VALU_DEP_1)
	v_lshrrev_b32_e32 v3, s60, v3
	v_and_b32_e32 v3, s68, v3
	s_delay_alu instid0(VALU_DEP_1)
	v_and_b32_e32 v4, 1, v3
	v_lshlrev_b32_e32 v5, 30, v3
	v_lshlrev_b32_e32 v6, 29, v3
	;; [unrolled: 1-line block ×4, first 2 shown]
	v_add_co_u32 v4, s24, v4, -1
	s_delay_alu instid0(VALU_DEP_1)
	v_cndmask_b32_e64 v8, 0, 1, s24
	v_not_b32_e32 v73, v5
	v_cmp_gt_i32_e64 s25, 0, v5
	v_not_b32_e32 v5, v6
	v_lshlrev_b32_e32 v71, 26, v3
	v_cmp_ne_u32_e64 s24, 0, v8
	v_ashrrev_i32_e32 v73, 31, v73
	v_lshlrev_b32_e32 v72, 25, v3
	v_ashrrev_i32_e32 v5, 31, v5
	v_lshlrev_b32_e32 v8, 24, v3
	v_xor_b32_e32 v4, s24, v4
	v_cmp_gt_i32_e64 s24, 0, v6
	v_not_b32_e32 v6, v7
	v_xor_b32_e32 v73, s25, v73
	v_cmp_gt_i32_e64 s25, 0, v7
	v_and_b32_e32 v4, exec_lo, v4
	v_not_b32_e32 v7, v9
	v_ashrrev_i32_e32 v6, 31, v6
	v_xor_b32_e32 v5, s24, v5
	v_cmp_gt_i32_e64 s24, 0, v9
	v_and_b32_e32 v4, v4, v73
	v_not_b32_e32 v9, v71
	v_ashrrev_i32_e32 v7, 31, v7
	v_xor_b32_e32 v6, s25, v6
	v_cmp_gt_i32_e64 s25, 0, v71
	v_and_b32_e32 v4, v4, v5
	;; [unrolled: 5-line block ×3, first 2 shown]
	v_not_b32_e32 v6, v8
	v_ashrrev_i32_e32 v5, 31, v5
	v_xor_b32_e32 v9, s25, v9
	v_mul_u32_u24_e32 v3, 9, v3
	v_and_b32_e32 v4, v4, v7
	v_cmp_gt_i32_e64 s25, 0, v8
	v_ashrrev_i32_e32 v6, 31, v6
	v_xor_b32_e32 v5, s24, v5
	v_add_lshl_u32 v71, v2, v3, 2
	v_and_b32_e32 v4, v4, v9
	s_delay_alu instid0(VALU_DEP_4) | instskip(SKIP_2) | instid1(VALU_DEP_1)
	v_xor_b32_e32 v3, s25, v6
	ds_load_b32 v79, v71 offset:32
	v_and_b32_e32 v4, v4, v5
	; wave barrier
	v_and_b32_e32 v3, v4, v3
	s_delay_alu instid0(VALU_DEP_1) | instskip(SKIP_1) | instid1(VALU_DEP_2)
	v_mbcnt_lo_u32_b32 v80, v3, 0
	v_cmp_ne_u32_e64 s25, 0, v3
	v_cmp_eq_u32_e64 s24, 0, v80
	s_delay_alu instid0(VALU_DEP_1) | instskip(NEXT) | instid1(SALU_CYCLE_1)
	s_and_b32 s25, s25, s24
	s_and_saveexec_b32 s24, s25
	s_cbranch_execz .LBB25_71
; %bb.70:
	s_waitcnt lgkmcnt(0)
	v_bcnt_u32_b32 v3, v3, v79
	ds_store_b32 v71, v3 offset:32
.LBB25_71:
	s_or_b32 exec_lo, exec_lo, s24
	v_and_b32_e32 v3, 0xff, v24
	; wave barrier
	s_delay_alu instid0(VALU_DEP_1) | instskip(NEXT) | instid1(VALU_DEP_1)
	v_lshrrev_b32_e32 v3, s60, v3
	v_and_b32_e32 v3, s68, v3
	s_delay_alu instid0(VALU_DEP_1)
	v_and_b32_e32 v4, 1, v3
	v_lshlrev_b32_e32 v5, 30, v3
	v_lshlrev_b32_e32 v6, 29, v3
	;; [unrolled: 1-line block ×4, first 2 shown]
	v_add_co_u32 v4, s24, v4, -1
	s_delay_alu instid0(VALU_DEP_1)
	v_cndmask_b32_e64 v8, 0, 1, s24
	v_not_b32_e32 v74, v5
	v_cmp_gt_i32_e64 s25, 0, v5
	v_not_b32_e32 v5, v6
	v_lshlrev_b32_e32 v72, 26, v3
	v_cmp_ne_u32_e64 s24, 0, v8
	v_ashrrev_i32_e32 v74, 31, v74
	v_lshlrev_b32_e32 v73, 25, v3
	v_ashrrev_i32_e32 v5, 31, v5
	v_lshlrev_b32_e32 v8, 24, v3
	v_xor_b32_e32 v4, s24, v4
	v_cmp_gt_i32_e64 s24, 0, v6
	v_not_b32_e32 v6, v7
	v_xor_b32_e32 v74, s25, v74
	v_cmp_gt_i32_e64 s25, 0, v7
	v_and_b32_e32 v4, exec_lo, v4
	v_not_b32_e32 v7, v9
	v_ashrrev_i32_e32 v6, 31, v6
	v_xor_b32_e32 v5, s24, v5
	v_cmp_gt_i32_e64 s24, 0, v9
	v_and_b32_e32 v4, v4, v74
	v_not_b32_e32 v9, v72
	v_ashrrev_i32_e32 v7, 31, v7
	v_xor_b32_e32 v6, s25, v6
	v_cmp_gt_i32_e64 s25, 0, v72
	v_and_b32_e32 v4, v4, v5
	;; [unrolled: 5-line block ×3, first 2 shown]
	v_not_b32_e32 v6, v8
	v_ashrrev_i32_e32 v5, 31, v5
	v_xor_b32_e32 v9, s25, v9
	v_mul_u32_u24_e32 v3, 9, v3
	v_and_b32_e32 v4, v4, v7
	v_cmp_gt_i32_e64 s25, 0, v8
	v_ashrrev_i32_e32 v6, 31, v6
	v_xor_b32_e32 v5, s24, v5
	v_add_lshl_u32 v72, v2, v3, 2
	v_and_b32_e32 v4, v4, v9
	s_delay_alu instid0(VALU_DEP_4) | instskip(SKIP_2) | instid1(VALU_DEP_1)
	v_xor_b32_e32 v3, s25, v6
	ds_load_b32 v81, v72 offset:32
	v_and_b32_e32 v4, v4, v5
	; wave barrier
	v_and_b32_e32 v3, v4, v3
	s_delay_alu instid0(VALU_DEP_1) | instskip(SKIP_1) | instid1(VALU_DEP_2)
	v_mbcnt_lo_u32_b32 v82, v3, 0
	v_cmp_ne_u32_e64 s25, 0, v3
	v_cmp_eq_u32_e64 s24, 0, v82
	s_delay_alu instid0(VALU_DEP_1) | instskip(NEXT) | instid1(SALU_CYCLE_1)
	s_and_b32 s25, s25, s24
	s_and_saveexec_b32 s24, s25
	s_cbranch_execz .LBB25_73
; %bb.72:
	s_waitcnt lgkmcnt(0)
	v_bcnt_u32_b32 v3, v3, v81
	ds_store_b32 v72, v3 offset:32
.LBB25_73:
	s_or_b32 exec_lo, exec_lo, s24
	v_and_b32_e32 v3, 0xff, v27
	; wave barrier
	s_delay_alu instid0(VALU_DEP_1) | instskip(NEXT) | instid1(VALU_DEP_1)
	v_lshrrev_b32_e32 v3, s60, v3
	v_and_b32_e32 v3, s68, v3
	s_delay_alu instid0(VALU_DEP_1)
	v_and_b32_e32 v4, 1, v3
	v_lshlrev_b32_e32 v5, 30, v3
	v_lshlrev_b32_e32 v6, 29, v3
	;; [unrolled: 1-line block ×4, first 2 shown]
	v_add_co_u32 v4, s24, v4, -1
	s_delay_alu instid0(VALU_DEP_1)
	v_cndmask_b32_e64 v8, 0, 1, s24
	v_not_b32_e32 v75, v5
	v_cmp_gt_i32_e64 s25, 0, v5
	v_not_b32_e32 v5, v6
	v_lshlrev_b32_e32 v73, 26, v3
	v_cmp_ne_u32_e64 s24, 0, v8
	v_ashrrev_i32_e32 v75, 31, v75
	v_lshlrev_b32_e32 v74, 25, v3
	v_ashrrev_i32_e32 v5, 31, v5
	v_lshlrev_b32_e32 v8, 24, v3
	v_xor_b32_e32 v4, s24, v4
	v_cmp_gt_i32_e64 s24, 0, v6
	v_not_b32_e32 v6, v7
	v_xor_b32_e32 v75, s25, v75
	v_cmp_gt_i32_e64 s25, 0, v7
	v_and_b32_e32 v4, exec_lo, v4
	v_not_b32_e32 v7, v9
	v_ashrrev_i32_e32 v6, 31, v6
	v_xor_b32_e32 v5, s24, v5
	v_cmp_gt_i32_e64 s24, 0, v9
	v_and_b32_e32 v4, v4, v75
	v_not_b32_e32 v9, v73
	v_ashrrev_i32_e32 v7, 31, v7
	v_xor_b32_e32 v6, s25, v6
	v_cmp_gt_i32_e64 s25, 0, v73
	v_and_b32_e32 v4, v4, v5
	v_not_b32_e32 v5, v74
	v_ashrrev_i32_e32 v9, 31, v9
	v_xor_b32_e32 v7, s24, v7
	v_cmp_gt_i32_e64 s24, 0, v74
	v_and_b32_e32 v4, v4, v6
	v_not_b32_e32 v6, v8
	v_ashrrev_i32_e32 v5, 31, v5
	v_xor_b32_e32 v9, s25, v9
	v_mul_u32_u24_e32 v3, 9, v3
	v_and_b32_e32 v4, v4, v7
	v_cmp_gt_i32_e64 s25, 0, v8
	v_ashrrev_i32_e32 v6, 31, v6
	v_xor_b32_e32 v5, s24, v5
	v_add_lshl_u32 v73, v2, v3, 2
	v_and_b32_e32 v4, v4, v9
	s_delay_alu instid0(VALU_DEP_4) | instskip(SKIP_2) | instid1(VALU_DEP_1)
	v_xor_b32_e32 v3, s25, v6
	ds_load_b32 v83, v73 offset:32
	v_and_b32_e32 v4, v4, v5
	; wave barrier
	v_and_b32_e32 v3, v4, v3
	s_delay_alu instid0(VALU_DEP_1) | instskip(SKIP_1) | instid1(VALU_DEP_2)
	v_mbcnt_lo_u32_b32 v84, v3, 0
	v_cmp_ne_u32_e64 s25, 0, v3
	v_cmp_eq_u32_e64 s24, 0, v84
	s_delay_alu instid0(VALU_DEP_1) | instskip(NEXT) | instid1(SALU_CYCLE_1)
	s_and_b32 s25, s25, s24
	s_and_saveexec_b32 s24, s25
	s_cbranch_execz .LBB25_75
; %bb.74:
	s_waitcnt lgkmcnt(0)
	v_bcnt_u32_b32 v3, v3, v83
	ds_store_b32 v73, v3 offset:32
.LBB25_75:
	s_or_b32 exec_lo, exec_lo, s24
	v_and_b32_e32 v3, 0xff, v26
	; wave barrier
	s_delay_alu instid0(VALU_DEP_1) | instskip(NEXT) | instid1(VALU_DEP_1)
	v_lshrrev_b32_e32 v3, s60, v3
	v_and_b32_e32 v3, s68, v3
	s_delay_alu instid0(VALU_DEP_1)
	v_and_b32_e32 v4, 1, v3
	v_lshlrev_b32_e32 v5, 30, v3
	v_lshlrev_b32_e32 v6, 29, v3
	;; [unrolled: 1-line block ×4, first 2 shown]
	v_add_co_u32 v4, s24, v4, -1
	s_delay_alu instid0(VALU_DEP_1)
	v_cndmask_b32_e64 v8, 0, 1, s24
	v_not_b32_e32 v76, v5
	v_cmp_gt_i32_e64 s25, 0, v5
	v_not_b32_e32 v5, v6
	v_lshlrev_b32_e32 v74, 26, v3
	v_cmp_ne_u32_e64 s24, 0, v8
	v_ashrrev_i32_e32 v76, 31, v76
	v_lshlrev_b32_e32 v75, 25, v3
	v_ashrrev_i32_e32 v5, 31, v5
	v_lshlrev_b32_e32 v8, 24, v3
	v_xor_b32_e32 v4, s24, v4
	v_cmp_gt_i32_e64 s24, 0, v6
	v_not_b32_e32 v6, v7
	v_xor_b32_e32 v76, s25, v76
	v_cmp_gt_i32_e64 s25, 0, v7
	v_and_b32_e32 v4, exec_lo, v4
	v_not_b32_e32 v7, v9
	v_ashrrev_i32_e32 v6, 31, v6
	v_xor_b32_e32 v5, s24, v5
	v_cmp_gt_i32_e64 s24, 0, v9
	v_and_b32_e32 v4, v4, v76
	v_not_b32_e32 v9, v74
	v_ashrrev_i32_e32 v7, 31, v7
	v_xor_b32_e32 v6, s25, v6
	v_cmp_gt_i32_e64 s25, 0, v74
	v_and_b32_e32 v4, v4, v5
	;; [unrolled: 5-line block ×3, first 2 shown]
	v_not_b32_e32 v6, v8
	v_ashrrev_i32_e32 v5, 31, v5
	v_xor_b32_e32 v9, s25, v9
	v_mul_u32_u24_e32 v3, 9, v3
	v_and_b32_e32 v4, v4, v7
	v_cmp_gt_i32_e64 s25, 0, v8
	v_ashrrev_i32_e32 v6, 31, v6
	v_xor_b32_e32 v5, s24, v5
	v_add_lshl_u32 v74, v2, v3, 2
	v_and_b32_e32 v4, v4, v9
	s_delay_alu instid0(VALU_DEP_4) | instskip(SKIP_2) | instid1(VALU_DEP_1)
	v_xor_b32_e32 v3, s25, v6
	ds_load_b32 v85, v74 offset:32
	v_and_b32_e32 v4, v4, v5
	; wave barrier
	v_and_b32_e32 v3, v4, v3
	s_delay_alu instid0(VALU_DEP_1) | instskip(SKIP_1) | instid1(VALU_DEP_2)
	v_mbcnt_lo_u32_b32 v86, v3, 0
	v_cmp_ne_u32_e64 s25, 0, v3
	v_cmp_eq_u32_e64 s24, 0, v86
	s_delay_alu instid0(VALU_DEP_1) | instskip(NEXT) | instid1(SALU_CYCLE_1)
	s_and_b32 s25, s25, s24
	s_and_saveexec_b32 s24, s25
	s_cbranch_execz .LBB25_77
; %bb.76:
	s_waitcnt lgkmcnt(0)
	v_bcnt_u32_b32 v3, v3, v85
	ds_store_b32 v74, v3 offset:32
.LBB25_77:
	s_or_b32 exec_lo, exec_lo, s24
	v_and_b32_e32 v3, 0xff, v29
	; wave barrier
	s_delay_alu instid0(VALU_DEP_1) | instskip(NEXT) | instid1(VALU_DEP_1)
	v_lshrrev_b32_e32 v3, s60, v3
	v_and_b32_e32 v3, s68, v3
	s_delay_alu instid0(VALU_DEP_1)
	v_and_b32_e32 v4, 1, v3
	v_lshlrev_b32_e32 v5, 30, v3
	v_lshlrev_b32_e32 v6, 29, v3
	;; [unrolled: 1-line block ×4, first 2 shown]
	v_add_co_u32 v4, s24, v4, -1
	s_delay_alu instid0(VALU_DEP_1)
	v_cndmask_b32_e64 v8, 0, 1, s24
	v_not_b32_e32 v77, v5
	v_cmp_gt_i32_e64 s25, 0, v5
	v_not_b32_e32 v5, v6
	v_lshlrev_b32_e32 v75, 26, v3
	v_cmp_ne_u32_e64 s24, 0, v8
	v_ashrrev_i32_e32 v77, 31, v77
	v_lshlrev_b32_e32 v76, 25, v3
	v_ashrrev_i32_e32 v5, 31, v5
	v_lshlrev_b32_e32 v8, 24, v3
	v_xor_b32_e32 v4, s24, v4
	v_cmp_gt_i32_e64 s24, 0, v6
	v_not_b32_e32 v6, v7
	v_xor_b32_e32 v77, s25, v77
	v_cmp_gt_i32_e64 s25, 0, v7
	v_and_b32_e32 v4, exec_lo, v4
	v_not_b32_e32 v7, v9
	v_ashrrev_i32_e32 v6, 31, v6
	v_xor_b32_e32 v5, s24, v5
	v_cmp_gt_i32_e64 s24, 0, v9
	v_and_b32_e32 v4, v4, v77
	v_not_b32_e32 v9, v75
	v_ashrrev_i32_e32 v7, 31, v7
	v_xor_b32_e32 v6, s25, v6
	v_cmp_gt_i32_e64 s25, 0, v75
	v_and_b32_e32 v4, v4, v5
	v_not_b32_e32 v5, v76
	v_ashrrev_i32_e32 v9, 31, v9
	v_xor_b32_e32 v7, s24, v7
	v_cmp_gt_i32_e64 s24, 0, v76
	v_and_b32_e32 v4, v4, v6
	v_not_b32_e32 v6, v8
	v_ashrrev_i32_e32 v5, 31, v5
	v_xor_b32_e32 v9, s25, v9
	v_mul_u32_u24_e32 v3, 9, v3
	v_and_b32_e32 v4, v4, v7
	v_cmp_gt_i32_e64 s25, 0, v8
	v_ashrrev_i32_e32 v6, 31, v6
	v_xor_b32_e32 v5, s24, v5
	v_add_lshl_u32 v75, v2, v3, 2
	v_and_b32_e32 v4, v4, v9
	s_delay_alu instid0(VALU_DEP_4) | instskip(SKIP_2) | instid1(VALU_DEP_1)
	v_xor_b32_e32 v3, s25, v6
	ds_load_b32 v87, v75 offset:32
	v_and_b32_e32 v4, v4, v5
	; wave barrier
	v_and_b32_e32 v3, v4, v3
	s_delay_alu instid0(VALU_DEP_1) | instskip(SKIP_1) | instid1(VALU_DEP_2)
	v_mbcnt_lo_u32_b32 v88, v3, 0
	v_cmp_ne_u32_e64 s25, 0, v3
	v_cmp_eq_u32_e64 s24, 0, v88
	s_delay_alu instid0(VALU_DEP_1) | instskip(NEXT) | instid1(SALU_CYCLE_1)
	s_and_b32 s25, s25, s24
	s_and_saveexec_b32 s24, s25
	s_cbranch_execz .LBB25_79
; %bb.78:
	s_waitcnt lgkmcnt(0)
	v_bcnt_u32_b32 v3, v3, v87
	ds_store_b32 v75, v3 offset:32
.LBB25_79:
	s_or_b32 exec_lo, exec_lo, s24
	v_and_b32_e32 v3, 0xff, v28
	; wave barrier
	s_delay_alu instid0(VALU_DEP_1) | instskip(NEXT) | instid1(VALU_DEP_1)
	v_lshrrev_b32_e32 v3, s60, v3
	v_and_b32_e32 v3, s68, v3
	s_delay_alu instid0(VALU_DEP_1)
	v_and_b32_e32 v4, 1, v3
	v_lshlrev_b32_e32 v5, 30, v3
	v_lshlrev_b32_e32 v6, 29, v3
	;; [unrolled: 1-line block ×4, first 2 shown]
	v_add_co_u32 v4, s24, v4, -1
	s_delay_alu instid0(VALU_DEP_1)
	v_cndmask_b32_e64 v8, 0, 1, s24
	v_not_b32_e32 v78, v5
	v_cmp_gt_i32_e64 s25, 0, v5
	v_not_b32_e32 v5, v6
	v_lshlrev_b32_e32 v76, 26, v3
	v_cmp_ne_u32_e64 s24, 0, v8
	v_ashrrev_i32_e32 v78, 31, v78
	v_lshlrev_b32_e32 v77, 25, v3
	v_ashrrev_i32_e32 v5, 31, v5
	v_lshlrev_b32_e32 v8, 24, v3
	v_xor_b32_e32 v4, s24, v4
	v_cmp_gt_i32_e64 s24, 0, v6
	v_not_b32_e32 v6, v7
	v_xor_b32_e32 v78, s25, v78
	v_cmp_gt_i32_e64 s25, 0, v7
	v_and_b32_e32 v4, exec_lo, v4
	v_not_b32_e32 v7, v9
	v_ashrrev_i32_e32 v6, 31, v6
	v_xor_b32_e32 v5, s24, v5
	v_cmp_gt_i32_e64 s24, 0, v9
	v_and_b32_e32 v4, v4, v78
	v_not_b32_e32 v9, v76
	v_ashrrev_i32_e32 v7, 31, v7
	v_xor_b32_e32 v6, s25, v6
	v_cmp_gt_i32_e64 s25, 0, v76
	v_and_b32_e32 v4, v4, v5
	;; [unrolled: 5-line block ×3, first 2 shown]
	v_not_b32_e32 v6, v8
	v_ashrrev_i32_e32 v5, 31, v5
	v_xor_b32_e32 v9, s25, v9
	v_mul_u32_u24_e32 v3, 9, v3
	v_and_b32_e32 v4, v4, v7
	v_cmp_gt_i32_e64 s25, 0, v8
	v_ashrrev_i32_e32 v6, 31, v6
	v_xor_b32_e32 v5, s24, v5
	v_add_lshl_u32 v76, v2, v3, 2
	v_and_b32_e32 v4, v4, v9
	s_delay_alu instid0(VALU_DEP_4) | instskip(SKIP_2) | instid1(VALU_DEP_1)
	v_xor_b32_e32 v3, s25, v6
	ds_load_b32 v89, v76 offset:32
	v_and_b32_e32 v4, v4, v5
	; wave barrier
	v_and_b32_e32 v3, v4, v3
	s_delay_alu instid0(VALU_DEP_1) | instskip(SKIP_1) | instid1(VALU_DEP_2)
	v_mbcnt_lo_u32_b32 v90, v3, 0
	v_cmp_ne_u32_e64 s25, 0, v3
	v_cmp_eq_u32_e64 s24, 0, v90
	s_delay_alu instid0(VALU_DEP_1) | instskip(NEXT) | instid1(SALU_CYCLE_1)
	s_and_b32 s25, s25, s24
	s_and_saveexec_b32 s24, s25
	s_cbranch_execz .LBB25_81
; %bb.80:
	s_waitcnt lgkmcnt(0)
	v_bcnt_u32_b32 v3, v3, v89
	ds_store_b32 v76, v3 offset:32
.LBB25_81:
	s_or_b32 exec_lo, exec_lo, s24
	v_and_b32_e32 v3, 0xff, v31
	; wave barrier
	s_delay_alu instid0(VALU_DEP_1) | instskip(NEXT) | instid1(VALU_DEP_1)
	v_lshrrev_b32_e32 v3, s60, v3
	v_and_b32_e32 v3, s68, v3
	s_delay_alu instid0(VALU_DEP_1)
	v_and_b32_e32 v4, 1, v3
	v_lshlrev_b32_e32 v5, 30, v3
	v_lshlrev_b32_e32 v6, 29, v3
	;; [unrolled: 1-line block ×4, first 2 shown]
	v_add_co_u32 v4, s24, v4, -1
	s_delay_alu instid0(VALU_DEP_1)
	v_cndmask_b32_e64 v8, 0, 1, s24
	v_not_b32_e32 v91, v5
	v_cmp_gt_i32_e64 s25, 0, v5
	v_not_b32_e32 v5, v6
	v_lshlrev_b32_e32 v77, 26, v3
	v_cmp_ne_u32_e64 s24, 0, v8
	v_ashrrev_i32_e32 v91, 31, v91
	v_lshlrev_b32_e32 v78, 25, v3
	v_ashrrev_i32_e32 v5, 31, v5
	v_lshlrev_b32_e32 v8, 24, v3
	v_xor_b32_e32 v4, s24, v4
	v_cmp_gt_i32_e64 s24, 0, v6
	v_not_b32_e32 v6, v7
	v_xor_b32_e32 v91, s25, v91
	v_cmp_gt_i32_e64 s25, 0, v7
	v_and_b32_e32 v4, exec_lo, v4
	v_not_b32_e32 v7, v9
	v_ashrrev_i32_e32 v6, 31, v6
	v_xor_b32_e32 v5, s24, v5
	v_cmp_gt_i32_e64 s24, 0, v9
	v_and_b32_e32 v4, v4, v91
	v_not_b32_e32 v9, v77
	v_ashrrev_i32_e32 v7, 31, v7
	v_xor_b32_e32 v6, s25, v6
	v_cmp_gt_i32_e64 s25, 0, v77
	v_and_b32_e32 v4, v4, v5
	;; [unrolled: 5-line block ×3, first 2 shown]
	v_not_b32_e32 v6, v8
	v_ashrrev_i32_e32 v5, 31, v5
	v_xor_b32_e32 v9, s25, v9
	v_mul_u32_u24_e32 v3, 9, v3
	v_and_b32_e32 v4, v4, v7
	v_cmp_gt_i32_e64 s25, 0, v8
	v_ashrrev_i32_e32 v6, 31, v6
	v_xor_b32_e32 v5, s24, v5
	v_add_lshl_u32 v77, v2, v3, 2
	v_and_b32_e32 v4, v4, v9
	s_delay_alu instid0(VALU_DEP_4) | instskip(SKIP_2) | instid1(VALU_DEP_1)
	v_xor_b32_e32 v3, s25, v6
	ds_load_b32 v91, v77 offset:32
	v_and_b32_e32 v4, v4, v5
	; wave barrier
	v_and_b32_e32 v3, v4, v3
	s_delay_alu instid0(VALU_DEP_1) | instskip(SKIP_1) | instid1(VALU_DEP_2)
	v_mbcnt_lo_u32_b32 v92, v3, 0
	v_cmp_ne_u32_e64 s25, 0, v3
	v_cmp_eq_u32_e64 s24, 0, v92
	s_delay_alu instid0(VALU_DEP_1) | instskip(NEXT) | instid1(SALU_CYCLE_1)
	s_and_b32 s25, s25, s24
	s_and_saveexec_b32 s24, s25
	s_cbranch_execz .LBB25_83
; %bb.82:
	s_waitcnt lgkmcnt(0)
	v_bcnt_u32_b32 v3, v3, v91
	ds_store_b32 v77, v3 offset:32
.LBB25_83:
	s_or_b32 exec_lo, exec_lo, s24
	v_and_b32_e32 v3, 0xff, v30
	; wave barrier
	s_delay_alu instid0(VALU_DEP_1) | instskip(NEXT) | instid1(VALU_DEP_1)
	v_lshrrev_b32_e32 v3, s60, v3
	v_and_b32_e32 v3, s68, v3
	s_delay_alu instid0(VALU_DEP_1)
	v_and_b32_e32 v4, 1, v3
	v_lshlrev_b32_e32 v5, 30, v3
	v_lshlrev_b32_e32 v6, 29, v3
	v_lshlrev_b32_e32 v7, 28, v3
	v_lshlrev_b32_e32 v9, 27, v3
	v_add_co_u32 v4, s24, v4, -1
	s_delay_alu instid0(VALU_DEP_1)
	v_cndmask_b32_e64 v8, 0, 1, s24
	v_not_b32_e32 v94, v5
	v_cmp_gt_i32_e64 s25, 0, v5
	v_not_b32_e32 v5, v6
	v_lshlrev_b32_e32 v78, 26, v3
	v_cmp_ne_u32_e64 s24, 0, v8
	v_ashrrev_i32_e32 v94, 31, v94
	v_lshlrev_b32_e32 v93, 25, v3
	v_ashrrev_i32_e32 v5, 31, v5
	v_lshlrev_b32_e32 v8, 24, v3
	v_xor_b32_e32 v4, s24, v4
	v_cmp_gt_i32_e64 s24, 0, v6
	v_not_b32_e32 v6, v7
	v_xor_b32_e32 v94, s25, v94
	v_cmp_gt_i32_e64 s25, 0, v7
	v_and_b32_e32 v4, exec_lo, v4
	v_not_b32_e32 v7, v9
	v_ashrrev_i32_e32 v6, 31, v6
	v_xor_b32_e32 v5, s24, v5
	v_cmp_gt_i32_e64 s24, 0, v9
	v_and_b32_e32 v4, v4, v94
	v_not_b32_e32 v9, v78
	v_ashrrev_i32_e32 v7, 31, v7
	v_xor_b32_e32 v6, s25, v6
	v_cmp_gt_i32_e64 s25, 0, v78
	v_and_b32_e32 v4, v4, v5
	;; [unrolled: 5-line block ×3, first 2 shown]
	v_not_b32_e32 v6, v8
	v_ashrrev_i32_e32 v5, 31, v5
	v_xor_b32_e32 v9, s25, v9
	v_mul_u32_u24_e32 v3, 9, v3
	v_and_b32_e32 v4, v4, v7
	v_cmp_gt_i32_e64 s25, 0, v8
	v_ashrrev_i32_e32 v6, 31, v6
	v_xor_b32_e32 v5, s24, v5
	v_add_lshl_u32 v78, v2, v3, 2
	v_and_b32_e32 v4, v4, v9
	s_delay_alu instid0(VALU_DEP_4) | instskip(SKIP_2) | instid1(VALU_DEP_1)
	v_xor_b32_e32 v3, s25, v6
	ds_load_b32 v93, v78 offset:32
	v_and_b32_e32 v4, v4, v5
	; wave barrier
	v_and_b32_e32 v3, v4, v3
	s_delay_alu instid0(VALU_DEP_1) | instskip(SKIP_1) | instid1(VALU_DEP_2)
	v_mbcnt_lo_u32_b32 v94, v3, 0
	v_cmp_ne_u32_e64 s25, 0, v3
	v_cmp_eq_u32_e64 s24, 0, v94
	s_delay_alu instid0(VALU_DEP_1) | instskip(NEXT) | instid1(SALU_CYCLE_1)
	s_and_b32 s25, s25, s24
	s_and_saveexec_b32 s24, s25
	s_cbranch_execz .LBB25_85
; %bb.84:
	s_waitcnt lgkmcnt(0)
	v_bcnt_u32_b32 v3, v3, v93
	ds_store_b32 v78, v3 offset:32
.LBB25_85:
	s_or_b32 exec_lo, exec_lo, s24
	v_and_b32_e32 v3, 0xff, v33
	; wave barrier
	s_delay_alu instid0(VALU_DEP_1) | instskip(NEXT) | instid1(VALU_DEP_1)
	v_lshrrev_b32_e32 v3, s60, v3
	v_and_b32_e32 v3, s68, v3
	s_delay_alu instid0(VALU_DEP_1)
	v_and_b32_e32 v4, 1, v3
	v_lshlrev_b32_e32 v5, 30, v3
	v_lshlrev_b32_e32 v6, 29, v3
	;; [unrolled: 1-line block ×4, first 2 shown]
	v_add_co_u32 v4, s24, v4, -1
	s_delay_alu instid0(VALU_DEP_1)
	v_cndmask_b32_e64 v8, 0, 1, s24
	v_not_b32_e32 v97, v5
	v_cmp_gt_i32_e64 s25, 0, v5
	v_not_b32_e32 v5, v6
	v_lshlrev_b32_e32 v95, 26, v3
	v_cmp_ne_u32_e64 s24, 0, v8
	v_ashrrev_i32_e32 v97, 31, v97
	v_lshlrev_b32_e32 v96, 25, v3
	v_ashrrev_i32_e32 v5, 31, v5
	v_lshlrev_b32_e32 v8, 24, v3
	v_xor_b32_e32 v4, s24, v4
	v_cmp_gt_i32_e64 s24, 0, v6
	v_not_b32_e32 v6, v7
	v_xor_b32_e32 v97, s25, v97
	v_cmp_gt_i32_e64 s25, 0, v7
	v_and_b32_e32 v4, exec_lo, v4
	v_not_b32_e32 v7, v9
	v_ashrrev_i32_e32 v6, 31, v6
	v_xor_b32_e32 v5, s24, v5
	v_cmp_gt_i32_e64 s24, 0, v9
	v_and_b32_e32 v4, v4, v97
	v_not_b32_e32 v9, v95
	v_ashrrev_i32_e32 v7, 31, v7
	v_xor_b32_e32 v6, s25, v6
	v_cmp_gt_i32_e64 s25, 0, v95
	v_and_b32_e32 v4, v4, v5
	v_not_b32_e32 v5, v96
	v_ashrrev_i32_e32 v9, 31, v9
	v_xor_b32_e32 v7, s24, v7
	v_cmp_gt_i32_e64 s24, 0, v96
	v_and_b32_e32 v4, v4, v6
	v_not_b32_e32 v6, v8
	v_ashrrev_i32_e32 v5, 31, v5
	v_xor_b32_e32 v9, s25, v9
	v_mul_u32_u24_e32 v3, 9, v3
	v_and_b32_e32 v4, v4, v7
	v_cmp_gt_i32_e64 s25, 0, v8
	v_ashrrev_i32_e32 v6, 31, v6
	v_xor_b32_e32 v5, s24, v5
	v_add_lshl_u32 v97, v2, v3, 2
	v_and_b32_e32 v4, v4, v9
	s_delay_alu instid0(VALU_DEP_4) | instskip(SKIP_2) | instid1(VALU_DEP_1)
	v_xor_b32_e32 v3, s25, v6
	ds_load_b32 v95, v97 offset:32
	v_and_b32_e32 v4, v4, v5
	; wave barrier
	v_and_b32_e32 v3, v4, v3
	s_delay_alu instid0(VALU_DEP_1) | instskip(SKIP_1) | instid1(VALU_DEP_2)
	v_mbcnt_lo_u32_b32 v96, v3, 0
	v_cmp_ne_u32_e64 s25, 0, v3
	v_cmp_eq_u32_e64 s24, 0, v96
	s_delay_alu instid0(VALU_DEP_1) | instskip(NEXT) | instid1(SALU_CYCLE_1)
	s_and_b32 s25, s25, s24
	s_and_saveexec_b32 s24, s25
	s_cbranch_execz .LBB25_87
; %bb.86:
	s_waitcnt lgkmcnt(0)
	v_bcnt_u32_b32 v3, v3, v95
	ds_store_b32 v97, v3 offset:32
.LBB25_87:
	s_or_b32 exec_lo, exec_lo, s24
	v_and_b32_e32 v3, 0xff, v32
	; wave barrier
	v_add_nc_u32_e32 v101, 32, v35
	s_delay_alu instid0(VALU_DEP_2) | instskip(NEXT) | instid1(VALU_DEP_1)
	v_lshrrev_b32_e32 v3, s60, v3
	v_and_b32_e32 v3, s68, v3
	s_delay_alu instid0(VALU_DEP_1)
	v_and_b32_e32 v4, 1, v3
	v_lshlrev_b32_e32 v5, 30, v3
	v_lshlrev_b32_e32 v6, 29, v3
	;; [unrolled: 1-line block ×4, first 2 shown]
	v_add_co_u32 v4, s24, v4, -1
	s_delay_alu instid0(VALU_DEP_1)
	v_cndmask_b32_e64 v8, 0, 1, s24
	v_not_b32_e32 v100, v5
	v_cmp_gt_i32_e64 s25, 0, v5
	v_not_b32_e32 v5, v6
	v_lshlrev_b32_e32 v98, 26, v3
	v_cmp_ne_u32_e64 s24, 0, v8
	v_ashrrev_i32_e32 v100, 31, v100
	v_lshlrev_b32_e32 v99, 25, v3
	v_ashrrev_i32_e32 v5, 31, v5
	v_lshlrev_b32_e32 v8, 24, v3
	v_xor_b32_e32 v4, s24, v4
	v_cmp_gt_i32_e64 s24, 0, v6
	v_not_b32_e32 v6, v7
	v_xor_b32_e32 v100, s25, v100
	v_cmp_gt_i32_e64 s25, 0, v7
	v_and_b32_e32 v4, exec_lo, v4
	v_not_b32_e32 v7, v9
	v_ashrrev_i32_e32 v6, 31, v6
	v_xor_b32_e32 v5, s24, v5
	v_cmp_gt_i32_e64 s24, 0, v9
	v_and_b32_e32 v4, v4, v100
	v_not_b32_e32 v9, v98
	v_ashrrev_i32_e32 v7, 31, v7
	v_xor_b32_e32 v6, s25, v6
	v_cmp_gt_i32_e64 s25, 0, v98
	v_and_b32_e32 v4, v4, v5
	;; [unrolled: 5-line block ×3, first 2 shown]
	v_not_b32_e32 v6, v8
	v_ashrrev_i32_e32 v5, 31, v5
	v_xor_b32_e32 v9, s25, v9
	v_mul_u32_u24_e32 v3, 9, v3
	v_and_b32_e32 v4, v4, v7
	v_cmp_gt_i32_e64 s25, 0, v8
	v_ashrrev_i32_e32 v6, 31, v6
	v_xor_b32_e32 v5, s24, v5
	v_add_lshl_u32 v100, v2, v3, 2
	v_and_b32_e32 v4, v4, v9
	s_delay_alu instid0(VALU_DEP_4) | instskip(SKIP_2) | instid1(VALU_DEP_1)
	v_xor_b32_e32 v2, s25, v6
	ds_load_b32 v98, v100 offset:32
	v_and_b32_e32 v3, v4, v5
	; wave barrier
	v_and_b32_e32 v2, v3, v2
	s_delay_alu instid0(VALU_DEP_1) | instskip(SKIP_1) | instid1(VALU_DEP_2)
	v_mbcnt_lo_u32_b32 v99, v2, 0
	v_cmp_ne_u32_e64 s25, 0, v2
	v_cmp_eq_u32_e64 s24, 0, v99
	s_delay_alu instid0(VALU_DEP_1) | instskip(NEXT) | instid1(SALU_CYCLE_1)
	s_and_b32 s25, s25, s24
	s_and_saveexec_b32 s24, s25
	s_cbranch_execz .LBB25_89
; %bb.88:
	s_waitcnt lgkmcnt(0)
	v_bcnt_u32_b32 v2, v2, v98
	ds_store_b32 v100, v2 offset:32
.LBB25_89:
	s_or_b32 exec_lo, exec_lo, s24
	; wave barrier
	s_waitcnt lgkmcnt(0)
	s_barrier
	buffer_gl0_inv
	ds_load_2addr_b32 v[8:9], v35 offset0:8 offset1:9
	ds_load_2addr_b32 v[6:7], v101 offset0:2 offset1:3
	;; [unrolled: 1-line block ×4, first 2 shown]
	ds_load_b32 v102, v101 offset:32
	v_min_u32_e32 v21, 0xe0, v21
	s_mov_b32 s25, exec_lo
	s_delay_alu instid0(VALU_DEP_1) | instskip(SKIP_3) | instid1(VALU_DEP_1)
	v_or_b32_e32 v105, 31, v21
	s_waitcnt lgkmcnt(3)
	v_add3_u32 v103, v9, v8, v6
	s_waitcnt lgkmcnt(2)
	v_add3_u32 v103, v103, v7, v4
	s_waitcnt lgkmcnt(1)
	s_delay_alu instid0(VALU_DEP_1) | instskip(SKIP_1) | instid1(VALU_DEP_1)
	v_add3_u32 v103, v103, v5, v2
	s_waitcnt lgkmcnt(0)
	v_add3_u32 v102, v103, v3, v102
	v_and_b32_e32 v103, 15, v51
	s_delay_alu instid0(VALU_DEP_2) | instskip(NEXT) | instid1(VALU_DEP_2)
	v_mov_b32_dpp v104, v102 row_shr:1 row_mask:0xf bank_mask:0xf
	v_cmp_ne_u32_e64 s24, 0, v103
	s_delay_alu instid0(VALU_DEP_1) | instskip(SKIP_1) | instid1(VALU_DEP_2)
	v_cndmask_b32_e64 v104, 0, v104, s24
	v_cmp_lt_u32_e64 s24, 1, v103
	v_add_nc_u32_e32 v102, v104, v102
	s_delay_alu instid0(VALU_DEP_1) | instskip(NEXT) | instid1(VALU_DEP_1)
	v_mov_b32_dpp v104, v102 row_shr:2 row_mask:0xf bank_mask:0xf
	v_cndmask_b32_e64 v104, 0, v104, s24
	v_cmp_lt_u32_e64 s24, 3, v103
	s_delay_alu instid0(VALU_DEP_2) | instskip(NEXT) | instid1(VALU_DEP_1)
	v_add_nc_u32_e32 v102, v102, v104
	v_mov_b32_dpp v104, v102 row_shr:4 row_mask:0xf bank_mask:0xf
	s_delay_alu instid0(VALU_DEP_1) | instskip(SKIP_1) | instid1(VALU_DEP_2)
	v_cndmask_b32_e64 v104, 0, v104, s24
	v_cmp_lt_u32_e64 s24, 7, v103
	v_add_nc_u32_e32 v102, v102, v104
	s_delay_alu instid0(VALU_DEP_1) | instskip(NEXT) | instid1(VALU_DEP_1)
	v_mov_b32_dpp v104, v102 row_shr:8 row_mask:0xf bank_mask:0xf
	v_cndmask_b32_e64 v103, 0, v104, s24
	v_bfe_i32 v104, v51, 4, 1
	s_delay_alu instid0(VALU_DEP_2) | instskip(SKIP_4) | instid1(VALU_DEP_2)
	v_add_nc_u32_e32 v103, v102, v103
	ds_swizzle_b32 v102, v103 offset:swizzle(BROADCAST,32,15)
	s_waitcnt lgkmcnt(0)
	v_and_b32_e32 v104, v104, v102
	v_lshrrev_b32_e32 v102, 5, v1
	v_add_nc_u32_e32 v21, v103, v104
	v_cmpx_eq_u32_e64 v105, v1
	s_cbranch_execz .LBB25_91
; %bb.90:
	s_delay_alu instid0(VALU_DEP_3)
	v_lshlrev_b32_e32 v103, 2, v102
	ds_store_b32 v103, v21
.LBB25_91:
	s_or_b32 exec_lo, exec_lo, s25
	s_delay_alu instid0(SALU_CYCLE_1)
	s_mov_b32 s25, exec_lo
	s_waitcnt lgkmcnt(0)
	s_barrier
	buffer_gl0_inv
	v_cmpx_gt_u32_e32 8, v1
	s_cbranch_execz .LBB25_93
; %bb.92:
	v_lshlrev_b32_e32 v103, 2, v1
	v_and_b32_e32 v105, 7, v51
	ds_load_b32 v104, v103
	v_cmp_ne_u32_e64 s24, 0, v105
	s_waitcnt lgkmcnt(0)
	v_mov_b32_dpp v106, v104 row_shr:1 row_mask:0xf bank_mask:0xf
	s_delay_alu instid0(VALU_DEP_1) | instskip(SKIP_1) | instid1(VALU_DEP_2)
	v_cndmask_b32_e64 v106, 0, v106, s24
	v_cmp_lt_u32_e64 s24, 1, v105
	v_add_nc_u32_e32 v104, v106, v104
	s_delay_alu instid0(VALU_DEP_1) | instskip(NEXT) | instid1(VALU_DEP_1)
	v_mov_b32_dpp v106, v104 row_shr:2 row_mask:0xf bank_mask:0xf
	v_cndmask_b32_e64 v106, 0, v106, s24
	v_cmp_lt_u32_e64 s24, 3, v105
	s_delay_alu instid0(VALU_DEP_2) | instskip(NEXT) | instid1(VALU_DEP_1)
	v_add_nc_u32_e32 v104, v104, v106
	v_mov_b32_dpp v106, v104 row_shr:4 row_mask:0xf bank_mask:0xf
	s_delay_alu instid0(VALU_DEP_1) | instskip(NEXT) | instid1(VALU_DEP_1)
	v_cndmask_b32_e64 v105, 0, v106, s24
	v_add_nc_u32_e32 v104, v104, v105
	ds_store_b32 v103, v104
.LBB25_93:
	s_or_b32 exec_lo, exec_lo, s25
	v_mov_b32_e32 v103, 0
	s_mov_b32 s25, exec_lo
	s_waitcnt lgkmcnt(0)
	s_barrier
	buffer_gl0_inv
	v_cmpx_lt_u32_e32 31, v1
	s_cbranch_execz .LBB25_95
; %bb.94:
	v_lshl_add_u32 v102, v102, 2, -4
	ds_load_b32 v103, v102
.LBB25_95:
	s_or_b32 exec_lo, exec_lo, s25
	v_add_nc_u32_e32 v102, -1, v51
	s_waitcnt lgkmcnt(0)
	v_add_nc_u32_e32 v21, v103, v21
	s_mov_b32 s25, 0
	s_mov_b32 s26, exec_lo
	v_cmp_gt_i32_e64 s24, 0, v102
	s_delay_alu instid0(VALU_DEP_1) | instskip(SKIP_1) | instid1(VALU_DEP_2)
	v_cndmask_b32_e64 v102, v102, v51, s24
	v_cmp_eq_u32_e64 s24, 0, v51
	v_lshlrev_b32_e32 v102, 2, v102
	ds_bpermute_b32 v21, v102, v21
	s_waitcnt lgkmcnt(0)
	v_cndmask_b32_e64 v21, v21, v103, s24
	v_cmp_ne_u32_e64 s24, 0, v1
	s_delay_alu instid0(VALU_DEP_1) | instskip(NEXT) | instid1(VALU_DEP_1)
	v_cndmask_b32_e64 v21, 0, v21, s24
	v_add_nc_u32_e32 v8, v21, v8
	s_delay_alu instid0(VALU_DEP_1) | instskip(NEXT) | instid1(VALU_DEP_1)
	v_add_nc_u32_e32 v9, v8, v9
	v_add_nc_u32_e32 v6, v9, v6
	s_delay_alu instid0(VALU_DEP_1) | instskip(NEXT) | instid1(VALU_DEP_1)
	v_add_nc_u32_e32 v7, v6, v7
	;; [unrolled: 3-line block ×3, first 2 shown]
	v_add_nc_u32_e32 v2, v5, v2
	s_delay_alu instid0(VALU_DEP_1)
	v_add_nc_u32_e32 v3, v2, v3
	ds_store_2addr_b32 v35, v21, v8 offset0:8 offset1:9
	ds_store_2addr_b32 v101, v9, v6 offset0:2 offset1:3
	;; [unrolled: 1-line block ×4, first 2 shown]
	ds_store_b32 v101, v3 offset:32
	v_mov_b32_e32 v2, 0x1600
	s_waitcnt lgkmcnt(0)
	s_barrier
	buffer_gl0_inv
	ds_load_b32 v4, v39 offset:32
	ds_load_b32 v5, v42 offset:32
	;; [unrolled: 1-line block ×23, first 2 shown]
	v_add_nc_u32_e32 v35, 1, v1
	s_delay_alu instid0(VALU_DEP_1)
	v_cmpx_ne_u32_e32 0x100, v35
	s_cbranch_execz .LBB25_97
; %bb.96:
	v_mul_u32_u24_e32 v2, 9, v35
	s_delay_alu instid0(VALU_DEP_1)
	v_lshlrev_b32_e32 v2, 2, v2
	ds_load_b32 v2, v2 offset:32
.LBB25_97:
	s_or_b32 exec_lo, exec_lo, s26
	s_waitcnt lgkmcnt(1)
	v_add_nc_u32_e32 v78, v36, v34
	v_add3_u32 v77, v38, v37, v4
	v_add3_u32 v76, v41, v40, v5
	v_mov_b32_e32 v5, 0
	v_lshl_add_u32 v4, s15, 8, v1
	v_add3_u32 v75, v44, v43, v6
	v_add3_u32 v74, v47, v46, v7
	;; [unrolled: 1-line block ×4, first 2 shown]
	v_lshlrev_b64 v[6:7], 2, v[4:5]
	s_waitcnt lgkmcnt(0)
	v_sub_nc_u32_e32 v52, v2, v3
	v_add3_u32 v73, v50, v49, v8
	v_add3_u32 v72, v54, v53, v9
	;; [unrolled: 1-line block ×4, first 2 shown]
	v_add_co_u32 v6, s24, s66, v6
	v_add3_u32 v65, v66, v65, v45
	v_add3_u32 v64, v69, v68, v48
	;; [unrolled: 1-line block ×11, first 2 shown]
	v_add_co_ci_u32_e64 v7, s24, s67, v7, s24
	v_or_b32_e32 v4, 2.0, v52
	v_mov_b32_e32 v2, 0
	s_mov_b32 s26, s63
	s_barrier
	buffer_gl0_inv
	ds_store_b8 v78, v12 offset:2048
	ds_store_b8 v77, v11 offset:2048
	;; [unrolled: 1-line block ×22, first 2 shown]
	s_waitcnt lgkmcnt(0)
	s_barrier
	buffer_gl0_inv
	global_store_b32 v[6:7], v4, off
                                        ; implicit-def: $sgpr24
	s_branch .LBB25_99
	.p2align	6
.LBB25_98:                              ;   in Loop: Header=BB25_99 Depth=1
	s_or_b32 exec_lo, exec_lo, s27
	v_and_b32_e32 v8, 0x3fffffff, v11
	v_cmp_eq_u32_e64 s24, 0x80000000, v4
	s_delay_alu instid0(VALU_DEP_2) | instskip(NEXT) | instid1(VALU_DEP_2)
	v_add_nc_u32_e32 v2, v8, v2
	s_and_b32 s27, exec_lo, s24
	s_delay_alu instid0(SALU_CYCLE_1) | instskip(NEXT) | instid1(SALU_CYCLE_1)
	s_or_b32 s25, s27, s25
	s_and_not1_b32 exec_lo, exec_lo, s25
	s_cbranch_execz .LBB25_105
.LBB25_99:                              ; =>This Loop Header: Depth=1
                                        ;     Child Loop BB25_102 Depth 2
	s_or_b32 s24, s24, exec_lo
	s_cmp_eq_u32 s26, 0
	s_cbranch_scc1 .LBB25_104
; %bb.100:                              ;   in Loop: Header=BB25_99 Depth=1
	s_add_i32 s26, s26, -1
	s_mov_b32 s27, exec_lo
	v_lshl_add_u32 v4, s26, 8, v1
	s_delay_alu instid0(VALU_DEP_1) | instskip(NEXT) | instid1(VALU_DEP_1)
	v_lshlrev_b64 v[8:9], 2, v[4:5]
	v_add_co_u32 v8, s24, s66, v8
	s_delay_alu instid0(VALU_DEP_1) | instskip(SKIP_3) | instid1(VALU_DEP_1)
	v_add_co_ci_u32_e64 v9, s24, s67, v9, s24
	global_load_b32 v11, v[8:9], off glc
	s_waitcnt vmcnt(0)
	v_and_b32_e32 v4, -2.0, v11
	v_cmpx_eq_u32_e32 0, v4
	s_cbranch_execz .LBB25_98
; %bb.101:                              ;   in Loop: Header=BB25_99 Depth=1
	s_mov_b32 s28, 0
.LBB25_102:                             ;   Parent Loop BB25_99 Depth=1
                                        ; =>  This Inner Loop Header: Depth=2
	global_load_b32 v11, v[8:9], off glc
	s_waitcnt vmcnt(0)
	v_and_b32_e32 v4, -2.0, v11
	s_delay_alu instid0(VALU_DEP_1) | instskip(NEXT) | instid1(VALU_DEP_1)
	v_cmp_ne_u32_e64 s24, 0, v4
	s_or_b32 s28, s24, s28
	s_delay_alu instid0(SALU_CYCLE_1)
	s_and_not1_b32 exec_lo, exec_lo, s28
	s_cbranch_execnz .LBB25_102
; %bb.103:                              ;   in Loop: Header=BB25_99 Depth=1
	s_or_b32 exec_lo, exec_lo, s28
	s_branch .LBB25_98
.LBB25_104:                             ;   in Loop: Header=BB25_99 Depth=1
                                        ; implicit-def: $sgpr26
	s_and_b32 s27, exec_lo, s24
	s_delay_alu instid0(SALU_CYCLE_1) | instskip(NEXT) | instid1(SALU_CYCLE_1)
	s_or_b32 s25, s27, s25
	s_and_not1_b32 exec_lo, exec_lo, s25
	s_cbranch_execnz .LBB25_99
.LBB25_105:
	s_or_b32 exec_lo, exec_lo, s25
	v_add_nc_u32_e32 v4, v2, v52
	v_lshlrev_b32_e32 v53, 3, v1
	v_cmp_gt_u32_e64 s40, s47, v1
	s_delay_alu instid0(VALU_DEP_3)
	v_or_b32_e32 v4, 0x80000000, v4
	global_store_b32 v[6:7], v4, off
	v_sub_co_u32 v6, s24, v2, v3
	v_mov_b32_e32 v2, 0
	global_load_b64 v[4:5], v53, s[56:57]
	v_sub_co_ci_u32_e64 v7, null, 0, 0, s24
	s_waitcnt vmcnt(0)
	v_add_co_u32 v6, s24, v6, v4
	s_delay_alu instid0(VALU_DEP_1)
	v_add_co_ci_u32_e64 v7, s24, v7, v5, s24
	v_mov_b32_e32 v4, v2
	ds_store_b64 v53, v[6:7]
	s_waitcnt lgkmcnt(0)
	s_waitcnt_vscnt null, 0x0
	s_barrier
	buffer_gl0_inv
	s_and_saveexec_b32 s25, s40
	s_cbranch_execz .LBB25_107
; %bb.106:
	ds_load_u8 v7, v1 offset:2048
	s_waitcnt lgkmcnt(0)
	v_and_b32_e32 v5, 0xff, v7
	s_delay_alu instid0(VALU_DEP_1) | instskip(NEXT) | instid1(VALU_DEP_1)
	v_lshrrev_b32_e32 v5, s60, v5
	v_and_b32_e32 v5, s68, v5
	s_delay_alu instid0(VALU_DEP_1) | instskip(SKIP_3) | instid1(VALU_DEP_1)
	v_lshlrev_b32_e32 v5, 3, v5
	ds_load_b64 v[5:6], v5
	s_waitcnt lgkmcnt(0)
	v_add_co_u32 v5, s24, s50, v5
	v_add_co_ci_u32_e64 v6, s24, s51, v6, s24
	s_delay_alu instid0(VALU_DEP_2) | instskip(NEXT) | instid1(VALU_DEP_1)
	v_add_co_u32 v5, s24, v5, v1
	v_add_co_ci_u32_e64 v6, s24, 0, v6, s24
	global_store_b8 v[5:6], v7, off
.LBB25_107:
	s_or_b32 exec_lo, exec_lo, s25
	v_add_nc_u32_e32 v5, 0x100, v1
	s_delay_alu instid0(VALU_DEP_1) | instskip(NEXT) | instid1(VALU_DEP_1)
	v_cmp_gt_u32_e64 s45, s47, v5
	s_and_saveexec_b32 s25, s45
	s_cbranch_execz .LBB25_109
; %bb.108:
	ds_load_u8 v7, v1 offset:2304
	s_waitcnt lgkmcnt(0)
	v_and_b32_e32 v5, 0xff, v7
	s_delay_alu instid0(VALU_DEP_1) | instskip(NEXT) | instid1(VALU_DEP_1)
	v_lshrrev_b32_e32 v5, s60, v5
	v_and_b32_e32 v5, s68, v5
	s_delay_alu instid0(VALU_DEP_1) | instskip(SKIP_3) | instid1(VALU_DEP_1)
	v_lshlrev_b32_e32 v5, 3, v5
	ds_load_b64 v[5:6], v5
	s_waitcnt lgkmcnt(0)
	v_add_co_u32 v5, s24, s50, v5
	v_add_co_ci_u32_e64 v6, s24, s51, v6, s24
	s_delay_alu instid0(VALU_DEP_2) | instskip(NEXT) | instid1(VALU_DEP_1)
	v_add_co_u32 v5, s24, v5, v1
	v_add_co_ci_u32_e64 v6, s24, 0, v6, s24
	global_store_b8 v[5:6], v7, off offset:256
.LBB25_109:
	s_or_b32 exec_lo, exec_lo, s25
	v_add_nc_u32_e32 v95, 0x200, v1
	s_delay_alu instid0(VALU_DEP_1) | instskip(NEXT) | instid1(VALU_DEP_1)
	v_cmp_gt_u32_e64 s46, s47, v95
	s_and_saveexec_b32 s25, s46
	s_cbranch_execz .LBB25_111
; %bb.110:
	ds_load_u8 v7, v1 offset:2560
	s_waitcnt lgkmcnt(0)
	v_and_b32_e32 v5, 0xff, v7
	s_delay_alu instid0(VALU_DEP_1) | instskip(NEXT) | instid1(VALU_DEP_1)
	v_lshrrev_b32_e32 v5, s60, v5
	v_and_b32_e32 v5, s68, v5
	s_delay_alu instid0(VALU_DEP_1) | instskip(SKIP_3) | instid1(VALU_DEP_1)
	v_lshlrev_b32_e32 v5, 3, v5
	ds_load_b64 v[5:6], v5
	s_waitcnt lgkmcnt(0)
	v_add_co_u32 v5, s24, s50, v5
	v_add_co_ci_u32_e64 v6, s24, s51, v6, s24
	s_delay_alu instid0(VALU_DEP_2) | instskip(NEXT) | instid1(VALU_DEP_1)
	v_add_co_u32 v5, s24, v5, v1
	v_add_co_ci_u32_e64 v6, s24, 0, v6, s24
	global_store_b8 v[5:6], v7, off offset:512
.LBB25_111:
	;; [unrolled: 24-line block ×3, first 2 shown]
	s_or_b32 exec_lo, exec_lo, s25
	v_or_b32_e32 v93, 0x400, v1
	s_delay_alu instid0(VALU_DEP_1) | instskip(NEXT) | instid1(VALU_DEP_1)
	v_cmp_gt_u32_e64 s43, s47, v93
	s_and_saveexec_b32 s25, s43
	s_cbranch_execz .LBB25_115
; %bb.114:
	ds_load_u8 v7, v1 offset:3072
	s_waitcnt lgkmcnt(0)
	v_and_b32_e32 v5, 0xff, v7
	s_delay_alu instid0(VALU_DEP_1) | instskip(NEXT) | instid1(VALU_DEP_1)
	v_lshrrev_b32_e32 v5, s60, v5
	v_and_b32_e32 v5, s68, v5
	s_delay_alu instid0(VALU_DEP_1) | instskip(SKIP_3) | instid1(VALU_DEP_1)
	v_lshlrev_b32_e32 v5, 3, v5
	ds_load_b64 v[5:6], v5
	s_waitcnt lgkmcnt(0)
	v_add_co_u32 v5, s24, s50, v5
	v_add_co_ci_u32_e64 v6, s24, s51, v6, s24
	s_delay_alu instid0(VALU_DEP_2) | instskip(NEXT) | instid1(VALU_DEP_1)
	v_add_co_u32 v5, s24, v5, v1
	v_add_co_ci_u32_e64 v6, s24, 0, v6, s24
	global_store_b8 v[5:6], v7, off offset:1024
.LBB25_115:
	s_or_b32 exec_lo, exec_lo, s25
	v_add_nc_u32_e32 v92, 0x500, v1
	s_delay_alu instid0(VALU_DEP_1) | instskip(NEXT) | instid1(VALU_DEP_1)
	v_cmp_gt_u32_e64 s42, s47, v92
	s_and_saveexec_b32 s25, s42
	s_cbranch_execz .LBB25_117
; %bb.116:
	ds_load_u8 v7, v1 offset:3328
	s_waitcnt lgkmcnt(0)
	v_and_b32_e32 v5, 0xff, v7
	s_delay_alu instid0(VALU_DEP_1) | instskip(NEXT) | instid1(VALU_DEP_1)
	v_lshrrev_b32_e32 v5, s60, v5
	v_and_b32_e32 v5, s68, v5
	s_delay_alu instid0(VALU_DEP_1) | instskip(SKIP_3) | instid1(VALU_DEP_1)
	v_lshlrev_b32_e32 v5, 3, v5
	ds_load_b64 v[5:6], v5
	s_waitcnt lgkmcnt(0)
	v_add_co_u32 v5, s24, s50, v5
	v_add_co_ci_u32_e64 v6, s24, s51, v6, s24
	s_delay_alu instid0(VALU_DEP_2) | instskip(NEXT) | instid1(VALU_DEP_1)
	v_add_co_u32 v5, s24, v5, v1
	v_add_co_ci_u32_e64 v6, s24, 0, v6, s24
	global_store_b8 v[5:6], v7, off offset:1280
.LBB25_117:
	s_or_b32 exec_lo, exec_lo, s25
	v_add_nc_u32_e32 v91, 0x600, v1
	s_delay_alu instid0(VALU_DEP_1) | instskip(NEXT) | instid1(VALU_DEP_1)
	v_cmp_gt_u32_e64 s41, s47, v91
	s_and_saveexec_b32 s25, s41
	s_cbranch_execz .LBB25_119
; %bb.118:
	ds_load_u8 v7, v1 offset:3584
	s_waitcnt lgkmcnt(0)
	v_and_b32_e32 v5, 0xff, v7
	s_delay_alu instid0(VALU_DEP_1) | instskip(NEXT) | instid1(VALU_DEP_1)
	v_lshrrev_b32_e32 v5, s60, v5
	v_and_b32_e32 v5, s68, v5
	s_delay_alu instid0(VALU_DEP_1) | instskip(SKIP_3) | instid1(VALU_DEP_1)
	v_lshlrev_b32_e32 v5, 3, v5
	ds_load_b64 v[5:6], v5
	s_waitcnt lgkmcnt(0)
	v_add_co_u32 v5, s24, s50, v5
	v_add_co_ci_u32_e64 v6, s24, s51, v6, s24
	s_delay_alu instid0(VALU_DEP_2) | instskip(NEXT) | instid1(VALU_DEP_1)
	v_add_co_u32 v5, s24, v5, v1
	v_add_co_ci_u32_e64 v6, s24, 0, v6, s24
	global_store_b8 v[5:6], v7, off offset:1536
.LBB25_119:
	s_or_b32 exec_lo, exec_lo, s25
	v_add_nc_u32_e32 v90, 0x700, v1
	s_delay_alu instid0(VALU_DEP_1) | instskip(NEXT) | instid1(VALU_DEP_1)
	v_cmp_gt_u32_e64 s39, s47, v90
	s_and_saveexec_b32 s25, s39
	s_cbranch_execz .LBB25_121
; %bb.120:
	ds_load_u8 v7, v1 offset:3840
	s_waitcnt lgkmcnt(0)
	v_and_b32_e32 v5, 0xff, v7
	s_delay_alu instid0(VALU_DEP_1) | instskip(NEXT) | instid1(VALU_DEP_1)
	v_lshrrev_b32_e32 v5, s60, v5
	v_and_b32_e32 v5, s68, v5
	s_delay_alu instid0(VALU_DEP_1) | instskip(SKIP_3) | instid1(VALU_DEP_1)
	v_lshlrev_b32_e32 v5, 3, v5
	ds_load_b64 v[5:6], v5
	s_waitcnt lgkmcnt(0)
	v_add_co_u32 v5, s24, s50, v5
	v_add_co_ci_u32_e64 v6, s24, s51, v6, s24
	s_delay_alu instid0(VALU_DEP_2) | instskip(NEXT) | instid1(VALU_DEP_1)
	v_add_co_u32 v5, s24, v5, v1
	v_add_co_ci_u32_e64 v6, s24, 0, v6, s24
	global_store_b8 v[5:6], v7, off offset:1792
.LBB25_121:
	s_or_b32 exec_lo, exec_lo, s25
	v_or_b32_e32 v89, 0x800, v1
	s_delay_alu instid0(VALU_DEP_1) | instskip(NEXT) | instid1(VALU_DEP_1)
	v_cmp_gt_u32_e64 s38, s47, v89
	s_and_saveexec_b32 s25, s38
	s_cbranch_execz .LBB25_123
; %bb.122:
	ds_load_u8 v7, v1 offset:4096
	s_waitcnt lgkmcnt(0)
	v_and_b32_e32 v5, 0xff, v7
	s_delay_alu instid0(VALU_DEP_1) | instskip(NEXT) | instid1(VALU_DEP_1)
	v_lshrrev_b32_e32 v5, s60, v5
	v_and_b32_e32 v5, s68, v5
	s_delay_alu instid0(VALU_DEP_1) | instskip(SKIP_3) | instid1(VALU_DEP_1)
	v_lshlrev_b32_e32 v5, 3, v5
	ds_load_b64 v[5:6], v5
	s_waitcnt lgkmcnt(0)
	v_add_co_u32 v5, s24, s50, v5
	v_add_co_ci_u32_e64 v6, s24, s51, v6, s24
	s_delay_alu instid0(VALU_DEP_2) | instskip(NEXT) | instid1(VALU_DEP_1)
	v_add_co_u32 v5, s24, v5, v1
	v_add_co_ci_u32_e64 v6, s24, 0, v6, s24
	global_store_b8 v[5:6], v7, off offset:2048
.LBB25_123:
	s_or_b32 exec_lo, exec_lo, s25
	v_add_nc_u32_e32 v88, 0x900, v1
	s_delay_alu instid0(VALU_DEP_1) | instskip(NEXT) | instid1(VALU_DEP_1)
	v_cmp_gt_u32_e64 s37, s47, v88
	s_and_saveexec_b32 s25, s37
	s_cbranch_execz .LBB25_125
; %bb.124:
	ds_load_u8 v7, v1 offset:4352
	s_waitcnt lgkmcnt(0)
	v_and_b32_e32 v5, 0xff, v7
	s_delay_alu instid0(VALU_DEP_1) | instskip(NEXT) | instid1(VALU_DEP_1)
	v_lshrrev_b32_e32 v5, s60, v5
	v_and_b32_e32 v5, s68, v5
	s_delay_alu instid0(VALU_DEP_1) | instskip(SKIP_3) | instid1(VALU_DEP_1)
	v_lshlrev_b32_e32 v5, 3, v5
	ds_load_b64 v[5:6], v5
	s_waitcnt lgkmcnt(0)
	v_add_co_u32 v5, s24, s50, v5
	v_add_co_ci_u32_e64 v6, s24, s51, v6, s24
	s_delay_alu instid0(VALU_DEP_2) | instskip(NEXT) | instid1(VALU_DEP_1)
	v_add_co_u32 v5, s24, v5, v1
	v_add_co_ci_u32_e64 v6, s24, 0, v6, s24
	global_store_b8 v[5:6], v7, off offset:2304
.LBB25_125:
	s_or_b32 exec_lo, exec_lo, s25
	v_add_nc_u32_e32 v87, 0xa00, v1
	;; [unrolled: 24-line block ×3, first 2 shown]
	s_delay_alu instid0(VALU_DEP_1) | instskip(NEXT) | instid1(VALU_DEP_1)
	v_cmp_gt_u32_e64 s35, s47, v86
	s_and_saveexec_b32 s25, s35
	s_cbranch_execz .LBB25_129
; %bb.128:
	ds_load_u8 v7, v1 offset:4864
	s_waitcnt lgkmcnt(0)
	v_and_b32_e32 v5, 0xff, v7
	s_delay_alu instid0(VALU_DEP_1) | instskip(NEXT) | instid1(VALU_DEP_1)
	v_lshrrev_b32_e32 v5, s60, v5
	v_and_b32_e32 v5, s68, v5
	s_delay_alu instid0(VALU_DEP_1) | instskip(SKIP_3) | instid1(VALU_DEP_1)
	v_lshlrev_b32_e32 v5, 3, v5
	ds_load_b64 v[5:6], v5
	s_waitcnt lgkmcnt(0)
	v_add_co_u32 v5, s24, s50, v5
	v_add_co_ci_u32_e64 v6, s24, s51, v6, s24
	s_delay_alu instid0(VALU_DEP_2) | instskip(NEXT) | instid1(VALU_DEP_1)
	v_add_co_u32 v5, s24, v5, v1
	v_add_co_ci_u32_e64 v6, s24, 0, v6, s24
	global_store_b8 v[5:6], v7, off offset:2816
.LBB25_129:
	s_or_b32 exec_lo, exec_lo, s25
	v_or_b32_e32 v85, 0xc00, v1
	s_delay_alu instid0(VALU_DEP_1) | instskip(NEXT) | instid1(VALU_DEP_1)
	v_cmp_gt_u32_e64 s34, s47, v85
	s_and_saveexec_b32 s25, s34
	s_cbranch_execz .LBB25_131
; %bb.130:
	ds_load_u8 v7, v1 offset:5120
	s_waitcnt lgkmcnt(0)
	v_and_b32_e32 v5, 0xff, v7
	s_delay_alu instid0(VALU_DEP_1) | instskip(NEXT) | instid1(VALU_DEP_1)
	v_lshrrev_b32_e32 v5, s60, v5
	v_and_b32_e32 v5, s68, v5
	s_delay_alu instid0(VALU_DEP_1) | instskip(SKIP_3) | instid1(VALU_DEP_1)
	v_lshlrev_b32_e32 v5, 3, v5
	ds_load_b64 v[5:6], v5
	s_waitcnt lgkmcnt(0)
	v_add_co_u32 v5, s24, s50, v5
	v_add_co_ci_u32_e64 v6, s24, s51, v6, s24
	s_delay_alu instid0(VALU_DEP_2) | instskip(NEXT) | instid1(VALU_DEP_1)
	v_add_co_u32 v5, s24, v5, v1
	v_add_co_ci_u32_e64 v6, s24, 0, v6, s24
	global_store_b8 v[5:6], v7, off offset:3072
.LBB25_131:
	s_or_b32 exec_lo, exec_lo, s25
	v_add_nc_u32_e32 v84, 0xd00, v1
	s_delay_alu instid0(VALU_DEP_1) | instskip(NEXT) | instid1(VALU_DEP_1)
	v_cmp_gt_u32_e64 s33, s47, v84
	s_and_saveexec_b32 s25, s33
	s_cbranch_execz .LBB25_133
; %bb.132:
	ds_load_u8 v7, v1 offset:5376
	s_waitcnt lgkmcnt(0)
	v_and_b32_e32 v5, 0xff, v7
	s_delay_alu instid0(VALU_DEP_1) | instskip(NEXT) | instid1(VALU_DEP_1)
	v_lshrrev_b32_e32 v5, s60, v5
	v_and_b32_e32 v5, s68, v5
	s_delay_alu instid0(VALU_DEP_1) | instskip(SKIP_3) | instid1(VALU_DEP_1)
	v_lshlrev_b32_e32 v5, 3, v5
	ds_load_b64 v[5:6], v5
	s_waitcnt lgkmcnt(0)
	v_add_co_u32 v5, s24, s50, v5
	v_add_co_ci_u32_e64 v6, s24, s51, v6, s24
	s_delay_alu instid0(VALU_DEP_2) | instskip(NEXT) | instid1(VALU_DEP_1)
	v_add_co_u32 v5, s24, v5, v1
	v_add_co_ci_u32_e64 v6, s24, 0, v6, s24
	global_store_b8 v[5:6], v7, off offset:3328
.LBB25_133:
	s_or_b32 exec_lo, exec_lo, s25
	v_add_nc_u32_e32 v83, 0xe00, v1
	;; [unrolled: 24-line block ×3, first 2 shown]
	s_delay_alu instid0(VALU_DEP_1) | instskip(NEXT) | instid1(VALU_DEP_1)
	v_cmp_gt_u32_e64 s30, s47, v82
	s_and_saveexec_b32 s25, s30
	s_cbranch_execz .LBB25_137
; %bb.136:
	ds_load_u8 v7, v1 offset:5888
	s_waitcnt lgkmcnt(0)
	v_and_b32_e32 v5, 0xff, v7
	s_delay_alu instid0(VALU_DEP_1) | instskip(NEXT) | instid1(VALU_DEP_1)
	v_lshrrev_b32_e32 v5, s60, v5
	v_and_b32_e32 v5, s68, v5
	s_delay_alu instid0(VALU_DEP_1) | instskip(SKIP_3) | instid1(VALU_DEP_1)
	v_lshlrev_b32_e32 v5, 3, v5
	ds_load_b64 v[5:6], v5
	s_waitcnt lgkmcnt(0)
	v_add_co_u32 v5, s24, s50, v5
	v_add_co_ci_u32_e64 v6, s24, s51, v6, s24
	s_delay_alu instid0(VALU_DEP_2) | instskip(NEXT) | instid1(VALU_DEP_1)
	v_add_co_u32 v5, s24, v5, v1
	v_add_co_ci_u32_e64 v6, s24, 0, v6, s24
	global_store_b8 v[5:6], v7, off offset:3840
.LBB25_137:
	s_or_b32 exec_lo, exec_lo, s25
	v_or_b32_e32 v81, 0x1000, v1
	s_delay_alu instid0(VALU_DEP_1) | instskip(NEXT) | instid1(VALU_DEP_1)
	v_cmp_gt_u32_e64 s29, s47, v81
	s_and_saveexec_b32 s25, s29
	s_cbranch_execz .LBB25_139
; %bb.138:
	ds_load_u8 v7, v1 offset:6144
	s_waitcnt lgkmcnt(0)
	v_and_b32_e32 v5, 0xff, v7
	s_delay_alu instid0(VALU_DEP_1) | instskip(NEXT) | instid1(VALU_DEP_1)
	v_lshrrev_b32_e32 v5, s60, v5
	v_and_b32_e32 v5, s68, v5
	s_delay_alu instid0(VALU_DEP_1) | instskip(SKIP_3) | instid1(VALU_DEP_1)
	v_lshlrev_b32_e32 v5, 3, v5
	ds_load_b64 v[5:6], v5
	s_waitcnt lgkmcnt(0)
	v_add_co_u32 v5, s24, s50, v5
	v_add_co_ci_u32_e64 v6, s24, s51, v6, s24
	s_delay_alu instid0(VALU_DEP_2) | instskip(NEXT) | instid1(VALU_DEP_1)
	v_add_co_u32 v5, s24, v5, v81
	v_add_co_ci_u32_e64 v6, s24, 0, v6, s24
	global_store_b8 v[5:6], v7, off
.LBB25_139:
	s_or_b32 exec_lo, exec_lo, s25
	v_add_nc_u32_e32 v80, 0x1100, v1
	s_delay_alu instid0(VALU_DEP_1) | instskip(NEXT) | instid1(VALU_DEP_1)
	v_cmp_gt_u32_e64 s28, s47, v80
	s_and_saveexec_b32 s25, s28
	s_cbranch_execz .LBB25_141
; %bb.140:
	ds_load_u8 v7, v1 offset:6400
	s_waitcnt lgkmcnt(0)
	v_and_b32_e32 v5, 0xff, v7
	s_delay_alu instid0(VALU_DEP_1) | instskip(NEXT) | instid1(VALU_DEP_1)
	v_lshrrev_b32_e32 v5, s60, v5
	v_and_b32_e32 v5, s68, v5
	s_delay_alu instid0(VALU_DEP_1) | instskip(SKIP_3) | instid1(VALU_DEP_1)
	v_lshlrev_b32_e32 v5, 3, v5
	ds_load_b64 v[5:6], v5
	s_waitcnt lgkmcnt(0)
	v_add_co_u32 v5, s24, s50, v5
	v_add_co_ci_u32_e64 v6, s24, s51, v6, s24
	s_delay_alu instid0(VALU_DEP_2) | instskip(NEXT) | instid1(VALU_DEP_1)
	v_add_co_u32 v5, s24, v5, v80
	v_add_co_ci_u32_e64 v6, s24, 0, v6, s24
	global_store_b8 v[5:6], v7, off
.LBB25_141:
	s_or_b32 exec_lo, exec_lo, s25
	v_add_nc_u32_e32 v79, 0x1200, v1
	s_delay_alu instid0(VALU_DEP_1) | instskip(NEXT) | instid1(VALU_DEP_1)
	v_cmp_gt_u32_e64 s27, s47, v79
	s_and_saveexec_b32 s25, s27
	s_cbranch_execz .LBB25_143
; %bb.142:
	ds_load_u8 v7, v1 offset:6656
	s_waitcnt lgkmcnt(0)
	v_and_b32_e32 v5, 0xff, v7
	s_delay_alu instid0(VALU_DEP_1) | instskip(NEXT) | instid1(VALU_DEP_1)
	v_lshrrev_b32_e32 v5, s60, v5
	v_and_b32_e32 v5, s68, v5
	s_delay_alu instid0(VALU_DEP_1) | instskip(SKIP_3) | instid1(VALU_DEP_1)
	v_lshlrev_b32_e32 v5, 3, v5
	ds_load_b64 v[5:6], v5
	s_waitcnt lgkmcnt(0)
	v_add_co_u32 v5, s24, s50, v5
	v_add_co_ci_u32_e64 v6, s24, s51, v6, s24
	s_delay_alu instid0(VALU_DEP_2) | instskip(NEXT) | instid1(VALU_DEP_1)
	v_add_co_u32 v5, s24, v5, v79
	v_add_co_ci_u32_e64 v6, s24, 0, v6, s24
	global_store_b8 v[5:6], v7, off
.LBB25_143:
	s_or_b32 exec_lo, exec_lo, s25
	v_add_nc_u32_e32 v69, 0x1300, v1
	s_delay_alu instid0(VALU_DEP_1) | instskip(NEXT) | instid1(VALU_DEP_1)
	v_cmp_gt_u32_e64 s26, s47, v69
	s_and_saveexec_b32 s25, s26
	s_cbranch_execz .LBB25_145
; %bb.144:
	ds_load_u8 v7, v1 offset:6912
	s_waitcnt lgkmcnt(0)
	v_and_b32_e32 v5, 0xff, v7
	s_delay_alu instid0(VALU_DEP_1) | instskip(NEXT) | instid1(VALU_DEP_1)
	v_lshrrev_b32_e32 v5, s60, v5
	v_and_b32_e32 v5, s68, v5
	s_delay_alu instid0(VALU_DEP_1) | instskip(SKIP_3) | instid1(VALU_DEP_1)
	v_lshlrev_b32_e32 v5, 3, v5
	ds_load_b64 v[5:6], v5
	s_waitcnt lgkmcnt(0)
	v_add_co_u32 v5, s24, s50, v5
	v_add_co_ci_u32_e64 v6, s24, s51, v6, s24
	s_delay_alu instid0(VALU_DEP_2) | instskip(NEXT) | instid1(VALU_DEP_1)
	v_add_co_u32 v5, s24, v5, v69
	v_add_co_ci_u32_e64 v6, s24, 0, v6, s24
	global_store_b8 v[5:6], v7, off
.LBB25_145:
	s_or_b32 exec_lo, exec_lo, s25
	v_or_b32_e32 v68, 0x1400, v1
	s_delay_alu instid0(VALU_DEP_1) | instskip(NEXT) | instid1(VALU_DEP_1)
	v_cmp_gt_u32_e64 s25, s47, v68
	s_and_saveexec_b32 s69, s25
	s_cbranch_execz .LBB25_147
; %bb.146:
	ds_load_u8 v7, v1 offset:7168
	s_waitcnt lgkmcnt(0)
	v_and_b32_e32 v5, 0xff, v7
	s_delay_alu instid0(VALU_DEP_1) | instskip(NEXT) | instid1(VALU_DEP_1)
	v_lshrrev_b32_e32 v5, s60, v5
	v_and_b32_e32 v5, s68, v5
	s_delay_alu instid0(VALU_DEP_1) | instskip(SKIP_3) | instid1(VALU_DEP_1)
	v_lshlrev_b32_e32 v5, 3, v5
	ds_load_b64 v[5:6], v5
	s_waitcnt lgkmcnt(0)
	v_add_co_u32 v5, s24, s50, v5
	v_add_co_ci_u32_e64 v6, s24, s51, v6, s24
	s_delay_alu instid0(VALU_DEP_2) | instskip(NEXT) | instid1(VALU_DEP_1)
	v_add_co_u32 v5, s24, v5, v68
	v_add_co_ci_u32_e64 v6, s24, 0, v6, s24
	global_store_b8 v[5:6], v7, off
.LBB25_147:
	s_or_b32 exec_lo, exec_lo, s69
	v_add_nc_u32_e32 v66, 0x1500, v1
	s_delay_alu instid0(VALU_DEP_1) | instskip(NEXT) | instid1(VALU_DEP_1)
	v_cmp_gt_u32_e64 s24, s47, v66
	s_and_saveexec_b32 s69, s24
	s_cbranch_execz .LBB25_149
; %bb.148:
	ds_load_u8 v7, v1 offset:7424
	s_waitcnt lgkmcnt(0)
	v_and_b32_e32 v5, 0xff, v7
	s_delay_alu instid0(VALU_DEP_1) | instskip(NEXT) | instid1(VALU_DEP_1)
	v_lshrrev_b32_e32 v5, s60, v5
	v_and_b32_e32 v5, s68, v5
	s_delay_alu instid0(VALU_DEP_1) | instskip(SKIP_3) | instid1(VALU_DEP_1)
	v_lshlrev_b32_e32 v5, 3, v5
	ds_load_b64 v[5:6], v5
	s_waitcnt lgkmcnt(0)
	v_add_co_u32 v5, s47, s50, v5
	v_add_co_ci_u32_e64 v6, s47, s51, v6, s47
	s_delay_alu instid0(VALU_DEP_2) | instskip(NEXT) | instid1(VALU_DEP_1)
	v_add_co_u32 v5, s47, v5, v66
	v_add_co_ci_u32_e64 v6, s47, 0, v6, s47
	global_store_b8 v[5:6], v7, off
.LBB25_149:
	s_or_b32 exec_lo, exec_lo, s69
	v_lshlrev_b32_e32 v5, 3, v51
	s_lshl_b64 s[70:71], s[64:65], 3
	v_lshlrev_b32_e32 v6, 3, v10
	s_add_u32 s47, s52, s70
	s_addc_u32 s65, s53, s71
	v_add_co_u32 v5, s47, s47, v5
	s_delay_alu instid0(VALU_DEP_1) | instskip(NEXT) | instid1(VALU_DEP_2)
	v_add_co_ci_u32_e64 v7, null, s65, 0, s47
	v_add_co_u32 v49, s47, v5, v6
	s_delay_alu instid0(VALU_DEP_1) | instskip(SKIP_1) | instid1(SALU_CYCLE_1)
	v_add_co_ci_u32_e64 v50, s47, 0, v7, s47
                                        ; implicit-def: $vgpr5_vgpr6
	s_and_saveexec_b32 s47, vcc_lo
	s_xor_b32 s47, exec_lo, s47
	s_cbranch_execnz .LBB25_283
; %bb.150:
	s_or_b32 exec_lo, exec_lo, s47
                                        ; implicit-def: $vgpr7_vgpr8
	s_and_saveexec_b32 s47, s2
	s_cbranch_execnz .LBB25_284
.LBB25_151:
	s_or_b32 exec_lo, exec_lo, s47
                                        ; implicit-def: $vgpr9_vgpr10
	s_and_saveexec_b32 s2, s3
	s_cbranch_execnz .LBB25_285
.LBB25_152:
	s_or_b32 exec_lo, exec_lo, s2
                                        ; implicit-def: $vgpr11_vgpr12
	s_and_saveexec_b32 s2, s4
	s_cbranch_execnz .LBB25_286
.LBB25_153:
	s_or_b32 exec_lo, exec_lo, s2
                                        ; implicit-def: $vgpr13_vgpr14
	s_and_saveexec_b32 s2, s5
	s_cbranch_execnz .LBB25_287
.LBB25_154:
	s_or_b32 exec_lo, exec_lo, s2
                                        ; implicit-def: $vgpr15_vgpr16
	s_and_saveexec_b32 s2, s6
	s_cbranch_execnz .LBB25_288
.LBB25_155:
	s_or_b32 exec_lo, exec_lo, s2
                                        ; implicit-def: $vgpr17_vgpr18
	s_and_saveexec_b32 s2, s7
	s_cbranch_execnz .LBB25_289
.LBB25_156:
	s_or_b32 exec_lo, exec_lo, s2
                                        ; implicit-def: $vgpr19_vgpr20
	s_and_saveexec_b32 s2, s8
	s_cbranch_execnz .LBB25_290
.LBB25_157:
	s_or_b32 exec_lo, exec_lo, s2
                                        ; implicit-def: $vgpr21_vgpr22
	s_and_saveexec_b32 s2, s9
	s_cbranch_execnz .LBB25_291
.LBB25_158:
	s_or_b32 exec_lo, exec_lo, s2
                                        ; implicit-def: $vgpr23_vgpr24
	s_and_saveexec_b32 s2, s10
	s_cbranch_execnz .LBB25_292
.LBB25_159:
	s_or_b32 exec_lo, exec_lo, s2
                                        ; implicit-def: $vgpr25_vgpr26
	s_and_saveexec_b32 s2, s11
	s_cbranch_execnz .LBB25_293
.LBB25_160:
	s_or_b32 exec_lo, exec_lo, s2
                                        ; implicit-def: $vgpr27_vgpr28
	s_and_saveexec_b32 s2, s12
	s_cbranch_execnz .LBB25_294
.LBB25_161:
	s_or_b32 exec_lo, exec_lo, s2
                                        ; implicit-def: $vgpr29_vgpr30
	s_and_saveexec_b32 s2, s13
	s_cbranch_execnz .LBB25_295
.LBB25_162:
	s_or_b32 exec_lo, exec_lo, s2
                                        ; implicit-def: $vgpr31_vgpr32
	s_and_saveexec_b32 s2, s14
	s_cbranch_execnz .LBB25_296
.LBB25_163:
	s_or_b32 exec_lo, exec_lo, s2
                                        ; implicit-def: $vgpr33_vgpr34
	s_and_saveexec_b32 s2, s16
	s_cbranch_execnz .LBB25_297
.LBB25_164:
	s_or_b32 exec_lo, exec_lo, s2
                                        ; implicit-def: $vgpr35_vgpr36
	s_and_saveexec_b32 s2, s18
	s_cbranch_execnz .LBB25_298
.LBB25_165:
	s_or_b32 exec_lo, exec_lo, s2
                                        ; implicit-def: $vgpr37_vgpr38
	s_and_saveexec_b32 s2, s23
	s_cbranch_execnz .LBB25_299
.LBB25_166:
	s_or_b32 exec_lo, exec_lo, s2
                                        ; implicit-def: $vgpr39_vgpr40
	s_and_saveexec_b32 s2, s21
	s_cbranch_execnz .LBB25_300
.LBB25_167:
	s_or_b32 exec_lo, exec_lo, s2
                                        ; implicit-def: $vgpr41_vgpr42
	s_and_saveexec_b32 s2, s22
	s_cbranch_execnz .LBB25_301
.LBB25_168:
	s_or_b32 exec_lo, exec_lo, s2
                                        ; implicit-def: $vgpr43_vgpr44
	s_and_saveexec_b32 s2, s19
	s_cbranch_execnz .LBB25_302
.LBB25_169:
	s_or_b32 exec_lo, exec_lo, s2
                                        ; implicit-def: $vgpr45_vgpr46
	s_and_saveexec_b32 s2, s20
	s_cbranch_execnz .LBB25_303
.LBB25_170:
	s_or_b32 exec_lo, exec_lo, s2
                                        ; implicit-def: $vgpr47_vgpr48
	s_and_saveexec_b32 s2, s17
	s_cbranch_execnz .LBB25_304
.LBB25_171:
	s_or_b32 exec_lo, exec_lo, s2
                                        ; implicit-def: $vgpr115
	s_and_saveexec_b32 s2, s40
	s_cbranch_execnz .LBB25_305
.LBB25_172:
	s_or_b32 exec_lo, exec_lo, s2
                                        ; implicit-def: $vgpr114
	s_and_saveexec_b32 s2, s45
	s_cbranch_execnz .LBB25_306
.LBB25_173:
	s_or_b32 exec_lo, exec_lo, s2
                                        ; implicit-def: $vgpr113
	s_and_saveexec_b32 s2, s46
	s_cbranch_execnz .LBB25_307
.LBB25_174:
	s_or_b32 exec_lo, exec_lo, s2
                                        ; implicit-def: $vgpr112
	s_and_saveexec_b32 s2, s44
	s_cbranch_execnz .LBB25_308
.LBB25_175:
	s_or_b32 exec_lo, exec_lo, s2
                                        ; implicit-def: $vgpr111
	s_and_saveexec_b32 s2, s43
	s_cbranch_execnz .LBB25_309
.LBB25_176:
	s_or_b32 exec_lo, exec_lo, s2
                                        ; implicit-def: $vgpr110
	s_and_saveexec_b32 s2, s42
	s_cbranch_execnz .LBB25_310
.LBB25_177:
	s_or_b32 exec_lo, exec_lo, s2
                                        ; implicit-def: $vgpr109
	s_and_saveexec_b32 s2, s41
	s_cbranch_execnz .LBB25_311
.LBB25_178:
	s_or_b32 exec_lo, exec_lo, s2
                                        ; implicit-def: $vgpr108
	s_and_saveexec_b32 s2, s39
	s_cbranch_execnz .LBB25_312
.LBB25_179:
	s_or_b32 exec_lo, exec_lo, s2
                                        ; implicit-def: $vgpr107
	s_and_saveexec_b32 s2, s38
	s_cbranch_execnz .LBB25_313
.LBB25_180:
	s_or_b32 exec_lo, exec_lo, s2
                                        ; implicit-def: $vgpr106
	s_and_saveexec_b32 s2, s37
	s_cbranch_execnz .LBB25_314
.LBB25_181:
	s_or_b32 exec_lo, exec_lo, s2
                                        ; implicit-def: $vgpr105
	s_and_saveexec_b32 s2, s36
	s_cbranch_execnz .LBB25_315
.LBB25_182:
	s_or_b32 exec_lo, exec_lo, s2
                                        ; implicit-def: $vgpr104
	s_and_saveexec_b32 s2, s35
	s_cbranch_execnz .LBB25_316
.LBB25_183:
	s_or_b32 exec_lo, exec_lo, s2
                                        ; implicit-def: $vgpr103
	s_and_saveexec_b32 s2, s34
	s_cbranch_execnz .LBB25_317
.LBB25_184:
	s_or_b32 exec_lo, exec_lo, s2
                                        ; implicit-def: $vgpr102
	s_and_saveexec_b32 s2, s33
	s_cbranch_execnz .LBB25_318
.LBB25_185:
	s_or_b32 exec_lo, exec_lo, s2
                                        ; implicit-def: $vgpr101
	s_and_saveexec_b32 s2, s31
	s_cbranch_execnz .LBB25_319
.LBB25_186:
	s_or_b32 exec_lo, exec_lo, s2
                                        ; implicit-def: $vgpr100
	s_and_saveexec_b32 s2, s30
	s_cbranch_execnz .LBB25_320
.LBB25_187:
	s_or_b32 exec_lo, exec_lo, s2
                                        ; implicit-def: $vgpr99
	s_and_saveexec_b32 s2, s29
	s_cbranch_execnz .LBB25_321
.LBB25_188:
	s_or_b32 exec_lo, exec_lo, s2
                                        ; implicit-def: $vgpr98
	s_and_saveexec_b32 s2, s28
	s_cbranch_execnz .LBB25_322
.LBB25_189:
	s_or_b32 exec_lo, exec_lo, s2
                                        ; implicit-def: $vgpr97
	s_and_saveexec_b32 s2, s27
	s_cbranch_execnz .LBB25_323
.LBB25_190:
	s_or_b32 exec_lo, exec_lo, s2
                                        ; implicit-def: $vgpr96
	s_and_saveexec_b32 s2, s26
	s_cbranch_execnz .LBB25_324
.LBB25_191:
	s_or_b32 exec_lo, exec_lo, s2
                                        ; implicit-def: $vgpr50
	s_and_saveexec_b32 s2, s25
	s_cbranch_execnz .LBB25_325
.LBB25_192:
	s_or_b32 exec_lo, exec_lo, s2
                                        ; implicit-def: $vgpr49
	s_and_saveexec_b32 s2, s24
	s_cbranch_execz .LBB25_194
.LBB25_193:
	ds_load_u8 v49, v1 offset:7424
	s_waitcnt lgkmcnt(0)
	v_lshrrev_b32_e32 v49, s60, v49
	s_delay_alu instid0(VALU_DEP_1)
	v_and_b32_e32 v49, s68, v49
.LBB25_194:
	s_or_b32 exec_lo, exec_lo, s2
	v_lshlrev_b32_e32 v78, 3, v78
	v_lshlrev_b32_e32 v77, 3, v77
	s_waitcnt vmcnt(0)
	s_waitcnt_vscnt null, 0x0
	s_barrier
	buffer_gl0_inv
	ds_store_b64 v78, v[5:6] offset:2048
	ds_store_b64 v77, v[7:8] offset:2048
	v_lshlrev_b32_e32 v5, 3, v76
	v_lshlrev_b32_e32 v6, 3, v75
	v_lshlrev_b32_e32 v7, 3, v74
	v_lshlrev_b32_e32 v8, 3, v73
	v_lshlrev_b32_e32 v72, 3, v72
	ds_store_b64 v5, v[9:10] offset:2048
	ds_store_b64 v6, v[11:12] offset:2048
	ds_store_b64 v7, v[13:14] offset:2048
	ds_store_b64 v8, v[15:16] offset:2048
	ds_store_b64 v72, v[17:18] offset:2048
	v_lshlrev_b32_e32 v5, 3, v71
	v_lshlrev_b32_e32 v6, 3, v70
	v_lshlrev_b32_e32 v7, 3, v67
	v_lshlrev_b32_e32 v8, 3, v65
	v_lshlrev_b32_e32 v9, 3, v64
	ds_store_b64 v5, v[19:20] offset:2048
	ds_store_b64 v6, v[21:22] offset:2048
	ds_store_b64 v7, v[23:24] offset:2048
	ds_store_b64 v8, v[25:26] offset:2048
	ds_store_b64 v9, v[27:28] offset:2048
	v_lshlrev_b32_e32 v5, 3, v63
	v_lshlrev_b32_e32 v6, 3, v62
	v_lshlrev_b32_e32 v7, 3, v61
	v_lshlrev_b32_e32 v8, 3, v60
	v_lshlrev_b32_e32 v9, 3, v59
	ds_store_b64 v5, v[29:30] offset:2048
	ds_store_b64 v6, v[31:32] offset:2048
	ds_store_b64 v7, v[33:34] offset:2048
	ds_store_b64 v8, v[35:36] offset:2048
	ds_store_b64 v9, v[37:38] offset:2048
	v_lshlrev_b32_e32 v5, 3, v58
	v_lshlrev_b32_e32 v6, 3, v57
	v_lshlrev_b32_e32 v7, 3, v56
	v_lshlrev_b32_e32 v8, 3, v55
	v_lshlrev_b32_e32 v9, 3, v54
	ds_store_b64 v5, v[39:40] offset:2048
	ds_store_b64 v6, v[41:42] offset:2048
	ds_store_b64 v7, v[43:44] offset:2048
	ds_store_b64 v8, v[45:46] offset:2048
	ds_store_b64 v9, v[47:48] offset:2048
	s_waitcnt lgkmcnt(0)
	s_barrier
	buffer_gl0_inv
	s_and_saveexec_b32 s2, s40
	s_cbranch_execnz .LBB25_326
; %bb.195:
	s_or_b32 exec_lo, exec_lo, s2
	s_and_saveexec_b32 s2, s45
	s_cbranch_execnz .LBB25_327
.LBB25_196:
	s_or_b32 exec_lo, exec_lo, s2
	s_and_saveexec_b32 s2, s46
	s_cbranch_execnz .LBB25_328
.LBB25_197:
	s_or_b32 exec_lo, exec_lo, s2
	s_and_saveexec_b32 s2, s44
	s_cbranch_execnz .LBB25_329
.LBB25_198:
	s_or_b32 exec_lo, exec_lo, s2
	s_and_saveexec_b32 s2, s43
	s_cbranch_execnz .LBB25_330
.LBB25_199:
	s_or_b32 exec_lo, exec_lo, s2
	s_and_saveexec_b32 s2, s42
	s_cbranch_execnz .LBB25_331
.LBB25_200:
	s_or_b32 exec_lo, exec_lo, s2
	s_and_saveexec_b32 s2, s41
	s_cbranch_execnz .LBB25_332
.LBB25_201:
	s_or_b32 exec_lo, exec_lo, s2
	s_and_saveexec_b32 s2, s39
	s_cbranch_execnz .LBB25_333
.LBB25_202:
	s_or_b32 exec_lo, exec_lo, s2
	s_and_saveexec_b32 s2, s38
	s_cbranch_execnz .LBB25_334
.LBB25_203:
	s_or_b32 exec_lo, exec_lo, s2
	s_and_saveexec_b32 s2, s37
	s_cbranch_execnz .LBB25_335
.LBB25_204:
	s_or_b32 exec_lo, exec_lo, s2
	s_and_saveexec_b32 s2, s36
	s_cbranch_execnz .LBB25_336
.LBB25_205:
	s_or_b32 exec_lo, exec_lo, s2
	s_and_saveexec_b32 s2, s35
	s_cbranch_execnz .LBB25_337
.LBB25_206:
	s_or_b32 exec_lo, exec_lo, s2
	s_and_saveexec_b32 s2, s34
	s_cbranch_execnz .LBB25_338
.LBB25_207:
	s_or_b32 exec_lo, exec_lo, s2
	s_and_saveexec_b32 s2, s33
	s_cbranch_execnz .LBB25_339
.LBB25_208:
	s_or_b32 exec_lo, exec_lo, s2
	s_and_saveexec_b32 s2, s31
	s_cbranch_execnz .LBB25_340
.LBB25_209:
	s_or_b32 exec_lo, exec_lo, s2
	s_and_saveexec_b32 s2, s30
	s_cbranch_execnz .LBB25_341
.LBB25_210:
	s_or_b32 exec_lo, exec_lo, s2
	s_and_saveexec_b32 s2, s29
	s_cbranch_execnz .LBB25_342
.LBB25_211:
	s_or_b32 exec_lo, exec_lo, s2
	s_and_saveexec_b32 s2, s28
	s_cbranch_execnz .LBB25_343
.LBB25_212:
	s_or_b32 exec_lo, exec_lo, s2
	s_and_saveexec_b32 s2, s27
	s_cbranch_execnz .LBB25_344
.LBB25_213:
	s_or_b32 exec_lo, exec_lo, s2
	s_and_saveexec_b32 s2, s26
	s_cbranch_execnz .LBB25_345
.LBB25_214:
	s_or_b32 exec_lo, exec_lo, s2
	s_and_saveexec_b32 s2, s25
	s_cbranch_execnz .LBB25_346
.LBB25_215:
	s_or_b32 exec_lo, exec_lo, s2
	s_and_saveexec_b32 s2, s24
	s_cbranch_execz .LBB25_217
.LBB25_216:
	v_lshlrev_b32_e32 v5, 3, v49
	v_lshlrev_b32_e32 v7, 3, v1
	;; [unrolled: 1-line block ×3, first 2 shown]
	ds_load_b64 v[5:6], v5
	ds_load_b64 v[7:8], v7 offset:45056
	s_waitcnt lgkmcnt(1)
	v_lshlrev_b64 v[5:6], 3, v[5:6]
	s_delay_alu instid0(VALU_DEP_1) | instskip(NEXT) | instid1(VALU_DEP_2)
	v_add_co_u32 v5, vcc_lo, s54, v5
	v_add_co_ci_u32_e32 v6, vcc_lo, s55, v6, vcc_lo
	s_delay_alu instid0(VALU_DEP_2) | instskip(NEXT) | instid1(VALU_DEP_2)
	v_add_co_u32 v5, vcc_lo, v5, v9
	v_add_co_ci_u32_e32 v6, vcc_lo, 0, v6, vcc_lo
	s_waitcnt lgkmcnt(0)
	global_store_b64 v[5:6], v[7:8], off
.LBB25_217:
	s_or_b32 exec_lo, exec_lo, s2
	s_add_i32 s62, s62, -1
	s_delay_alu instid0(SALU_CYCLE_1)
	s_cmp_eq_u32 s15, s62
	s_cselect_b32 s2, -1, 0
	s_branch .LBB25_280
.LBB25_218:
	s_mov_b32 s2, 0
                                        ; implicit-def: $vgpr53
                                        ; implicit-def: $vgpr3_vgpr4
                                        ; implicit-def: $vgpr52
	s_cbranch_execz .LBB25_280
; %bb.219:
	v_dual_mov_b32 v4, 0 :: v_dual_and_b32 v33, 0xe0, v1
	s_add_u32 s2, s48, s64
	s_addc_u32 s3, s49, 0
	v_add_co_u32 v2, s2, s2, v51
	s_delay_alu instid0(VALU_DEP_2) | instskip(SKIP_2) | instid1(VALU_DEP_2)
	v_mul_u32_u24_e32 v10, 22, v33
	v_add_co_ci_u32_e64 v3, null, s3, 0, s2
	s_mov_b32 s65, 0
	v_add_co_u32 v2, vcc_lo, v2, v10
	s_delay_alu instid0(VALU_DEP_2)
	v_add_co_ci_u32_e32 v3, vcc_lo, 0, v3, vcc_lo
	global_load_u8 v11, v[2:3], off
	s_clause 0x1
	s_load_b32 s3, s[0:1], 0x5c
	s_load_b32 s2, s[0:1], 0x50
	s_add_u32 s0, s0, 0x50
	s_addc_u32 s1, s1, 0
	s_waitcnt lgkmcnt(0)
	s_lshr_b32 s3, s3, 16
	s_cmp_lt_u32 s15, s2
	s_cselect_b32 s4, 12, 18
	s_delay_alu instid0(SALU_CYCLE_1)
	s_add_u32 s0, s0, s4
	s_addc_u32 s1, s1, 0
	global_load_u16 v5, v4, s[0:1]
	s_clause 0x14
	global_load_u8 v19, v[2:3], off offset:32
	global_load_u8 v20, v[2:3], off offset:64
	;; [unrolled: 1-line block ×21, first 2 shown]
	s_lshl_b32 s0, -1, s61
	s_delay_alu instid0(SALU_CYCLE_1) | instskip(SKIP_2) | instid1(VALU_DEP_1)
	s_not_b32 s1, s0
	s_waitcnt vmcnt(22)
	v_and_b32_e32 v2, 0xff, v11
	v_lshrrev_b32_e32 v2, s60, v2
	s_delay_alu instid0(VALU_DEP_1) | instskip(SKIP_2) | instid1(VALU_DEP_3)
	v_and_b32_e32 v6, s1, v2
	v_bfe_u32 v2, v0, 10, 10
	v_bfe_u32 v0, v0, 20, 10
	v_and_b32_e32 v3, 1, v6
	v_lshlrev_b32_e32 v7, 30, v6
	v_lshlrev_b32_e32 v8, 29, v6
	;; [unrolled: 1-line block ×4, first 2 shown]
	v_add_co_u32 v3, s0, v3, -1
	s_delay_alu instid0(VALU_DEP_1)
	v_cndmask_b32_e64 v34, 0, 1, s0
	v_not_b32_e32 v38, v7
	v_cmp_gt_i32_e64 s0, 0, v7
	v_not_b32_e32 v7, v8
	v_lshlrev_b32_e32 v36, 26, v6
	v_cmp_ne_u32_e32 vcc_lo, 0, v34
	v_ashrrev_i32_e32 v38, 31, v38
	v_lshlrev_b32_e32 v37, 25, v6
	v_ashrrev_i32_e32 v7, 31, v7
	v_lshlrev_b32_e32 v34, 24, v6
	v_xor_b32_e32 v3, vcc_lo, v3
	v_cmp_gt_i32_e32 vcc_lo, 0, v8
	v_not_b32_e32 v8, v9
	v_xor_b32_e32 v38, s0, v38
	v_cmp_gt_i32_e64 s0, 0, v9
	v_and_b32_e32 v3, exec_lo, v3
	v_not_b32_e32 v9, v35
	v_ashrrev_i32_e32 v8, 31, v8
	v_xor_b32_e32 v7, vcc_lo, v7
	v_cmp_gt_i32_e32 vcc_lo, 0, v35
	v_and_b32_e32 v3, v3, v38
	v_not_b32_e32 v35, v36
	v_ashrrev_i32_e32 v9, 31, v9
	v_xor_b32_e32 v8, s0, v8
	v_cmp_gt_i32_e64 s0, 0, v36
	v_and_b32_e32 v3, v3, v7
	v_not_b32_e32 v7, v37
	v_ashrrev_i32_e32 v35, 31, v35
	v_xor_b32_e32 v9, vcc_lo, v9
	v_cmp_gt_i32_e32 vcc_lo, 0, v37
	v_and_b32_e32 v3, v3, v8
	v_not_b32_e32 v8, v34
	v_ashrrev_i32_e32 v7, 31, v7
	v_xor_b32_e32 v35, s0, v35
	v_cmp_gt_i32_e64 s0, 0, v34
	v_and_b32_e32 v3, v3, v9
	v_ashrrev_i32_e32 v8, 31, v8
	v_xor_b32_e32 v7, vcc_lo, v7
	v_mad_u32_u24 v0, v0, s3, v2
	v_mul_u32_u24_e32 v9, 9, v1
	v_and_b32_e32 v3, v3, v35
	v_xor_b32_e32 v8, s0, v8
	s_delay_alu instid0(VALU_DEP_3) | instskip(NEXT) | instid1(VALU_DEP_3)
	v_lshlrev_b32_e32 v34, 2, v9
	v_and_b32_e32 v7, v3, v7
	s_waitcnt vmcnt(21)
	v_mad_u64_u32 v[2:3], null, v0, v5, v[1:2]
	ds_store_2addr_b32 v34, v4, v4 offset0:8 offset1:9
	ds_store_2addr_b32 v34, v4, v4 offset0:10 offset1:11
	;; [unrolled: 1-line block ×4, first 2 shown]
	v_and_b32_e32 v3, v7, v8
	ds_store_b32 v34, v4 offset:64
	v_mul_u32_u24_e32 v4, 9, v6
	s_waitcnt vmcnt(0) lgkmcnt(0)
	s_waitcnt_vscnt null, 0x0
	v_lshrrev_b32_e32 v2, 5, v2
	v_mbcnt_lo_u32_b32 v0, v3, 0
	v_cmp_ne_u32_e64 s0, 0, v3
	s_barrier
	buffer_gl0_inv
	v_add_lshl_u32 v35, v2, v4, 2
	v_cmp_eq_u32_e32 vcc_lo, 0, v0
	; wave barrier
	s_and_b32 s3, s0, vcc_lo
	s_delay_alu instid0(SALU_CYCLE_1)
	s_and_saveexec_b32 s0, s3
	s_cbranch_execz .LBB25_221
; %bb.220:
	v_bcnt_u32_b32 v3, v3, 0
	ds_store_b32 v35, v3 offset:32
.LBB25_221:
	s_or_b32 exec_lo, exec_lo, s0
	v_and_b32_e32 v3, 0xff, v19
	; wave barrier
	s_delay_alu instid0(VALU_DEP_1) | instskip(NEXT) | instid1(VALU_DEP_1)
	v_lshrrev_b32_e32 v3, s60, v3
	v_and_b32_e32 v3, s1, v3
	s_delay_alu instid0(VALU_DEP_1)
	v_and_b32_e32 v4, 1, v3
	v_lshlrev_b32_e32 v5, 30, v3
	v_lshlrev_b32_e32 v6, 29, v3
	;; [unrolled: 1-line block ×4, first 2 shown]
	v_add_co_u32 v4, s0, v4, -1
	s_delay_alu instid0(VALU_DEP_1)
	v_cndmask_b32_e64 v8, 0, 1, s0
	v_not_b32_e32 v38, v5
	v_cmp_gt_i32_e64 s0, 0, v5
	v_not_b32_e32 v5, v6
	v_lshlrev_b32_e32 v36, 26, v3
	v_cmp_ne_u32_e32 vcc_lo, 0, v8
	v_ashrrev_i32_e32 v38, 31, v38
	v_lshlrev_b32_e32 v37, 25, v3
	v_ashrrev_i32_e32 v5, 31, v5
	v_lshlrev_b32_e32 v8, 24, v3
	v_xor_b32_e32 v4, vcc_lo, v4
	v_cmp_gt_i32_e32 vcc_lo, 0, v6
	v_not_b32_e32 v6, v7
	v_xor_b32_e32 v38, s0, v38
	v_cmp_gt_i32_e64 s0, 0, v7
	v_and_b32_e32 v4, exec_lo, v4
	v_not_b32_e32 v7, v9
	v_ashrrev_i32_e32 v6, 31, v6
	v_xor_b32_e32 v5, vcc_lo, v5
	v_cmp_gt_i32_e32 vcc_lo, 0, v9
	v_and_b32_e32 v4, v4, v38
	v_not_b32_e32 v9, v36
	v_ashrrev_i32_e32 v7, 31, v7
	v_xor_b32_e32 v6, s0, v6
	v_cmp_gt_i32_e64 s0, 0, v36
	v_and_b32_e32 v4, v4, v5
	v_not_b32_e32 v5, v37
	v_ashrrev_i32_e32 v9, 31, v9
	v_xor_b32_e32 v7, vcc_lo, v7
	v_cmp_gt_i32_e32 vcc_lo, 0, v37
	v_and_b32_e32 v4, v4, v6
	v_not_b32_e32 v6, v8
	v_ashrrev_i32_e32 v5, 31, v5
	v_xor_b32_e32 v9, s0, v9
	v_mul_u32_u24_e32 v3, 9, v3
	v_and_b32_e32 v4, v4, v7
	v_cmp_gt_i32_e64 s0, 0, v8
	v_ashrrev_i32_e32 v6, 31, v6
	v_xor_b32_e32 v5, vcc_lo, v5
	v_add_lshl_u32 v38, v2, v3, 2
	v_and_b32_e32 v4, v4, v9
	s_delay_alu instid0(VALU_DEP_4) | instskip(SKIP_2) | instid1(VALU_DEP_1)
	v_xor_b32_e32 v3, s0, v6
	ds_load_b32 v36, v38 offset:32
	v_and_b32_e32 v4, v4, v5
	; wave barrier
	v_and_b32_e32 v3, v4, v3
	s_delay_alu instid0(VALU_DEP_1) | instskip(SKIP_1) | instid1(VALU_DEP_2)
	v_mbcnt_lo_u32_b32 v37, v3, 0
	v_cmp_ne_u32_e64 s0, 0, v3
	v_cmp_eq_u32_e32 vcc_lo, 0, v37
	s_delay_alu instid0(VALU_DEP_2) | instskip(NEXT) | instid1(SALU_CYCLE_1)
	s_and_b32 s3, s0, vcc_lo
	s_and_saveexec_b32 s0, s3
	s_cbranch_execz .LBB25_223
; %bb.222:
	s_waitcnt lgkmcnt(0)
	v_bcnt_u32_b32 v3, v3, v36
	ds_store_b32 v38, v3 offset:32
.LBB25_223:
	s_or_b32 exec_lo, exec_lo, s0
	v_and_b32_e32 v3, 0xff, v20
	; wave barrier
	s_delay_alu instid0(VALU_DEP_1) | instskip(NEXT) | instid1(VALU_DEP_1)
	v_lshrrev_b32_e32 v3, s60, v3
	v_and_b32_e32 v3, s1, v3
	s_delay_alu instid0(VALU_DEP_1)
	v_and_b32_e32 v4, 1, v3
	v_lshlrev_b32_e32 v5, 30, v3
	v_lshlrev_b32_e32 v6, 29, v3
	;; [unrolled: 1-line block ×4, first 2 shown]
	v_add_co_u32 v4, s0, v4, -1
	s_delay_alu instid0(VALU_DEP_1)
	v_cndmask_b32_e64 v8, 0, 1, s0
	v_not_b32_e32 v41, v5
	v_cmp_gt_i32_e64 s0, 0, v5
	v_not_b32_e32 v5, v6
	v_lshlrev_b32_e32 v39, 26, v3
	v_cmp_ne_u32_e32 vcc_lo, 0, v8
	v_ashrrev_i32_e32 v41, 31, v41
	v_lshlrev_b32_e32 v40, 25, v3
	v_ashrrev_i32_e32 v5, 31, v5
	v_lshlrev_b32_e32 v8, 24, v3
	v_xor_b32_e32 v4, vcc_lo, v4
	v_cmp_gt_i32_e32 vcc_lo, 0, v6
	v_not_b32_e32 v6, v7
	v_xor_b32_e32 v41, s0, v41
	v_cmp_gt_i32_e64 s0, 0, v7
	v_and_b32_e32 v4, exec_lo, v4
	v_not_b32_e32 v7, v9
	v_ashrrev_i32_e32 v6, 31, v6
	v_xor_b32_e32 v5, vcc_lo, v5
	v_cmp_gt_i32_e32 vcc_lo, 0, v9
	v_and_b32_e32 v4, v4, v41
	v_not_b32_e32 v9, v39
	v_ashrrev_i32_e32 v7, 31, v7
	v_xor_b32_e32 v6, s0, v6
	v_cmp_gt_i32_e64 s0, 0, v39
	v_and_b32_e32 v4, v4, v5
	v_not_b32_e32 v5, v40
	v_ashrrev_i32_e32 v9, 31, v9
	v_xor_b32_e32 v7, vcc_lo, v7
	v_cmp_gt_i32_e32 vcc_lo, 0, v40
	v_and_b32_e32 v4, v4, v6
	v_not_b32_e32 v6, v8
	v_ashrrev_i32_e32 v5, 31, v5
	v_xor_b32_e32 v9, s0, v9
	v_mul_u32_u24_e32 v3, 9, v3
	v_and_b32_e32 v4, v4, v7
	v_cmp_gt_i32_e64 s0, 0, v8
	v_ashrrev_i32_e32 v6, 31, v6
	v_xor_b32_e32 v5, vcc_lo, v5
	v_add_lshl_u32 v41, v2, v3, 2
	v_and_b32_e32 v4, v4, v9
	s_delay_alu instid0(VALU_DEP_4) | instskip(SKIP_2) | instid1(VALU_DEP_1)
	v_xor_b32_e32 v3, s0, v6
	ds_load_b32 v39, v41 offset:32
	v_and_b32_e32 v4, v4, v5
	; wave barrier
	v_and_b32_e32 v3, v4, v3
	s_delay_alu instid0(VALU_DEP_1) | instskip(SKIP_1) | instid1(VALU_DEP_2)
	v_mbcnt_lo_u32_b32 v40, v3, 0
	v_cmp_ne_u32_e64 s0, 0, v3
	v_cmp_eq_u32_e32 vcc_lo, 0, v40
	s_delay_alu instid0(VALU_DEP_2) | instskip(NEXT) | instid1(SALU_CYCLE_1)
	s_and_b32 s3, s0, vcc_lo
	s_and_saveexec_b32 s0, s3
	s_cbranch_execz .LBB25_225
; %bb.224:
	s_waitcnt lgkmcnt(0)
	v_bcnt_u32_b32 v3, v3, v39
	ds_store_b32 v41, v3 offset:32
.LBB25_225:
	s_or_b32 exec_lo, exec_lo, s0
	v_and_b32_e32 v3, 0xff, v21
	; wave barrier
	s_delay_alu instid0(VALU_DEP_1) | instskip(NEXT) | instid1(VALU_DEP_1)
	v_lshrrev_b32_e32 v3, s60, v3
	v_and_b32_e32 v3, s1, v3
	s_delay_alu instid0(VALU_DEP_1)
	v_and_b32_e32 v4, 1, v3
	v_lshlrev_b32_e32 v5, 30, v3
	v_lshlrev_b32_e32 v6, 29, v3
	;; [unrolled: 1-line block ×4, first 2 shown]
	v_add_co_u32 v4, s0, v4, -1
	s_delay_alu instid0(VALU_DEP_1)
	v_cndmask_b32_e64 v8, 0, 1, s0
	v_not_b32_e32 v44, v5
	v_cmp_gt_i32_e64 s0, 0, v5
	v_not_b32_e32 v5, v6
	v_lshlrev_b32_e32 v42, 26, v3
	v_cmp_ne_u32_e32 vcc_lo, 0, v8
	v_ashrrev_i32_e32 v44, 31, v44
	v_lshlrev_b32_e32 v43, 25, v3
	v_ashrrev_i32_e32 v5, 31, v5
	v_lshlrev_b32_e32 v8, 24, v3
	v_xor_b32_e32 v4, vcc_lo, v4
	v_cmp_gt_i32_e32 vcc_lo, 0, v6
	v_not_b32_e32 v6, v7
	v_xor_b32_e32 v44, s0, v44
	v_cmp_gt_i32_e64 s0, 0, v7
	v_and_b32_e32 v4, exec_lo, v4
	v_not_b32_e32 v7, v9
	v_ashrrev_i32_e32 v6, 31, v6
	v_xor_b32_e32 v5, vcc_lo, v5
	v_cmp_gt_i32_e32 vcc_lo, 0, v9
	v_and_b32_e32 v4, v4, v44
	v_not_b32_e32 v9, v42
	v_ashrrev_i32_e32 v7, 31, v7
	v_xor_b32_e32 v6, s0, v6
	v_cmp_gt_i32_e64 s0, 0, v42
	v_and_b32_e32 v4, v4, v5
	v_not_b32_e32 v5, v43
	v_ashrrev_i32_e32 v9, 31, v9
	v_xor_b32_e32 v7, vcc_lo, v7
	v_cmp_gt_i32_e32 vcc_lo, 0, v43
	v_and_b32_e32 v4, v4, v6
	v_not_b32_e32 v6, v8
	v_ashrrev_i32_e32 v5, 31, v5
	v_xor_b32_e32 v9, s0, v9
	v_mul_u32_u24_e32 v3, 9, v3
	v_and_b32_e32 v4, v4, v7
	v_cmp_gt_i32_e64 s0, 0, v8
	v_ashrrev_i32_e32 v6, 31, v6
	v_xor_b32_e32 v5, vcc_lo, v5
	v_add_lshl_u32 v44, v2, v3, 2
	v_and_b32_e32 v4, v4, v9
	s_delay_alu instid0(VALU_DEP_4) | instskip(SKIP_2) | instid1(VALU_DEP_1)
	v_xor_b32_e32 v3, s0, v6
	ds_load_b32 v42, v44 offset:32
	v_and_b32_e32 v4, v4, v5
	; wave barrier
	v_and_b32_e32 v3, v4, v3
	s_delay_alu instid0(VALU_DEP_1) | instskip(SKIP_1) | instid1(VALU_DEP_2)
	v_mbcnt_lo_u32_b32 v43, v3, 0
	v_cmp_ne_u32_e64 s0, 0, v3
	v_cmp_eq_u32_e32 vcc_lo, 0, v43
	s_delay_alu instid0(VALU_DEP_2) | instskip(NEXT) | instid1(SALU_CYCLE_1)
	s_and_b32 s3, s0, vcc_lo
	s_and_saveexec_b32 s0, s3
	s_cbranch_execz .LBB25_227
; %bb.226:
	s_waitcnt lgkmcnt(0)
	v_bcnt_u32_b32 v3, v3, v42
	ds_store_b32 v44, v3 offset:32
.LBB25_227:
	s_or_b32 exec_lo, exec_lo, s0
	v_and_b32_e32 v3, 0xff, v22
	; wave barrier
	s_delay_alu instid0(VALU_DEP_1) | instskip(NEXT) | instid1(VALU_DEP_1)
	v_lshrrev_b32_e32 v3, s60, v3
	v_and_b32_e32 v3, s1, v3
	s_delay_alu instid0(VALU_DEP_1)
	v_and_b32_e32 v4, 1, v3
	v_lshlrev_b32_e32 v5, 30, v3
	v_lshlrev_b32_e32 v6, 29, v3
	;; [unrolled: 1-line block ×4, first 2 shown]
	v_add_co_u32 v4, s0, v4, -1
	s_delay_alu instid0(VALU_DEP_1)
	v_cndmask_b32_e64 v8, 0, 1, s0
	v_not_b32_e32 v47, v5
	v_cmp_gt_i32_e64 s0, 0, v5
	v_not_b32_e32 v5, v6
	v_lshlrev_b32_e32 v45, 26, v3
	v_cmp_ne_u32_e32 vcc_lo, 0, v8
	v_ashrrev_i32_e32 v47, 31, v47
	v_lshlrev_b32_e32 v46, 25, v3
	v_ashrrev_i32_e32 v5, 31, v5
	v_lshlrev_b32_e32 v8, 24, v3
	v_xor_b32_e32 v4, vcc_lo, v4
	v_cmp_gt_i32_e32 vcc_lo, 0, v6
	v_not_b32_e32 v6, v7
	v_xor_b32_e32 v47, s0, v47
	v_cmp_gt_i32_e64 s0, 0, v7
	v_and_b32_e32 v4, exec_lo, v4
	v_not_b32_e32 v7, v9
	v_ashrrev_i32_e32 v6, 31, v6
	v_xor_b32_e32 v5, vcc_lo, v5
	v_cmp_gt_i32_e32 vcc_lo, 0, v9
	v_and_b32_e32 v4, v4, v47
	v_not_b32_e32 v9, v45
	v_ashrrev_i32_e32 v7, 31, v7
	v_xor_b32_e32 v6, s0, v6
	v_cmp_gt_i32_e64 s0, 0, v45
	v_and_b32_e32 v4, v4, v5
	v_not_b32_e32 v5, v46
	v_ashrrev_i32_e32 v9, 31, v9
	v_xor_b32_e32 v7, vcc_lo, v7
	v_cmp_gt_i32_e32 vcc_lo, 0, v46
	v_and_b32_e32 v4, v4, v6
	v_not_b32_e32 v6, v8
	v_ashrrev_i32_e32 v5, 31, v5
	v_xor_b32_e32 v9, s0, v9
	v_mul_u32_u24_e32 v3, 9, v3
	v_and_b32_e32 v4, v4, v7
	v_cmp_gt_i32_e64 s0, 0, v8
	v_ashrrev_i32_e32 v6, 31, v6
	v_xor_b32_e32 v5, vcc_lo, v5
	v_add_lshl_u32 v47, v2, v3, 2
	v_and_b32_e32 v4, v4, v9
	s_delay_alu instid0(VALU_DEP_4) | instskip(SKIP_2) | instid1(VALU_DEP_1)
	v_xor_b32_e32 v3, s0, v6
	ds_load_b32 v45, v47 offset:32
	v_and_b32_e32 v4, v4, v5
	; wave barrier
	v_and_b32_e32 v3, v4, v3
	s_delay_alu instid0(VALU_DEP_1) | instskip(SKIP_1) | instid1(VALU_DEP_2)
	v_mbcnt_lo_u32_b32 v46, v3, 0
	v_cmp_ne_u32_e64 s0, 0, v3
	v_cmp_eq_u32_e32 vcc_lo, 0, v46
	s_delay_alu instid0(VALU_DEP_2) | instskip(NEXT) | instid1(SALU_CYCLE_1)
	s_and_b32 s3, s0, vcc_lo
	s_and_saveexec_b32 s0, s3
	s_cbranch_execz .LBB25_229
; %bb.228:
	s_waitcnt lgkmcnt(0)
	v_bcnt_u32_b32 v3, v3, v45
	ds_store_b32 v47, v3 offset:32
.LBB25_229:
	s_or_b32 exec_lo, exec_lo, s0
	v_and_b32_e32 v3, 0xff, v23
	; wave barrier
	s_delay_alu instid0(VALU_DEP_1) | instskip(NEXT) | instid1(VALU_DEP_1)
	v_lshrrev_b32_e32 v3, s60, v3
	v_and_b32_e32 v3, s1, v3
	s_delay_alu instid0(VALU_DEP_1)
	v_and_b32_e32 v4, 1, v3
	v_lshlrev_b32_e32 v5, 30, v3
	v_lshlrev_b32_e32 v6, 29, v3
	;; [unrolled: 1-line block ×4, first 2 shown]
	v_add_co_u32 v4, s0, v4, -1
	s_delay_alu instid0(VALU_DEP_1)
	v_cndmask_b32_e64 v8, 0, 1, s0
	v_not_b32_e32 v50, v5
	v_cmp_gt_i32_e64 s0, 0, v5
	v_not_b32_e32 v5, v6
	v_lshlrev_b32_e32 v48, 26, v3
	v_cmp_ne_u32_e32 vcc_lo, 0, v8
	v_ashrrev_i32_e32 v50, 31, v50
	v_lshlrev_b32_e32 v49, 25, v3
	v_ashrrev_i32_e32 v5, 31, v5
	v_lshlrev_b32_e32 v8, 24, v3
	v_xor_b32_e32 v4, vcc_lo, v4
	v_cmp_gt_i32_e32 vcc_lo, 0, v6
	v_not_b32_e32 v6, v7
	v_xor_b32_e32 v50, s0, v50
	v_cmp_gt_i32_e64 s0, 0, v7
	v_and_b32_e32 v4, exec_lo, v4
	v_not_b32_e32 v7, v9
	v_ashrrev_i32_e32 v6, 31, v6
	v_xor_b32_e32 v5, vcc_lo, v5
	v_cmp_gt_i32_e32 vcc_lo, 0, v9
	v_and_b32_e32 v4, v4, v50
	v_not_b32_e32 v9, v48
	v_ashrrev_i32_e32 v7, 31, v7
	v_xor_b32_e32 v6, s0, v6
	v_cmp_gt_i32_e64 s0, 0, v48
	v_and_b32_e32 v4, v4, v5
	v_not_b32_e32 v5, v49
	v_ashrrev_i32_e32 v9, 31, v9
	v_xor_b32_e32 v7, vcc_lo, v7
	v_cmp_gt_i32_e32 vcc_lo, 0, v49
	v_and_b32_e32 v4, v4, v6
	v_not_b32_e32 v6, v8
	v_ashrrev_i32_e32 v5, 31, v5
	v_xor_b32_e32 v9, s0, v9
	v_mul_u32_u24_e32 v3, 9, v3
	v_and_b32_e32 v4, v4, v7
	v_cmp_gt_i32_e64 s0, 0, v8
	v_ashrrev_i32_e32 v6, 31, v6
	v_xor_b32_e32 v5, vcc_lo, v5
	v_add_lshl_u32 v50, v2, v3, 2
	v_and_b32_e32 v4, v4, v9
	s_delay_alu instid0(VALU_DEP_4) | instskip(SKIP_2) | instid1(VALU_DEP_1)
	v_xor_b32_e32 v3, s0, v6
	ds_load_b32 v48, v50 offset:32
	v_and_b32_e32 v4, v4, v5
	; wave barrier
	v_and_b32_e32 v3, v4, v3
	s_delay_alu instid0(VALU_DEP_1) | instskip(SKIP_1) | instid1(VALU_DEP_2)
	v_mbcnt_lo_u32_b32 v49, v3, 0
	v_cmp_ne_u32_e64 s0, 0, v3
	v_cmp_eq_u32_e32 vcc_lo, 0, v49
	s_delay_alu instid0(VALU_DEP_2) | instskip(NEXT) | instid1(SALU_CYCLE_1)
	s_and_b32 s3, s0, vcc_lo
	s_and_saveexec_b32 s0, s3
	s_cbranch_execz .LBB25_231
; %bb.230:
	s_waitcnt lgkmcnt(0)
	v_bcnt_u32_b32 v3, v3, v48
	ds_store_b32 v50, v3 offset:32
.LBB25_231:
	s_or_b32 exec_lo, exec_lo, s0
	v_and_b32_e32 v3, 0xff, v24
	; wave barrier
	s_delay_alu instid0(VALU_DEP_1) | instskip(NEXT) | instid1(VALU_DEP_1)
	v_lshrrev_b32_e32 v3, s60, v3
	v_and_b32_e32 v3, s1, v3
	s_delay_alu instid0(VALU_DEP_1)
	v_and_b32_e32 v4, 1, v3
	v_lshlrev_b32_e32 v5, 30, v3
	v_lshlrev_b32_e32 v6, 29, v3
	;; [unrolled: 1-line block ×4, first 2 shown]
	v_add_co_u32 v4, s0, v4, -1
	s_delay_alu instid0(VALU_DEP_1)
	v_cndmask_b32_e64 v8, 0, 1, s0
	v_not_b32_e32 v54, v5
	v_cmp_gt_i32_e64 s0, 0, v5
	v_not_b32_e32 v5, v6
	v_lshlrev_b32_e32 v52, 26, v3
	v_cmp_ne_u32_e32 vcc_lo, 0, v8
	v_ashrrev_i32_e32 v54, 31, v54
	v_lshlrev_b32_e32 v53, 25, v3
	v_ashrrev_i32_e32 v5, 31, v5
	v_lshlrev_b32_e32 v8, 24, v3
	v_xor_b32_e32 v4, vcc_lo, v4
	v_cmp_gt_i32_e32 vcc_lo, 0, v6
	v_not_b32_e32 v6, v7
	v_xor_b32_e32 v54, s0, v54
	v_cmp_gt_i32_e64 s0, 0, v7
	v_and_b32_e32 v4, exec_lo, v4
	v_not_b32_e32 v7, v9
	v_ashrrev_i32_e32 v6, 31, v6
	v_xor_b32_e32 v5, vcc_lo, v5
	v_cmp_gt_i32_e32 vcc_lo, 0, v9
	v_and_b32_e32 v4, v4, v54
	v_not_b32_e32 v9, v52
	v_ashrrev_i32_e32 v7, 31, v7
	v_xor_b32_e32 v6, s0, v6
	v_cmp_gt_i32_e64 s0, 0, v52
	v_and_b32_e32 v4, v4, v5
	v_not_b32_e32 v5, v53
	v_ashrrev_i32_e32 v9, 31, v9
	v_xor_b32_e32 v7, vcc_lo, v7
	v_cmp_gt_i32_e32 vcc_lo, 0, v53
	v_and_b32_e32 v4, v4, v6
	v_not_b32_e32 v6, v8
	v_ashrrev_i32_e32 v5, 31, v5
	v_xor_b32_e32 v9, s0, v9
	v_mul_u32_u24_e32 v3, 9, v3
	v_and_b32_e32 v4, v4, v7
	v_cmp_gt_i32_e64 s0, 0, v8
	v_ashrrev_i32_e32 v6, 31, v6
	v_xor_b32_e32 v5, vcc_lo, v5
	v_add_lshl_u32 v54, v2, v3, 2
	v_and_b32_e32 v4, v4, v9
	s_delay_alu instid0(VALU_DEP_4) | instskip(SKIP_2) | instid1(VALU_DEP_1)
	v_xor_b32_e32 v3, s0, v6
	ds_load_b32 v52, v54 offset:32
	v_and_b32_e32 v4, v4, v5
	; wave barrier
	v_and_b32_e32 v3, v4, v3
	s_delay_alu instid0(VALU_DEP_1) | instskip(SKIP_1) | instid1(VALU_DEP_2)
	v_mbcnt_lo_u32_b32 v53, v3, 0
	v_cmp_ne_u32_e64 s0, 0, v3
	v_cmp_eq_u32_e32 vcc_lo, 0, v53
	s_delay_alu instid0(VALU_DEP_2) | instskip(NEXT) | instid1(SALU_CYCLE_1)
	s_and_b32 s3, s0, vcc_lo
	s_and_saveexec_b32 s0, s3
	s_cbranch_execz .LBB25_233
; %bb.232:
	s_waitcnt lgkmcnt(0)
	v_bcnt_u32_b32 v3, v3, v52
	ds_store_b32 v54, v3 offset:32
.LBB25_233:
	s_or_b32 exec_lo, exec_lo, s0
	v_and_b32_e32 v3, 0xff, v25
	; wave barrier
	s_delay_alu instid0(VALU_DEP_1) | instskip(NEXT) | instid1(VALU_DEP_1)
	v_lshrrev_b32_e32 v3, s60, v3
	v_and_b32_e32 v3, s1, v3
	s_delay_alu instid0(VALU_DEP_1)
	v_and_b32_e32 v4, 1, v3
	v_lshlrev_b32_e32 v5, 30, v3
	v_lshlrev_b32_e32 v6, 29, v3
	;; [unrolled: 1-line block ×4, first 2 shown]
	v_add_co_u32 v4, s0, v4, -1
	s_delay_alu instid0(VALU_DEP_1)
	v_cndmask_b32_e64 v8, 0, 1, s0
	v_not_b32_e32 v57, v5
	v_cmp_gt_i32_e64 s0, 0, v5
	v_not_b32_e32 v5, v6
	v_lshlrev_b32_e32 v55, 26, v3
	v_cmp_ne_u32_e32 vcc_lo, 0, v8
	v_ashrrev_i32_e32 v57, 31, v57
	v_lshlrev_b32_e32 v56, 25, v3
	v_ashrrev_i32_e32 v5, 31, v5
	v_lshlrev_b32_e32 v8, 24, v3
	v_xor_b32_e32 v4, vcc_lo, v4
	v_cmp_gt_i32_e32 vcc_lo, 0, v6
	v_not_b32_e32 v6, v7
	v_xor_b32_e32 v57, s0, v57
	v_cmp_gt_i32_e64 s0, 0, v7
	v_and_b32_e32 v4, exec_lo, v4
	v_not_b32_e32 v7, v9
	v_ashrrev_i32_e32 v6, 31, v6
	v_xor_b32_e32 v5, vcc_lo, v5
	v_cmp_gt_i32_e32 vcc_lo, 0, v9
	v_and_b32_e32 v4, v4, v57
	v_not_b32_e32 v9, v55
	v_ashrrev_i32_e32 v7, 31, v7
	v_xor_b32_e32 v6, s0, v6
	v_cmp_gt_i32_e64 s0, 0, v55
	v_and_b32_e32 v4, v4, v5
	v_not_b32_e32 v5, v56
	v_ashrrev_i32_e32 v9, 31, v9
	v_xor_b32_e32 v7, vcc_lo, v7
	v_cmp_gt_i32_e32 vcc_lo, 0, v56
	v_and_b32_e32 v4, v4, v6
	v_not_b32_e32 v6, v8
	v_ashrrev_i32_e32 v5, 31, v5
	v_xor_b32_e32 v9, s0, v9
	v_mul_u32_u24_e32 v3, 9, v3
	v_and_b32_e32 v4, v4, v7
	v_cmp_gt_i32_e64 s0, 0, v8
	v_ashrrev_i32_e32 v6, 31, v6
	v_xor_b32_e32 v5, vcc_lo, v5
	v_add_lshl_u32 v57, v2, v3, 2
	v_and_b32_e32 v4, v4, v9
	s_delay_alu instid0(VALU_DEP_4) | instskip(SKIP_2) | instid1(VALU_DEP_1)
	v_xor_b32_e32 v3, s0, v6
	ds_load_b32 v55, v57 offset:32
	v_and_b32_e32 v4, v4, v5
	; wave barrier
	v_and_b32_e32 v3, v4, v3
	s_delay_alu instid0(VALU_DEP_1) | instskip(SKIP_1) | instid1(VALU_DEP_2)
	v_mbcnt_lo_u32_b32 v56, v3, 0
	v_cmp_ne_u32_e64 s0, 0, v3
	v_cmp_eq_u32_e32 vcc_lo, 0, v56
	s_delay_alu instid0(VALU_DEP_2) | instskip(NEXT) | instid1(SALU_CYCLE_1)
	s_and_b32 s3, s0, vcc_lo
	s_and_saveexec_b32 s0, s3
	s_cbranch_execz .LBB25_235
; %bb.234:
	s_waitcnt lgkmcnt(0)
	v_bcnt_u32_b32 v3, v3, v55
	ds_store_b32 v57, v3 offset:32
.LBB25_235:
	s_or_b32 exec_lo, exec_lo, s0
	v_and_b32_e32 v3, 0xff, v26
	; wave barrier
	s_delay_alu instid0(VALU_DEP_1) | instskip(NEXT) | instid1(VALU_DEP_1)
	v_lshrrev_b32_e32 v3, s60, v3
	v_and_b32_e32 v3, s1, v3
	s_delay_alu instid0(VALU_DEP_1)
	v_and_b32_e32 v4, 1, v3
	v_lshlrev_b32_e32 v5, 30, v3
	v_lshlrev_b32_e32 v6, 29, v3
	;; [unrolled: 1-line block ×4, first 2 shown]
	v_add_co_u32 v4, s0, v4, -1
	s_delay_alu instid0(VALU_DEP_1)
	v_cndmask_b32_e64 v8, 0, 1, s0
	v_not_b32_e32 v60, v5
	v_cmp_gt_i32_e64 s0, 0, v5
	v_not_b32_e32 v5, v6
	v_lshlrev_b32_e32 v58, 26, v3
	v_cmp_ne_u32_e32 vcc_lo, 0, v8
	v_ashrrev_i32_e32 v60, 31, v60
	v_lshlrev_b32_e32 v59, 25, v3
	v_ashrrev_i32_e32 v5, 31, v5
	v_lshlrev_b32_e32 v8, 24, v3
	v_xor_b32_e32 v4, vcc_lo, v4
	v_cmp_gt_i32_e32 vcc_lo, 0, v6
	v_not_b32_e32 v6, v7
	v_xor_b32_e32 v60, s0, v60
	v_cmp_gt_i32_e64 s0, 0, v7
	v_and_b32_e32 v4, exec_lo, v4
	v_not_b32_e32 v7, v9
	v_ashrrev_i32_e32 v6, 31, v6
	v_xor_b32_e32 v5, vcc_lo, v5
	v_cmp_gt_i32_e32 vcc_lo, 0, v9
	v_and_b32_e32 v4, v4, v60
	v_not_b32_e32 v9, v58
	v_ashrrev_i32_e32 v7, 31, v7
	v_xor_b32_e32 v6, s0, v6
	v_cmp_gt_i32_e64 s0, 0, v58
	v_and_b32_e32 v4, v4, v5
	v_not_b32_e32 v5, v59
	v_ashrrev_i32_e32 v9, 31, v9
	v_xor_b32_e32 v7, vcc_lo, v7
	v_cmp_gt_i32_e32 vcc_lo, 0, v59
	v_and_b32_e32 v4, v4, v6
	v_not_b32_e32 v6, v8
	v_ashrrev_i32_e32 v5, 31, v5
	v_xor_b32_e32 v9, s0, v9
	v_mul_u32_u24_e32 v3, 9, v3
	v_and_b32_e32 v4, v4, v7
	v_cmp_gt_i32_e64 s0, 0, v8
	v_ashrrev_i32_e32 v6, 31, v6
	v_xor_b32_e32 v5, vcc_lo, v5
	v_add_lshl_u32 v60, v2, v3, 2
	v_and_b32_e32 v4, v4, v9
	s_delay_alu instid0(VALU_DEP_4) | instskip(SKIP_2) | instid1(VALU_DEP_1)
	v_xor_b32_e32 v3, s0, v6
	ds_load_b32 v58, v60 offset:32
	v_and_b32_e32 v4, v4, v5
	; wave barrier
	v_and_b32_e32 v3, v4, v3
	s_delay_alu instid0(VALU_DEP_1) | instskip(SKIP_1) | instid1(VALU_DEP_2)
	v_mbcnt_lo_u32_b32 v59, v3, 0
	v_cmp_ne_u32_e64 s0, 0, v3
	v_cmp_eq_u32_e32 vcc_lo, 0, v59
	s_delay_alu instid0(VALU_DEP_2) | instskip(NEXT) | instid1(SALU_CYCLE_1)
	s_and_b32 s3, s0, vcc_lo
	s_and_saveexec_b32 s0, s3
	s_cbranch_execz .LBB25_237
; %bb.236:
	s_waitcnt lgkmcnt(0)
	v_bcnt_u32_b32 v3, v3, v58
	ds_store_b32 v60, v3 offset:32
.LBB25_237:
	s_or_b32 exec_lo, exec_lo, s0
	v_and_b32_e32 v3, 0xff, v27
	; wave barrier
	s_delay_alu instid0(VALU_DEP_1) | instskip(NEXT) | instid1(VALU_DEP_1)
	v_lshrrev_b32_e32 v3, s60, v3
	v_and_b32_e32 v3, s1, v3
	s_delay_alu instid0(VALU_DEP_1)
	v_and_b32_e32 v4, 1, v3
	v_lshlrev_b32_e32 v5, 30, v3
	v_lshlrev_b32_e32 v6, 29, v3
	;; [unrolled: 1-line block ×4, first 2 shown]
	v_add_co_u32 v4, s0, v4, -1
	s_delay_alu instid0(VALU_DEP_1)
	v_cndmask_b32_e64 v8, 0, 1, s0
	v_not_b32_e32 v63, v5
	v_cmp_gt_i32_e64 s0, 0, v5
	v_not_b32_e32 v5, v6
	v_lshlrev_b32_e32 v61, 26, v3
	v_cmp_ne_u32_e32 vcc_lo, 0, v8
	v_ashrrev_i32_e32 v63, 31, v63
	v_lshlrev_b32_e32 v62, 25, v3
	v_ashrrev_i32_e32 v5, 31, v5
	v_lshlrev_b32_e32 v8, 24, v3
	v_xor_b32_e32 v4, vcc_lo, v4
	v_cmp_gt_i32_e32 vcc_lo, 0, v6
	v_not_b32_e32 v6, v7
	v_xor_b32_e32 v63, s0, v63
	v_cmp_gt_i32_e64 s0, 0, v7
	v_and_b32_e32 v4, exec_lo, v4
	v_not_b32_e32 v7, v9
	v_ashrrev_i32_e32 v6, 31, v6
	v_xor_b32_e32 v5, vcc_lo, v5
	v_cmp_gt_i32_e32 vcc_lo, 0, v9
	v_and_b32_e32 v4, v4, v63
	v_not_b32_e32 v9, v61
	v_ashrrev_i32_e32 v7, 31, v7
	v_xor_b32_e32 v6, s0, v6
	v_cmp_gt_i32_e64 s0, 0, v61
	v_and_b32_e32 v4, v4, v5
	v_not_b32_e32 v5, v62
	v_ashrrev_i32_e32 v9, 31, v9
	v_xor_b32_e32 v7, vcc_lo, v7
	v_cmp_gt_i32_e32 vcc_lo, 0, v62
	v_and_b32_e32 v4, v4, v6
	v_not_b32_e32 v6, v8
	v_ashrrev_i32_e32 v5, 31, v5
	v_xor_b32_e32 v9, s0, v9
	v_mul_u32_u24_e32 v3, 9, v3
	v_and_b32_e32 v4, v4, v7
	v_cmp_gt_i32_e64 s0, 0, v8
	v_ashrrev_i32_e32 v6, 31, v6
	v_xor_b32_e32 v5, vcc_lo, v5
	v_add_lshl_u32 v63, v2, v3, 2
	v_and_b32_e32 v4, v4, v9
	s_delay_alu instid0(VALU_DEP_4) | instskip(SKIP_2) | instid1(VALU_DEP_1)
	v_xor_b32_e32 v3, s0, v6
	ds_load_b32 v61, v63 offset:32
	v_and_b32_e32 v4, v4, v5
	; wave barrier
	v_and_b32_e32 v3, v4, v3
	s_delay_alu instid0(VALU_DEP_1) | instskip(SKIP_1) | instid1(VALU_DEP_2)
	v_mbcnt_lo_u32_b32 v62, v3, 0
	v_cmp_ne_u32_e64 s0, 0, v3
	v_cmp_eq_u32_e32 vcc_lo, 0, v62
	s_delay_alu instid0(VALU_DEP_2) | instskip(NEXT) | instid1(SALU_CYCLE_1)
	s_and_b32 s3, s0, vcc_lo
	s_and_saveexec_b32 s0, s3
	s_cbranch_execz .LBB25_239
; %bb.238:
	s_waitcnt lgkmcnt(0)
	v_bcnt_u32_b32 v3, v3, v61
	ds_store_b32 v63, v3 offset:32
.LBB25_239:
	s_or_b32 exec_lo, exec_lo, s0
	v_and_b32_e32 v3, 0xff, v28
	; wave barrier
	s_delay_alu instid0(VALU_DEP_1) | instskip(NEXT) | instid1(VALU_DEP_1)
	v_lshrrev_b32_e32 v3, s60, v3
	v_and_b32_e32 v3, s1, v3
	s_delay_alu instid0(VALU_DEP_1)
	v_and_b32_e32 v4, 1, v3
	v_lshlrev_b32_e32 v5, 30, v3
	v_lshlrev_b32_e32 v6, 29, v3
	;; [unrolled: 1-line block ×4, first 2 shown]
	v_add_co_u32 v4, s0, v4, -1
	s_delay_alu instid0(VALU_DEP_1)
	v_cndmask_b32_e64 v8, 0, 1, s0
	v_not_b32_e32 v66, v5
	v_cmp_gt_i32_e64 s0, 0, v5
	v_not_b32_e32 v5, v6
	v_lshlrev_b32_e32 v64, 26, v3
	v_cmp_ne_u32_e32 vcc_lo, 0, v8
	v_ashrrev_i32_e32 v66, 31, v66
	v_lshlrev_b32_e32 v65, 25, v3
	v_ashrrev_i32_e32 v5, 31, v5
	v_lshlrev_b32_e32 v8, 24, v3
	v_xor_b32_e32 v4, vcc_lo, v4
	v_cmp_gt_i32_e32 vcc_lo, 0, v6
	v_not_b32_e32 v6, v7
	v_xor_b32_e32 v66, s0, v66
	v_cmp_gt_i32_e64 s0, 0, v7
	v_and_b32_e32 v4, exec_lo, v4
	v_not_b32_e32 v7, v9
	v_ashrrev_i32_e32 v6, 31, v6
	v_xor_b32_e32 v5, vcc_lo, v5
	v_cmp_gt_i32_e32 vcc_lo, 0, v9
	v_and_b32_e32 v4, v4, v66
	v_not_b32_e32 v9, v64
	v_ashrrev_i32_e32 v7, 31, v7
	v_xor_b32_e32 v6, s0, v6
	v_cmp_gt_i32_e64 s0, 0, v64
	v_and_b32_e32 v4, v4, v5
	v_not_b32_e32 v5, v65
	v_ashrrev_i32_e32 v9, 31, v9
	v_xor_b32_e32 v7, vcc_lo, v7
	v_cmp_gt_i32_e32 vcc_lo, 0, v65
	v_and_b32_e32 v4, v4, v6
	v_not_b32_e32 v6, v8
	v_ashrrev_i32_e32 v5, 31, v5
	v_xor_b32_e32 v9, s0, v9
	v_mul_u32_u24_e32 v3, 9, v3
	v_and_b32_e32 v4, v4, v7
	v_cmp_gt_i32_e64 s0, 0, v8
	v_ashrrev_i32_e32 v6, 31, v6
	v_xor_b32_e32 v5, vcc_lo, v5
	v_add_lshl_u32 v66, v2, v3, 2
	v_and_b32_e32 v4, v4, v9
	s_delay_alu instid0(VALU_DEP_4) | instskip(SKIP_2) | instid1(VALU_DEP_1)
	v_xor_b32_e32 v3, s0, v6
	ds_load_b32 v64, v66 offset:32
	v_and_b32_e32 v4, v4, v5
	; wave barrier
	v_and_b32_e32 v3, v4, v3
	s_delay_alu instid0(VALU_DEP_1) | instskip(SKIP_1) | instid1(VALU_DEP_2)
	v_mbcnt_lo_u32_b32 v65, v3, 0
	v_cmp_ne_u32_e64 s0, 0, v3
	v_cmp_eq_u32_e32 vcc_lo, 0, v65
	s_delay_alu instid0(VALU_DEP_2) | instskip(NEXT) | instid1(SALU_CYCLE_1)
	s_and_b32 s3, s0, vcc_lo
	s_and_saveexec_b32 s0, s3
	s_cbranch_execz .LBB25_241
; %bb.240:
	s_waitcnt lgkmcnt(0)
	v_bcnt_u32_b32 v3, v3, v64
	ds_store_b32 v66, v3 offset:32
.LBB25_241:
	s_or_b32 exec_lo, exec_lo, s0
	v_and_b32_e32 v3, 0xff, v29
	; wave barrier
	s_delay_alu instid0(VALU_DEP_1) | instskip(NEXT) | instid1(VALU_DEP_1)
	v_lshrrev_b32_e32 v3, s60, v3
	v_and_b32_e32 v3, s1, v3
	s_delay_alu instid0(VALU_DEP_1)
	v_and_b32_e32 v4, 1, v3
	v_lshlrev_b32_e32 v5, 30, v3
	v_lshlrev_b32_e32 v6, 29, v3
	;; [unrolled: 1-line block ×4, first 2 shown]
	v_add_co_u32 v4, s0, v4, -1
	s_delay_alu instid0(VALU_DEP_1)
	v_cndmask_b32_e64 v8, 0, 1, s0
	v_not_b32_e32 v69, v5
	v_cmp_gt_i32_e64 s0, 0, v5
	v_not_b32_e32 v5, v6
	v_lshlrev_b32_e32 v67, 26, v3
	v_cmp_ne_u32_e32 vcc_lo, 0, v8
	v_ashrrev_i32_e32 v69, 31, v69
	v_lshlrev_b32_e32 v68, 25, v3
	v_ashrrev_i32_e32 v5, 31, v5
	v_lshlrev_b32_e32 v8, 24, v3
	v_xor_b32_e32 v4, vcc_lo, v4
	v_cmp_gt_i32_e32 vcc_lo, 0, v6
	v_not_b32_e32 v6, v7
	v_xor_b32_e32 v69, s0, v69
	v_cmp_gt_i32_e64 s0, 0, v7
	v_and_b32_e32 v4, exec_lo, v4
	v_not_b32_e32 v7, v9
	v_ashrrev_i32_e32 v6, 31, v6
	v_xor_b32_e32 v5, vcc_lo, v5
	v_cmp_gt_i32_e32 vcc_lo, 0, v9
	v_and_b32_e32 v4, v4, v69
	v_not_b32_e32 v9, v67
	v_ashrrev_i32_e32 v7, 31, v7
	v_xor_b32_e32 v6, s0, v6
	v_cmp_gt_i32_e64 s0, 0, v67
	v_and_b32_e32 v4, v4, v5
	v_not_b32_e32 v5, v68
	v_ashrrev_i32_e32 v9, 31, v9
	v_xor_b32_e32 v7, vcc_lo, v7
	v_cmp_gt_i32_e32 vcc_lo, 0, v68
	v_and_b32_e32 v4, v4, v6
	v_not_b32_e32 v6, v8
	v_ashrrev_i32_e32 v5, 31, v5
	v_xor_b32_e32 v9, s0, v9
	v_mul_u32_u24_e32 v3, 9, v3
	v_and_b32_e32 v4, v4, v7
	v_cmp_gt_i32_e64 s0, 0, v8
	v_ashrrev_i32_e32 v6, 31, v6
	v_xor_b32_e32 v5, vcc_lo, v5
	v_add_lshl_u32 v69, v2, v3, 2
	v_and_b32_e32 v4, v4, v9
	s_delay_alu instid0(VALU_DEP_4) | instskip(SKIP_2) | instid1(VALU_DEP_1)
	v_xor_b32_e32 v3, s0, v6
	ds_load_b32 v67, v69 offset:32
	v_and_b32_e32 v4, v4, v5
	; wave barrier
	v_and_b32_e32 v3, v4, v3
	s_delay_alu instid0(VALU_DEP_1) | instskip(SKIP_1) | instid1(VALU_DEP_2)
	v_mbcnt_lo_u32_b32 v68, v3, 0
	v_cmp_ne_u32_e64 s0, 0, v3
	v_cmp_eq_u32_e32 vcc_lo, 0, v68
	s_delay_alu instid0(VALU_DEP_2) | instskip(NEXT) | instid1(SALU_CYCLE_1)
	s_and_b32 s3, s0, vcc_lo
	s_and_saveexec_b32 s0, s3
	s_cbranch_execz .LBB25_243
; %bb.242:
	s_waitcnt lgkmcnt(0)
	v_bcnt_u32_b32 v3, v3, v67
	ds_store_b32 v69, v3 offset:32
.LBB25_243:
	s_or_b32 exec_lo, exec_lo, s0
	v_and_b32_e32 v3, 0xff, v30
	; wave barrier
	s_delay_alu instid0(VALU_DEP_1) | instskip(NEXT) | instid1(VALU_DEP_1)
	v_lshrrev_b32_e32 v3, s60, v3
	v_and_b32_e32 v3, s1, v3
	s_delay_alu instid0(VALU_DEP_1)
	v_and_b32_e32 v4, 1, v3
	v_lshlrev_b32_e32 v5, 30, v3
	v_lshlrev_b32_e32 v6, 29, v3
	;; [unrolled: 1-line block ×4, first 2 shown]
	v_add_co_u32 v4, s0, v4, -1
	s_delay_alu instid0(VALU_DEP_1)
	v_cndmask_b32_e64 v8, 0, 1, s0
	v_not_b32_e32 v72, v5
	v_cmp_gt_i32_e64 s0, 0, v5
	v_not_b32_e32 v5, v6
	v_lshlrev_b32_e32 v70, 26, v3
	v_cmp_ne_u32_e32 vcc_lo, 0, v8
	v_ashrrev_i32_e32 v72, 31, v72
	v_lshlrev_b32_e32 v71, 25, v3
	v_ashrrev_i32_e32 v5, 31, v5
	v_lshlrev_b32_e32 v8, 24, v3
	v_xor_b32_e32 v4, vcc_lo, v4
	v_cmp_gt_i32_e32 vcc_lo, 0, v6
	v_not_b32_e32 v6, v7
	v_xor_b32_e32 v72, s0, v72
	v_cmp_gt_i32_e64 s0, 0, v7
	v_and_b32_e32 v4, exec_lo, v4
	v_not_b32_e32 v7, v9
	v_ashrrev_i32_e32 v6, 31, v6
	v_xor_b32_e32 v5, vcc_lo, v5
	v_cmp_gt_i32_e32 vcc_lo, 0, v9
	v_and_b32_e32 v4, v4, v72
	v_not_b32_e32 v9, v70
	v_ashrrev_i32_e32 v7, 31, v7
	v_xor_b32_e32 v6, s0, v6
	v_cmp_gt_i32_e64 s0, 0, v70
	v_and_b32_e32 v4, v4, v5
	v_not_b32_e32 v5, v71
	v_ashrrev_i32_e32 v9, 31, v9
	v_xor_b32_e32 v7, vcc_lo, v7
	v_cmp_gt_i32_e32 vcc_lo, 0, v71
	v_and_b32_e32 v4, v4, v6
	v_not_b32_e32 v6, v8
	v_ashrrev_i32_e32 v5, 31, v5
	v_xor_b32_e32 v9, s0, v9
	v_mul_u32_u24_e32 v3, 9, v3
	v_and_b32_e32 v4, v4, v7
	v_cmp_gt_i32_e64 s0, 0, v8
	v_ashrrev_i32_e32 v6, 31, v6
	v_xor_b32_e32 v5, vcc_lo, v5
	v_add_lshl_u32 v72, v2, v3, 2
	v_and_b32_e32 v4, v4, v9
	s_delay_alu instid0(VALU_DEP_4) | instskip(SKIP_2) | instid1(VALU_DEP_1)
	v_xor_b32_e32 v3, s0, v6
	ds_load_b32 v70, v72 offset:32
	v_and_b32_e32 v4, v4, v5
	; wave barrier
	v_and_b32_e32 v3, v4, v3
	s_delay_alu instid0(VALU_DEP_1) | instskip(SKIP_1) | instid1(VALU_DEP_2)
	v_mbcnt_lo_u32_b32 v71, v3, 0
	v_cmp_ne_u32_e64 s0, 0, v3
	v_cmp_eq_u32_e32 vcc_lo, 0, v71
	s_delay_alu instid0(VALU_DEP_2) | instskip(NEXT) | instid1(SALU_CYCLE_1)
	s_and_b32 s3, s0, vcc_lo
	s_and_saveexec_b32 s0, s3
	s_cbranch_execz .LBB25_245
; %bb.244:
	s_waitcnt lgkmcnt(0)
	v_bcnt_u32_b32 v3, v3, v70
	ds_store_b32 v72, v3 offset:32
.LBB25_245:
	s_or_b32 exec_lo, exec_lo, s0
	v_and_b32_e32 v3, 0xff, v31
	; wave barrier
	s_delay_alu instid0(VALU_DEP_1) | instskip(NEXT) | instid1(VALU_DEP_1)
	v_lshrrev_b32_e32 v3, s60, v3
	v_and_b32_e32 v3, s1, v3
	s_delay_alu instid0(VALU_DEP_1)
	v_and_b32_e32 v4, 1, v3
	v_lshlrev_b32_e32 v5, 30, v3
	v_lshlrev_b32_e32 v6, 29, v3
	;; [unrolled: 1-line block ×4, first 2 shown]
	v_add_co_u32 v4, s0, v4, -1
	s_delay_alu instid0(VALU_DEP_1)
	v_cndmask_b32_e64 v8, 0, 1, s0
	v_not_b32_e32 v75, v5
	v_cmp_gt_i32_e64 s0, 0, v5
	v_not_b32_e32 v5, v6
	v_lshlrev_b32_e32 v73, 26, v3
	v_cmp_ne_u32_e32 vcc_lo, 0, v8
	v_ashrrev_i32_e32 v75, 31, v75
	v_lshlrev_b32_e32 v74, 25, v3
	v_ashrrev_i32_e32 v5, 31, v5
	v_lshlrev_b32_e32 v8, 24, v3
	v_xor_b32_e32 v4, vcc_lo, v4
	v_cmp_gt_i32_e32 vcc_lo, 0, v6
	v_not_b32_e32 v6, v7
	v_xor_b32_e32 v75, s0, v75
	v_cmp_gt_i32_e64 s0, 0, v7
	v_and_b32_e32 v4, exec_lo, v4
	v_not_b32_e32 v7, v9
	v_ashrrev_i32_e32 v6, 31, v6
	v_xor_b32_e32 v5, vcc_lo, v5
	v_cmp_gt_i32_e32 vcc_lo, 0, v9
	v_and_b32_e32 v4, v4, v75
	v_not_b32_e32 v9, v73
	v_ashrrev_i32_e32 v7, 31, v7
	v_xor_b32_e32 v6, s0, v6
	v_cmp_gt_i32_e64 s0, 0, v73
	v_and_b32_e32 v4, v4, v5
	v_not_b32_e32 v5, v74
	v_ashrrev_i32_e32 v9, 31, v9
	v_xor_b32_e32 v7, vcc_lo, v7
	v_cmp_gt_i32_e32 vcc_lo, 0, v74
	v_and_b32_e32 v4, v4, v6
	v_not_b32_e32 v6, v8
	v_ashrrev_i32_e32 v5, 31, v5
	v_xor_b32_e32 v9, s0, v9
	v_mul_u32_u24_e32 v3, 9, v3
	v_and_b32_e32 v4, v4, v7
	v_cmp_gt_i32_e64 s0, 0, v8
	v_ashrrev_i32_e32 v6, 31, v6
	v_xor_b32_e32 v5, vcc_lo, v5
	v_add_lshl_u32 v75, v2, v3, 2
	v_and_b32_e32 v4, v4, v9
	s_delay_alu instid0(VALU_DEP_4) | instskip(SKIP_2) | instid1(VALU_DEP_1)
	v_xor_b32_e32 v3, s0, v6
	ds_load_b32 v73, v75 offset:32
	v_and_b32_e32 v4, v4, v5
	; wave barrier
	v_and_b32_e32 v3, v4, v3
	s_delay_alu instid0(VALU_DEP_1) | instskip(SKIP_1) | instid1(VALU_DEP_2)
	v_mbcnt_lo_u32_b32 v74, v3, 0
	v_cmp_ne_u32_e64 s0, 0, v3
	v_cmp_eq_u32_e32 vcc_lo, 0, v74
	s_delay_alu instid0(VALU_DEP_2) | instskip(NEXT) | instid1(SALU_CYCLE_1)
	s_and_b32 s3, s0, vcc_lo
	s_and_saveexec_b32 s0, s3
	s_cbranch_execz .LBB25_247
; %bb.246:
	s_waitcnt lgkmcnt(0)
	v_bcnt_u32_b32 v3, v3, v73
	ds_store_b32 v75, v3 offset:32
.LBB25_247:
	s_or_b32 exec_lo, exec_lo, s0
	v_and_b32_e32 v3, 0xff, v32
	; wave barrier
	s_delay_alu instid0(VALU_DEP_1) | instskip(NEXT) | instid1(VALU_DEP_1)
	v_lshrrev_b32_e32 v3, s60, v3
	v_and_b32_e32 v3, s1, v3
	s_delay_alu instid0(VALU_DEP_1)
	v_and_b32_e32 v4, 1, v3
	v_lshlrev_b32_e32 v5, 30, v3
	v_lshlrev_b32_e32 v6, 29, v3
	;; [unrolled: 1-line block ×4, first 2 shown]
	v_add_co_u32 v4, s0, v4, -1
	s_delay_alu instid0(VALU_DEP_1)
	v_cndmask_b32_e64 v8, 0, 1, s0
	v_not_b32_e32 v78, v5
	v_cmp_gt_i32_e64 s0, 0, v5
	v_not_b32_e32 v5, v6
	v_lshlrev_b32_e32 v76, 26, v3
	v_cmp_ne_u32_e32 vcc_lo, 0, v8
	v_ashrrev_i32_e32 v78, 31, v78
	v_lshlrev_b32_e32 v77, 25, v3
	v_ashrrev_i32_e32 v5, 31, v5
	v_lshlrev_b32_e32 v8, 24, v3
	v_xor_b32_e32 v4, vcc_lo, v4
	v_cmp_gt_i32_e32 vcc_lo, 0, v6
	v_not_b32_e32 v6, v7
	v_xor_b32_e32 v78, s0, v78
	v_cmp_gt_i32_e64 s0, 0, v7
	v_and_b32_e32 v4, exec_lo, v4
	v_not_b32_e32 v7, v9
	v_ashrrev_i32_e32 v6, 31, v6
	v_xor_b32_e32 v5, vcc_lo, v5
	v_cmp_gt_i32_e32 vcc_lo, 0, v9
	v_and_b32_e32 v4, v4, v78
	v_not_b32_e32 v9, v76
	v_ashrrev_i32_e32 v7, 31, v7
	v_xor_b32_e32 v6, s0, v6
	v_cmp_gt_i32_e64 s0, 0, v76
	v_and_b32_e32 v4, v4, v5
	v_not_b32_e32 v5, v77
	v_ashrrev_i32_e32 v9, 31, v9
	v_xor_b32_e32 v7, vcc_lo, v7
	v_cmp_gt_i32_e32 vcc_lo, 0, v77
	v_and_b32_e32 v4, v4, v6
	v_not_b32_e32 v6, v8
	v_ashrrev_i32_e32 v5, 31, v5
	v_xor_b32_e32 v9, s0, v9
	v_mul_u32_u24_e32 v3, 9, v3
	v_and_b32_e32 v4, v4, v7
	v_cmp_gt_i32_e64 s0, 0, v8
	v_ashrrev_i32_e32 v6, 31, v6
	v_xor_b32_e32 v5, vcc_lo, v5
	v_add_lshl_u32 v78, v2, v3, 2
	v_and_b32_e32 v4, v4, v9
	s_delay_alu instid0(VALU_DEP_4) | instskip(SKIP_2) | instid1(VALU_DEP_1)
	v_xor_b32_e32 v3, s0, v6
	ds_load_b32 v76, v78 offset:32
	v_and_b32_e32 v4, v4, v5
	; wave barrier
	v_and_b32_e32 v3, v4, v3
	s_delay_alu instid0(VALU_DEP_1) | instskip(SKIP_1) | instid1(VALU_DEP_2)
	v_mbcnt_lo_u32_b32 v77, v3, 0
	v_cmp_ne_u32_e64 s0, 0, v3
	v_cmp_eq_u32_e32 vcc_lo, 0, v77
	s_delay_alu instid0(VALU_DEP_2) | instskip(NEXT) | instid1(SALU_CYCLE_1)
	s_and_b32 s3, s0, vcc_lo
	s_and_saveexec_b32 s0, s3
	s_cbranch_execz .LBB25_249
; %bb.248:
	s_waitcnt lgkmcnt(0)
	v_bcnt_u32_b32 v3, v3, v76
	ds_store_b32 v78, v3 offset:32
.LBB25_249:
	s_or_b32 exec_lo, exec_lo, s0
	v_and_b32_e32 v3, 0xff, v15
	; wave barrier
	s_delay_alu instid0(VALU_DEP_1) | instskip(NEXT) | instid1(VALU_DEP_1)
	v_lshrrev_b32_e32 v3, s60, v3
	v_and_b32_e32 v3, s1, v3
	s_delay_alu instid0(VALU_DEP_1)
	v_and_b32_e32 v4, 1, v3
	v_lshlrev_b32_e32 v5, 30, v3
	v_lshlrev_b32_e32 v6, 29, v3
	;; [unrolled: 1-line block ×4, first 2 shown]
	v_add_co_u32 v4, s0, v4, -1
	s_delay_alu instid0(VALU_DEP_1)
	v_cndmask_b32_e64 v8, 0, 1, s0
	v_not_b32_e32 v81, v5
	v_cmp_gt_i32_e64 s0, 0, v5
	v_not_b32_e32 v5, v6
	v_lshlrev_b32_e32 v79, 26, v3
	v_cmp_ne_u32_e32 vcc_lo, 0, v8
	v_ashrrev_i32_e32 v81, 31, v81
	v_lshlrev_b32_e32 v80, 25, v3
	v_ashrrev_i32_e32 v5, 31, v5
	v_lshlrev_b32_e32 v8, 24, v3
	v_xor_b32_e32 v4, vcc_lo, v4
	v_cmp_gt_i32_e32 vcc_lo, 0, v6
	v_not_b32_e32 v6, v7
	v_xor_b32_e32 v81, s0, v81
	v_cmp_gt_i32_e64 s0, 0, v7
	v_and_b32_e32 v4, exec_lo, v4
	v_not_b32_e32 v7, v9
	v_ashrrev_i32_e32 v6, 31, v6
	v_xor_b32_e32 v5, vcc_lo, v5
	v_cmp_gt_i32_e32 vcc_lo, 0, v9
	v_and_b32_e32 v4, v4, v81
	v_not_b32_e32 v9, v79
	v_ashrrev_i32_e32 v7, 31, v7
	v_xor_b32_e32 v6, s0, v6
	v_cmp_gt_i32_e64 s0, 0, v79
	v_and_b32_e32 v4, v4, v5
	v_not_b32_e32 v5, v80
	v_ashrrev_i32_e32 v9, 31, v9
	v_xor_b32_e32 v7, vcc_lo, v7
	v_cmp_gt_i32_e32 vcc_lo, 0, v80
	v_and_b32_e32 v4, v4, v6
	v_not_b32_e32 v6, v8
	v_ashrrev_i32_e32 v5, 31, v5
	v_xor_b32_e32 v9, s0, v9
	v_mul_u32_u24_e32 v3, 9, v3
	v_and_b32_e32 v4, v4, v7
	v_cmp_gt_i32_e64 s0, 0, v8
	v_ashrrev_i32_e32 v6, 31, v6
	v_xor_b32_e32 v5, vcc_lo, v5
	v_add_lshl_u32 v81, v2, v3, 2
	v_and_b32_e32 v4, v4, v9
	s_delay_alu instid0(VALU_DEP_4) | instskip(SKIP_2) | instid1(VALU_DEP_1)
	v_xor_b32_e32 v3, s0, v6
	ds_load_b32 v79, v81 offset:32
	v_and_b32_e32 v4, v4, v5
	; wave barrier
	v_and_b32_e32 v3, v4, v3
	s_delay_alu instid0(VALU_DEP_1) | instskip(SKIP_1) | instid1(VALU_DEP_2)
	v_mbcnt_lo_u32_b32 v80, v3, 0
	v_cmp_ne_u32_e64 s0, 0, v3
	v_cmp_eq_u32_e32 vcc_lo, 0, v80
	s_delay_alu instid0(VALU_DEP_2) | instskip(NEXT) | instid1(SALU_CYCLE_1)
	s_and_b32 s3, s0, vcc_lo
	s_and_saveexec_b32 s0, s3
	s_cbranch_execz .LBB25_251
; %bb.250:
	s_waitcnt lgkmcnt(0)
	v_bcnt_u32_b32 v3, v3, v79
	ds_store_b32 v81, v3 offset:32
.LBB25_251:
	s_or_b32 exec_lo, exec_lo, s0
	v_and_b32_e32 v3, 0xff, v16
	; wave barrier
	s_delay_alu instid0(VALU_DEP_1) | instskip(NEXT) | instid1(VALU_DEP_1)
	v_lshrrev_b32_e32 v3, s60, v3
	v_and_b32_e32 v3, s1, v3
	s_delay_alu instid0(VALU_DEP_1)
	v_and_b32_e32 v4, 1, v3
	v_lshlrev_b32_e32 v5, 30, v3
	v_lshlrev_b32_e32 v6, 29, v3
	v_lshlrev_b32_e32 v7, 28, v3
	v_lshlrev_b32_e32 v9, 27, v3
	v_add_co_u32 v4, s0, v4, -1
	s_delay_alu instid0(VALU_DEP_1)
	v_cndmask_b32_e64 v8, 0, 1, s0
	v_not_b32_e32 v84, v5
	v_cmp_gt_i32_e64 s0, 0, v5
	v_not_b32_e32 v5, v6
	v_lshlrev_b32_e32 v82, 26, v3
	v_cmp_ne_u32_e32 vcc_lo, 0, v8
	v_ashrrev_i32_e32 v84, 31, v84
	v_lshlrev_b32_e32 v83, 25, v3
	v_ashrrev_i32_e32 v5, 31, v5
	v_lshlrev_b32_e32 v8, 24, v3
	v_xor_b32_e32 v4, vcc_lo, v4
	v_cmp_gt_i32_e32 vcc_lo, 0, v6
	v_not_b32_e32 v6, v7
	v_xor_b32_e32 v84, s0, v84
	v_cmp_gt_i32_e64 s0, 0, v7
	v_and_b32_e32 v4, exec_lo, v4
	v_not_b32_e32 v7, v9
	v_ashrrev_i32_e32 v6, 31, v6
	v_xor_b32_e32 v5, vcc_lo, v5
	v_cmp_gt_i32_e32 vcc_lo, 0, v9
	v_and_b32_e32 v4, v4, v84
	v_not_b32_e32 v9, v82
	v_ashrrev_i32_e32 v7, 31, v7
	v_xor_b32_e32 v6, s0, v6
	v_cmp_gt_i32_e64 s0, 0, v82
	v_and_b32_e32 v4, v4, v5
	v_not_b32_e32 v5, v83
	v_ashrrev_i32_e32 v9, 31, v9
	v_xor_b32_e32 v7, vcc_lo, v7
	v_cmp_gt_i32_e32 vcc_lo, 0, v83
	v_and_b32_e32 v4, v4, v6
	v_not_b32_e32 v6, v8
	v_ashrrev_i32_e32 v5, 31, v5
	v_xor_b32_e32 v9, s0, v9
	v_mul_u32_u24_e32 v3, 9, v3
	v_and_b32_e32 v4, v4, v7
	v_cmp_gt_i32_e64 s0, 0, v8
	v_ashrrev_i32_e32 v6, 31, v6
	v_xor_b32_e32 v5, vcc_lo, v5
	v_add_lshl_u32 v84, v2, v3, 2
	v_and_b32_e32 v4, v4, v9
	s_delay_alu instid0(VALU_DEP_4) | instskip(SKIP_2) | instid1(VALU_DEP_1)
	v_xor_b32_e32 v3, s0, v6
	ds_load_b32 v82, v84 offset:32
	v_and_b32_e32 v4, v4, v5
	; wave barrier
	v_and_b32_e32 v3, v4, v3
	s_delay_alu instid0(VALU_DEP_1) | instskip(SKIP_1) | instid1(VALU_DEP_2)
	v_mbcnt_lo_u32_b32 v83, v3, 0
	v_cmp_ne_u32_e64 s0, 0, v3
	v_cmp_eq_u32_e32 vcc_lo, 0, v83
	s_delay_alu instid0(VALU_DEP_2) | instskip(NEXT) | instid1(SALU_CYCLE_1)
	s_and_b32 s3, s0, vcc_lo
	s_and_saveexec_b32 s0, s3
	s_cbranch_execz .LBB25_253
; %bb.252:
	s_waitcnt lgkmcnt(0)
	v_bcnt_u32_b32 v3, v3, v82
	ds_store_b32 v84, v3 offset:32
.LBB25_253:
	s_or_b32 exec_lo, exec_lo, s0
	v_and_b32_e32 v3, 0xff, v17
	; wave barrier
	s_delay_alu instid0(VALU_DEP_1) | instskip(NEXT) | instid1(VALU_DEP_1)
	v_lshrrev_b32_e32 v3, s60, v3
	v_and_b32_e32 v3, s1, v3
	s_delay_alu instid0(VALU_DEP_1)
	v_and_b32_e32 v4, 1, v3
	v_lshlrev_b32_e32 v5, 30, v3
	v_lshlrev_b32_e32 v6, 29, v3
	;; [unrolled: 1-line block ×4, first 2 shown]
	v_add_co_u32 v4, s0, v4, -1
	s_delay_alu instid0(VALU_DEP_1)
	v_cndmask_b32_e64 v8, 0, 1, s0
	v_not_b32_e32 v87, v5
	v_cmp_gt_i32_e64 s0, 0, v5
	v_not_b32_e32 v5, v6
	v_lshlrev_b32_e32 v85, 26, v3
	v_cmp_ne_u32_e32 vcc_lo, 0, v8
	v_ashrrev_i32_e32 v87, 31, v87
	v_lshlrev_b32_e32 v86, 25, v3
	v_ashrrev_i32_e32 v5, 31, v5
	v_lshlrev_b32_e32 v8, 24, v3
	v_xor_b32_e32 v4, vcc_lo, v4
	v_cmp_gt_i32_e32 vcc_lo, 0, v6
	v_not_b32_e32 v6, v7
	v_xor_b32_e32 v87, s0, v87
	v_cmp_gt_i32_e64 s0, 0, v7
	v_and_b32_e32 v4, exec_lo, v4
	v_not_b32_e32 v7, v9
	v_ashrrev_i32_e32 v6, 31, v6
	v_xor_b32_e32 v5, vcc_lo, v5
	v_cmp_gt_i32_e32 vcc_lo, 0, v9
	v_and_b32_e32 v4, v4, v87
	v_not_b32_e32 v9, v85
	v_ashrrev_i32_e32 v7, 31, v7
	v_xor_b32_e32 v6, s0, v6
	v_cmp_gt_i32_e64 s0, 0, v85
	v_and_b32_e32 v4, v4, v5
	v_not_b32_e32 v5, v86
	v_ashrrev_i32_e32 v9, 31, v9
	v_xor_b32_e32 v7, vcc_lo, v7
	v_cmp_gt_i32_e32 vcc_lo, 0, v86
	v_and_b32_e32 v4, v4, v6
	v_not_b32_e32 v6, v8
	v_ashrrev_i32_e32 v5, 31, v5
	v_xor_b32_e32 v9, s0, v9
	v_mul_u32_u24_e32 v3, 9, v3
	v_and_b32_e32 v4, v4, v7
	v_cmp_gt_i32_e64 s0, 0, v8
	v_ashrrev_i32_e32 v6, 31, v6
	v_xor_b32_e32 v5, vcc_lo, v5
	v_add_lshl_u32 v87, v2, v3, 2
	v_and_b32_e32 v4, v4, v9
	s_delay_alu instid0(VALU_DEP_4) | instskip(SKIP_2) | instid1(VALU_DEP_1)
	v_xor_b32_e32 v3, s0, v6
	ds_load_b32 v85, v87 offset:32
	v_and_b32_e32 v4, v4, v5
	; wave barrier
	v_and_b32_e32 v3, v4, v3
	s_delay_alu instid0(VALU_DEP_1) | instskip(SKIP_1) | instid1(VALU_DEP_2)
	v_mbcnt_lo_u32_b32 v86, v3, 0
	v_cmp_ne_u32_e64 s0, 0, v3
	v_cmp_eq_u32_e32 vcc_lo, 0, v86
	s_delay_alu instid0(VALU_DEP_2) | instskip(NEXT) | instid1(SALU_CYCLE_1)
	s_and_b32 s3, s0, vcc_lo
	s_and_saveexec_b32 s0, s3
	s_cbranch_execz .LBB25_255
; %bb.254:
	s_waitcnt lgkmcnt(0)
	v_bcnt_u32_b32 v3, v3, v85
	ds_store_b32 v87, v3 offset:32
.LBB25_255:
	s_or_b32 exec_lo, exec_lo, s0
	v_and_b32_e32 v3, 0xff, v18
	; wave barrier
	s_delay_alu instid0(VALU_DEP_1) | instskip(NEXT) | instid1(VALU_DEP_1)
	v_lshrrev_b32_e32 v3, s60, v3
	v_and_b32_e32 v3, s1, v3
	s_delay_alu instid0(VALU_DEP_1)
	v_and_b32_e32 v4, 1, v3
	v_lshlrev_b32_e32 v5, 30, v3
	v_lshlrev_b32_e32 v6, 29, v3
	;; [unrolled: 1-line block ×4, first 2 shown]
	v_add_co_u32 v4, s0, v4, -1
	s_delay_alu instid0(VALU_DEP_1)
	v_cndmask_b32_e64 v8, 0, 1, s0
	v_not_b32_e32 v90, v5
	v_cmp_gt_i32_e64 s0, 0, v5
	v_not_b32_e32 v5, v6
	v_lshlrev_b32_e32 v88, 26, v3
	v_cmp_ne_u32_e32 vcc_lo, 0, v8
	v_ashrrev_i32_e32 v90, 31, v90
	v_lshlrev_b32_e32 v89, 25, v3
	v_ashrrev_i32_e32 v5, 31, v5
	v_lshlrev_b32_e32 v8, 24, v3
	v_xor_b32_e32 v4, vcc_lo, v4
	v_cmp_gt_i32_e32 vcc_lo, 0, v6
	v_not_b32_e32 v6, v7
	v_xor_b32_e32 v90, s0, v90
	v_cmp_gt_i32_e64 s0, 0, v7
	v_and_b32_e32 v4, exec_lo, v4
	v_not_b32_e32 v7, v9
	v_ashrrev_i32_e32 v6, 31, v6
	v_xor_b32_e32 v5, vcc_lo, v5
	v_cmp_gt_i32_e32 vcc_lo, 0, v9
	v_and_b32_e32 v4, v4, v90
	v_not_b32_e32 v9, v88
	v_ashrrev_i32_e32 v7, 31, v7
	v_xor_b32_e32 v6, s0, v6
	v_cmp_gt_i32_e64 s0, 0, v88
	v_and_b32_e32 v4, v4, v5
	v_not_b32_e32 v5, v89
	v_ashrrev_i32_e32 v9, 31, v9
	v_xor_b32_e32 v7, vcc_lo, v7
	v_cmp_gt_i32_e32 vcc_lo, 0, v89
	v_and_b32_e32 v4, v4, v6
	v_not_b32_e32 v6, v8
	v_ashrrev_i32_e32 v5, 31, v5
	v_xor_b32_e32 v9, s0, v9
	v_mul_u32_u24_e32 v3, 9, v3
	v_and_b32_e32 v4, v4, v7
	v_cmp_gt_i32_e64 s0, 0, v8
	v_ashrrev_i32_e32 v6, 31, v6
	v_xor_b32_e32 v5, vcc_lo, v5
	v_add_lshl_u32 v90, v2, v3, 2
	v_and_b32_e32 v4, v4, v9
	s_delay_alu instid0(VALU_DEP_4) | instskip(SKIP_2) | instid1(VALU_DEP_1)
	v_xor_b32_e32 v3, s0, v6
	ds_load_b32 v88, v90 offset:32
	v_and_b32_e32 v4, v4, v5
	; wave barrier
	v_and_b32_e32 v3, v4, v3
	s_delay_alu instid0(VALU_DEP_1) | instskip(SKIP_1) | instid1(VALU_DEP_2)
	v_mbcnt_lo_u32_b32 v89, v3, 0
	v_cmp_ne_u32_e64 s0, 0, v3
	v_cmp_eq_u32_e32 vcc_lo, 0, v89
	s_delay_alu instid0(VALU_DEP_2) | instskip(NEXT) | instid1(SALU_CYCLE_1)
	s_and_b32 s3, s0, vcc_lo
	s_and_saveexec_b32 s0, s3
	s_cbranch_execz .LBB25_257
; %bb.256:
	s_waitcnt lgkmcnt(0)
	v_bcnt_u32_b32 v3, v3, v88
	ds_store_b32 v90, v3 offset:32
.LBB25_257:
	s_or_b32 exec_lo, exec_lo, s0
	v_and_b32_e32 v3, 0xff, v12
	; wave barrier
	s_delay_alu instid0(VALU_DEP_1) | instskip(NEXT) | instid1(VALU_DEP_1)
	v_lshrrev_b32_e32 v3, s60, v3
	v_and_b32_e32 v3, s1, v3
	s_delay_alu instid0(VALU_DEP_1)
	v_and_b32_e32 v4, 1, v3
	v_lshlrev_b32_e32 v5, 30, v3
	v_lshlrev_b32_e32 v6, 29, v3
	;; [unrolled: 1-line block ×4, first 2 shown]
	v_add_co_u32 v4, s0, v4, -1
	s_delay_alu instid0(VALU_DEP_1)
	v_cndmask_b32_e64 v8, 0, 1, s0
	v_not_b32_e32 v93, v5
	v_cmp_gt_i32_e64 s0, 0, v5
	v_not_b32_e32 v5, v6
	v_lshlrev_b32_e32 v91, 26, v3
	v_cmp_ne_u32_e32 vcc_lo, 0, v8
	v_ashrrev_i32_e32 v93, 31, v93
	v_lshlrev_b32_e32 v92, 25, v3
	v_ashrrev_i32_e32 v5, 31, v5
	v_lshlrev_b32_e32 v8, 24, v3
	v_xor_b32_e32 v4, vcc_lo, v4
	v_cmp_gt_i32_e32 vcc_lo, 0, v6
	v_not_b32_e32 v6, v7
	v_xor_b32_e32 v93, s0, v93
	v_cmp_gt_i32_e64 s0, 0, v7
	v_and_b32_e32 v4, exec_lo, v4
	v_not_b32_e32 v7, v9
	v_ashrrev_i32_e32 v6, 31, v6
	v_xor_b32_e32 v5, vcc_lo, v5
	v_cmp_gt_i32_e32 vcc_lo, 0, v9
	v_and_b32_e32 v4, v4, v93
	v_not_b32_e32 v9, v91
	v_ashrrev_i32_e32 v7, 31, v7
	v_xor_b32_e32 v6, s0, v6
	v_cmp_gt_i32_e64 s0, 0, v91
	v_and_b32_e32 v4, v4, v5
	v_not_b32_e32 v5, v92
	v_ashrrev_i32_e32 v9, 31, v9
	v_xor_b32_e32 v7, vcc_lo, v7
	v_cmp_gt_i32_e32 vcc_lo, 0, v92
	v_and_b32_e32 v4, v4, v6
	v_not_b32_e32 v6, v8
	v_ashrrev_i32_e32 v5, 31, v5
	v_xor_b32_e32 v9, s0, v9
	v_mul_u32_u24_e32 v3, 9, v3
	v_and_b32_e32 v4, v4, v7
	v_cmp_gt_i32_e64 s0, 0, v8
	v_ashrrev_i32_e32 v6, 31, v6
	v_xor_b32_e32 v5, vcc_lo, v5
	v_add_lshl_u32 v93, v2, v3, 2
	v_and_b32_e32 v4, v4, v9
	s_delay_alu instid0(VALU_DEP_4) | instskip(SKIP_2) | instid1(VALU_DEP_1)
	v_xor_b32_e32 v3, s0, v6
	ds_load_b32 v91, v93 offset:32
	v_and_b32_e32 v4, v4, v5
	; wave barrier
	v_and_b32_e32 v3, v4, v3
	s_delay_alu instid0(VALU_DEP_1) | instskip(SKIP_1) | instid1(VALU_DEP_2)
	v_mbcnt_lo_u32_b32 v92, v3, 0
	v_cmp_ne_u32_e64 s0, 0, v3
	v_cmp_eq_u32_e32 vcc_lo, 0, v92
	s_delay_alu instid0(VALU_DEP_2) | instskip(NEXT) | instid1(SALU_CYCLE_1)
	s_and_b32 s3, s0, vcc_lo
	s_and_saveexec_b32 s0, s3
	s_cbranch_execz .LBB25_259
; %bb.258:
	s_waitcnt lgkmcnt(0)
	v_bcnt_u32_b32 v3, v3, v91
	ds_store_b32 v93, v3 offset:32
.LBB25_259:
	s_or_b32 exec_lo, exec_lo, s0
	v_and_b32_e32 v3, 0xff, v13
	; wave barrier
	s_delay_alu instid0(VALU_DEP_1) | instskip(NEXT) | instid1(VALU_DEP_1)
	v_lshrrev_b32_e32 v3, s60, v3
	v_and_b32_e32 v3, s1, v3
	s_delay_alu instid0(VALU_DEP_1)
	v_and_b32_e32 v4, 1, v3
	v_lshlrev_b32_e32 v5, 30, v3
	v_lshlrev_b32_e32 v6, 29, v3
	;; [unrolled: 1-line block ×4, first 2 shown]
	v_add_co_u32 v4, s0, v4, -1
	s_delay_alu instid0(VALU_DEP_1)
	v_cndmask_b32_e64 v8, 0, 1, s0
	v_not_b32_e32 v96, v5
	v_cmp_gt_i32_e64 s0, 0, v5
	v_not_b32_e32 v5, v6
	v_lshlrev_b32_e32 v94, 26, v3
	v_cmp_ne_u32_e32 vcc_lo, 0, v8
	v_ashrrev_i32_e32 v96, 31, v96
	v_lshlrev_b32_e32 v95, 25, v3
	v_ashrrev_i32_e32 v5, 31, v5
	v_lshlrev_b32_e32 v8, 24, v3
	v_xor_b32_e32 v4, vcc_lo, v4
	v_cmp_gt_i32_e32 vcc_lo, 0, v6
	v_not_b32_e32 v6, v7
	v_xor_b32_e32 v96, s0, v96
	v_cmp_gt_i32_e64 s0, 0, v7
	v_and_b32_e32 v4, exec_lo, v4
	v_not_b32_e32 v7, v9
	v_ashrrev_i32_e32 v6, 31, v6
	v_xor_b32_e32 v5, vcc_lo, v5
	v_cmp_gt_i32_e32 vcc_lo, 0, v9
	v_and_b32_e32 v4, v4, v96
	v_not_b32_e32 v9, v94
	v_ashrrev_i32_e32 v7, 31, v7
	v_xor_b32_e32 v6, s0, v6
	v_cmp_gt_i32_e64 s0, 0, v94
	v_and_b32_e32 v4, v4, v5
	v_not_b32_e32 v5, v95
	v_ashrrev_i32_e32 v9, 31, v9
	v_xor_b32_e32 v7, vcc_lo, v7
	v_cmp_gt_i32_e32 vcc_lo, 0, v95
	v_and_b32_e32 v4, v4, v6
	v_not_b32_e32 v6, v8
	v_ashrrev_i32_e32 v5, 31, v5
	v_xor_b32_e32 v9, s0, v9
	v_mul_u32_u24_e32 v3, 9, v3
	v_and_b32_e32 v4, v4, v7
	v_cmp_gt_i32_e64 s0, 0, v8
	v_ashrrev_i32_e32 v6, 31, v6
	v_xor_b32_e32 v5, vcc_lo, v5
	v_add_lshl_u32 v96, v2, v3, 2
	v_and_b32_e32 v4, v4, v9
	s_delay_alu instid0(VALU_DEP_4) | instskip(SKIP_2) | instid1(VALU_DEP_1)
	v_xor_b32_e32 v3, s0, v6
	ds_load_b32 v94, v96 offset:32
	v_and_b32_e32 v4, v4, v5
	; wave barrier
	v_and_b32_e32 v3, v4, v3
	s_delay_alu instid0(VALU_DEP_1) | instskip(SKIP_1) | instid1(VALU_DEP_2)
	v_mbcnt_lo_u32_b32 v95, v3, 0
	v_cmp_ne_u32_e64 s0, 0, v3
	v_cmp_eq_u32_e32 vcc_lo, 0, v95
	s_delay_alu instid0(VALU_DEP_2) | instskip(NEXT) | instid1(SALU_CYCLE_1)
	s_and_b32 s3, s0, vcc_lo
	s_and_saveexec_b32 s0, s3
	s_cbranch_execz .LBB25_261
; %bb.260:
	s_waitcnt lgkmcnt(0)
	v_bcnt_u32_b32 v3, v3, v94
	ds_store_b32 v96, v3 offset:32
.LBB25_261:
	s_or_b32 exec_lo, exec_lo, s0
	v_and_b32_e32 v3, 0xff, v14
	; wave barrier
	v_add_nc_u32_e32 v100, 32, v34
	s_delay_alu instid0(VALU_DEP_2) | instskip(NEXT) | instid1(VALU_DEP_1)
	v_lshrrev_b32_e32 v3, s60, v3
	v_and_b32_e32 v3, s1, v3
	s_delay_alu instid0(VALU_DEP_1)
	v_and_b32_e32 v4, 1, v3
	v_lshlrev_b32_e32 v5, 30, v3
	v_lshlrev_b32_e32 v6, 29, v3
	;; [unrolled: 1-line block ×4, first 2 shown]
	v_add_co_u32 v4, s0, v4, -1
	s_delay_alu instid0(VALU_DEP_1)
	v_cndmask_b32_e64 v8, 0, 1, s0
	v_not_b32_e32 v99, v5
	v_cmp_gt_i32_e64 s0, 0, v5
	v_not_b32_e32 v5, v6
	v_lshlrev_b32_e32 v97, 26, v3
	v_cmp_ne_u32_e32 vcc_lo, 0, v8
	v_ashrrev_i32_e32 v99, 31, v99
	v_lshlrev_b32_e32 v98, 25, v3
	v_ashrrev_i32_e32 v5, 31, v5
	v_lshlrev_b32_e32 v8, 24, v3
	v_xor_b32_e32 v4, vcc_lo, v4
	v_cmp_gt_i32_e32 vcc_lo, 0, v6
	v_not_b32_e32 v6, v7
	v_xor_b32_e32 v99, s0, v99
	v_cmp_gt_i32_e64 s0, 0, v7
	v_and_b32_e32 v4, exec_lo, v4
	v_not_b32_e32 v7, v9
	v_ashrrev_i32_e32 v6, 31, v6
	v_xor_b32_e32 v5, vcc_lo, v5
	v_cmp_gt_i32_e32 vcc_lo, 0, v9
	v_and_b32_e32 v4, v4, v99
	v_not_b32_e32 v9, v97
	v_ashrrev_i32_e32 v7, 31, v7
	v_xor_b32_e32 v6, s0, v6
	v_cmp_gt_i32_e64 s0, 0, v97
	v_and_b32_e32 v4, v4, v5
	v_not_b32_e32 v5, v98
	v_ashrrev_i32_e32 v9, 31, v9
	v_xor_b32_e32 v7, vcc_lo, v7
	v_cmp_gt_i32_e32 vcc_lo, 0, v98
	v_and_b32_e32 v4, v4, v6
	v_not_b32_e32 v6, v8
	v_ashrrev_i32_e32 v5, 31, v5
	v_xor_b32_e32 v9, s0, v9
	v_mul_u32_u24_e32 v3, 9, v3
	v_and_b32_e32 v4, v4, v7
	v_cmp_gt_i32_e64 s0, 0, v8
	v_ashrrev_i32_e32 v6, 31, v6
	v_xor_b32_e32 v5, vcc_lo, v5
	v_add_lshl_u32 v99, v2, v3, 2
	v_and_b32_e32 v4, v4, v9
	s_delay_alu instid0(VALU_DEP_4) | instskip(SKIP_2) | instid1(VALU_DEP_1)
	v_xor_b32_e32 v2, s0, v6
	ds_load_b32 v97, v99 offset:32
	v_and_b32_e32 v3, v4, v5
	; wave barrier
	v_and_b32_e32 v2, v3, v2
	s_delay_alu instid0(VALU_DEP_1) | instskip(SKIP_1) | instid1(VALU_DEP_2)
	v_mbcnt_lo_u32_b32 v98, v2, 0
	v_cmp_ne_u32_e64 s0, 0, v2
	v_cmp_eq_u32_e32 vcc_lo, 0, v98
	s_delay_alu instid0(VALU_DEP_2) | instskip(NEXT) | instid1(SALU_CYCLE_1)
	s_and_b32 s3, s0, vcc_lo
	s_and_saveexec_b32 s0, s3
	s_cbranch_execz .LBB25_263
; %bb.262:
	s_waitcnt lgkmcnt(0)
	v_bcnt_u32_b32 v2, v2, v97
	ds_store_b32 v99, v2 offset:32
.LBB25_263:
	s_or_b32 exec_lo, exec_lo, s0
	; wave barrier
	s_waitcnt lgkmcnt(0)
	s_barrier
	buffer_gl0_inv
	ds_load_2addr_b32 v[8:9], v34 offset0:8 offset1:9
	ds_load_2addr_b32 v[6:7], v100 offset0:2 offset1:3
	;; [unrolled: 1-line block ×4, first 2 shown]
	ds_load_b32 v101, v100 offset:32
	v_min_u32_e32 v33, 0xe0, v33
	s_mov_b32 s0, exec_lo
	s_delay_alu instid0(VALU_DEP_1) | instskip(SKIP_3) | instid1(VALU_DEP_1)
	v_or_b32_e32 v104, 31, v33
	s_waitcnt lgkmcnt(3)
	v_add3_u32 v102, v9, v8, v6
	s_waitcnt lgkmcnt(2)
	v_add3_u32 v102, v102, v7, v4
	s_waitcnt lgkmcnt(1)
	s_delay_alu instid0(VALU_DEP_1) | instskip(SKIP_1) | instid1(VALU_DEP_1)
	v_add3_u32 v102, v102, v5, v2
	s_waitcnt lgkmcnt(0)
	v_add3_u32 v101, v102, v3, v101
	v_and_b32_e32 v102, 15, v51
	s_delay_alu instid0(VALU_DEP_2) | instskip(NEXT) | instid1(VALU_DEP_2)
	v_mov_b32_dpp v103, v101 row_shr:1 row_mask:0xf bank_mask:0xf
	v_cmp_ne_u32_e32 vcc_lo, 0, v102
	s_delay_alu instid0(VALU_DEP_2) | instskip(SKIP_1) | instid1(VALU_DEP_2)
	v_cndmask_b32_e32 v103, 0, v103, vcc_lo
	v_cmp_lt_u32_e32 vcc_lo, 1, v102
	v_add_nc_u32_e32 v101, v103, v101
	s_delay_alu instid0(VALU_DEP_1) | instskip(NEXT) | instid1(VALU_DEP_1)
	v_mov_b32_dpp v103, v101 row_shr:2 row_mask:0xf bank_mask:0xf
	v_cndmask_b32_e32 v103, 0, v103, vcc_lo
	v_cmp_lt_u32_e32 vcc_lo, 3, v102
	s_delay_alu instid0(VALU_DEP_2) | instskip(NEXT) | instid1(VALU_DEP_1)
	v_add_nc_u32_e32 v101, v101, v103
	v_mov_b32_dpp v103, v101 row_shr:4 row_mask:0xf bank_mask:0xf
	s_delay_alu instid0(VALU_DEP_1) | instskip(SKIP_1) | instid1(VALU_DEP_2)
	v_cndmask_b32_e32 v103, 0, v103, vcc_lo
	v_cmp_lt_u32_e32 vcc_lo, 7, v102
	v_add_nc_u32_e32 v101, v101, v103
	s_delay_alu instid0(VALU_DEP_1) | instskip(NEXT) | instid1(VALU_DEP_1)
	v_mov_b32_dpp v103, v101 row_shr:8 row_mask:0xf bank_mask:0xf
	v_cndmask_b32_e32 v102, 0, v103, vcc_lo
	v_bfe_i32 v103, v51, 4, 1
	s_delay_alu instid0(VALU_DEP_2) | instskip(SKIP_4) | instid1(VALU_DEP_2)
	v_add_nc_u32_e32 v102, v101, v102
	ds_swizzle_b32 v101, v102 offset:swizzle(BROADCAST,32,15)
	s_waitcnt lgkmcnt(0)
	v_and_b32_e32 v103, v103, v101
	v_lshrrev_b32_e32 v101, 5, v1
	v_add_nc_u32_e32 v33, v102, v103
	v_cmpx_eq_u32_e64 v104, v1
	s_cbranch_execz .LBB25_265
; %bb.264:
	s_delay_alu instid0(VALU_DEP_3)
	v_lshlrev_b32_e32 v102, 2, v101
	ds_store_b32 v102, v33
.LBB25_265:
	s_or_b32 exec_lo, exec_lo, s0
	s_delay_alu instid0(SALU_CYCLE_1)
	s_mov_b32 s0, exec_lo
	s_waitcnt lgkmcnt(0)
	s_barrier
	buffer_gl0_inv
	v_cmpx_gt_u32_e32 8, v1
	s_cbranch_execz .LBB25_267
; %bb.266:
	v_lshlrev_b32_e32 v102, 2, v1
	ds_load_b32 v103, v102
	s_waitcnt lgkmcnt(0)
	v_mov_b32_dpp v105, v103 row_shr:1 row_mask:0xf bank_mask:0xf
	v_and_b32_e32 v104, 7, v51
	s_delay_alu instid0(VALU_DEP_1) | instskip(NEXT) | instid1(VALU_DEP_3)
	v_cmp_ne_u32_e32 vcc_lo, 0, v104
	v_cndmask_b32_e32 v105, 0, v105, vcc_lo
	v_cmp_lt_u32_e32 vcc_lo, 1, v104
	s_delay_alu instid0(VALU_DEP_2) | instskip(NEXT) | instid1(VALU_DEP_1)
	v_add_nc_u32_e32 v103, v105, v103
	v_mov_b32_dpp v105, v103 row_shr:2 row_mask:0xf bank_mask:0xf
	s_delay_alu instid0(VALU_DEP_1) | instskip(SKIP_1) | instid1(VALU_DEP_2)
	v_cndmask_b32_e32 v105, 0, v105, vcc_lo
	v_cmp_lt_u32_e32 vcc_lo, 3, v104
	v_add_nc_u32_e32 v103, v103, v105
	s_delay_alu instid0(VALU_DEP_1) | instskip(NEXT) | instid1(VALU_DEP_1)
	v_mov_b32_dpp v105, v103 row_shr:4 row_mask:0xf bank_mask:0xf
	v_cndmask_b32_e32 v104, 0, v105, vcc_lo
	s_delay_alu instid0(VALU_DEP_1)
	v_add_nc_u32_e32 v103, v103, v104
	ds_store_b32 v102, v103
.LBB25_267:
	s_or_b32 exec_lo, exec_lo, s0
	v_mov_b32_e32 v102, 0
	s_mov_b32 s0, exec_lo
	s_waitcnt lgkmcnt(0)
	s_barrier
	buffer_gl0_inv
	v_cmpx_lt_u32_e32 31, v1
	s_cbranch_execz .LBB25_269
; %bb.268:
	v_lshl_add_u32 v101, v101, 2, -4
	ds_load_b32 v102, v101
.LBB25_269:
	s_or_b32 exec_lo, exec_lo, s0
	v_add_nc_u32_e32 v101, -1, v51
	s_waitcnt lgkmcnt(0)
	v_add_nc_u32_e32 v33, v102, v33
	s_mov_b32 s0, 0
	s_mov_b32 s3, exec_lo
	v_cmp_gt_i32_e32 vcc_lo, 0, v101
	v_cndmask_b32_e32 v101, v101, v51, vcc_lo
	v_cmp_eq_u32_e32 vcc_lo, 0, v51
	s_delay_alu instid0(VALU_DEP_2) | instskip(SKIP_4) | instid1(VALU_DEP_2)
	v_lshlrev_b32_e32 v101, 2, v101
	ds_bpermute_b32 v33, v101, v33
	s_waitcnt lgkmcnt(0)
	v_cndmask_b32_e32 v33, v33, v102, vcc_lo
	v_cmp_ne_u32_e32 vcc_lo, 0, v1
	v_cndmask_b32_e32 v33, 0, v33, vcc_lo
	s_delay_alu instid0(VALU_DEP_1) | instskip(NEXT) | instid1(VALU_DEP_1)
	v_add_nc_u32_e32 v8, v33, v8
	v_add_nc_u32_e32 v9, v8, v9
	s_delay_alu instid0(VALU_DEP_1) | instskip(NEXT) | instid1(VALU_DEP_1)
	v_add_nc_u32_e32 v6, v9, v6
	v_add_nc_u32_e32 v7, v6, v7
	;; [unrolled: 3-line block ×4, first 2 shown]
	ds_store_2addr_b32 v34, v33, v8 offset0:8 offset1:9
	ds_store_2addr_b32 v100, v9, v6 offset0:2 offset1:3
	;; [unrolled: 1-line block ×4, first 2 shown]
	ds_store_b32 v100, v3 offset:32
	s_waitcnt lgkmcnt(0)
	s_barrier
	buffer_gl0_inv
	ds_load_b32 v4, v38 offset:32
	ds_load_b32 v5, v41 offset:32
	ds_load_b32 v6, v44 offset:32
	ds_load_b32 v7, v47 offset:32
	ds_load_b32 v8, v50 offset:32
	ds_load_b32 v9, v54 offset:32
	ds_load_b32 v33, v57 offset:32
	ds_load_b32 v38, v60 offset:32
	ds_load_b32 v41, v63 offset:32
	ds_load_b32 v66, v66 offset:32
	ds_load_b32 v69, v69 offset:32
	ds_load_b32 v72, v72 offset:32
	ds_load_b32 v75, v75 offset:32
	ds_load_b32 v78, v78 offset:32
	ds_load_b32 v81, v81 offset:32
	ds_load_b32 v84, v84 offset:32
	ds_load_b32 v87, v87 offset:32
	ds_load_b32 v90, v90 offset:32
	ds_load_b32 v93, v93 offset:32
	ds_load_b32 v96, v96 offset:32
	ds_load_b32 v99, v99 offset:32
	ds_load_b32 v35, v35 offset:32
	ds_load_b32 v3, v34 offset:32
	v_add_nc_u32_e32 v34, 1, v1
	v_mov_b32_e32 v2, 0x1600
	s_delay_alu instid0(VALU_DEP_2)
	v_cmpx_ne_u32_e32 0x100, v34
	s_cbranch_execz .LBB25_271
; %bb.270:
	v_mul_u32_u24_e32 v2, 9, v34
	s_delay_alu instid0(VALU_DEP_1)
	v_lshlrev_b32_e32 v2, 2, v2
	ds_load_b32 v2, v2 offset:32
.LBB25_271:
	s_or_b32 exec_lo, exec_lo, s3
	s_waitcnt lgkmcnt(22)
	v_add3_u32 v60, v37, v36, v4
	s_waitcnt lgkmcnt(21)
	v_add3_u32 v57, v40, v39, v5
	v_lshl_add_u32 v4, s15, 8, v1
	v_mov_b32_e32 v5, 0
	s_waitcnt lgkmcnt(20)
	v_add3_u32 v54, v43, v42, v6
	s_waitcnt lgkmcnt(19)
	v_add3_u32 v50, v46, v45, v7
	;; [unrolled: 2-line block ×3, first 2 shown]
	s_waitcnt lgkmcnt(0)
	v_sub_nc_u32_e32 v52, v2, v3
	v_lshlrev_b64 v[6:7], 2, v[4:5]
	v_dual_mov_b32 v2, 0 :: v_dual_add_nc_u32 v63, v35, v0
	v_add3_u32 v48, v49, v48, v8
	v_add3_u32 v46, v56, v55, v33
	;; [unrolled: 1-line block ×3, first 2 shown]
	v_add_co_u32 v6, vcc_lo, s66, v6
	v_add3_u32 v44, v62, v61, v41
	v_add3_u32 v43, v65, v64, v66
	;; [unrolled: 1-line block ×13, first 2 shown]
	v_add_co_ci_u32_e32 v7, vcc_lo, s67, v7, vcc_lo
	v_or_b32_e32 v4, 2.0, v52
	s_barrier
	buffer_gl0_inv
	ds_store_b8 v63, v11 offset:2048
	ds_store_b8 v60, v19 offset:2048
	;; [unrolled: 1-line block ×22, first 2 shown]
	s_waitcnt lgkmcnt(0)
	s_barrier
	buffer_gl0_inv
	global_store_b32 v[6:7], v4, off
                                        ; implicit-def: $sgpr3
	s_branch .LBB25_274
	.p2align	6
.LBB25_272:                             ;   in Loop: Header=BB25_274 Depth=1
	s_or_b32 exec_lo, exec_lo, s4
.LBB25_273:                             ;   in Loop: Header=BB25_274 Depth=1
	s_delay_alu instid0(SALU_CYCLE_1) | instskip(SKIP_2) | instid1(VALU_DEP_2)
	s_or_b32 exec_lo, exec_lo, s3
	v_and_b32_e32 v8, 0x3fffffff, v11
	v_cmp_eq_u32_e64 s3, 0x80000000, v4
	v_add_nc_u32_e32 v2, v8, v2
	s_delay_alu instid0(VALU_DEP_2) | instskip(NEXT) | instid1(SALU_CYCLE_1)
	s_and_b32 s4, exec_lo, s3
	s_or_b32 s0, s4, s0
	s_delay_alu instid0(SALU_CYCLE_1)
	s_and_not1_b32 exec_lo, exec_lo, s0
	s_cbranch_execz .LBB25_279
.LBB25_274:                             ; =>This Loop Header: Depth=1
                                        ;     Child Loop BB25_277 Depth 2
	s_or_b32 s3, s3, exec_lo
	s_cmp_eq_u32 s63, 0
	s_cbranch_scc1 .LBB25_278
; %bb.275:                              ;   in Loop: Header=BB25_274 Depth=1
	s_add_i32 s63, s63, -1
	s_mov_b32 s3, exec_lo
	v_lshl_add_u32 v4, s63, 8, v1
	s_delay_alu instid0(VALU_DEP_1) | instskip(NEXT) | instid1(VALU_DEP_1)
	v_lshlrev_b64 v[8:9], 2, v[4:5]
	v_add_co_u32 v8, vcc_lo, s66, v8
	s_delay_alu instid0(VALU_DEP_2) | instskip(SKIP_3) | instid1(VALU_DEP_1)
	v_add_co_ci_u32_e32 v9, vcc_lo, s67, v9, vcc_lo
	global_load_b32 v11, v[8:9], off glc
	s_waitcnt vmcnt(0)
	v_and_b32_e32 v4, -2.0, v11
	v_cmpx_eq_u32_e32 0, v4
	s_cbranch_execz .LBB25_273
; %bb.276:                              ;   in Loop: Header=BB25_274 Depth=1
	s_mov_b32 s4, 0
.LBB25_277:                             ;   Parent Loop BB25_274 Depth=1
                                        ; =>  This Inner Loop Header: Depth=2
	global_load_b32 v11, v[8:9], off glc
	s_waitcnt vmcnt(0)
	v_and_b32_e32 v4, -2.0, v11
	s_delay_alu instid0(VALU_DEP_1) | instskip(SKIP_1) | instid1(SALU_CYCLE_1)
	v_cmp_ne_u32_e32 vcc_lo, 0, v4
	s_or_b32 s4, vcc_lo, s4
	s_and_not1_b32 exec_lo, exec_lo, s4
	s_cbranch_execnz .LBB25_277
	s_branch .LBB25_272
.LBB25_278:                             ;   in Loop: Header=BB25_274 Depth=1
                                        ; implicit-def: $sgpr63
	s_and_b32 s4, exec_lo, s3
	s_delay_alu instid0(SALU_CYCLE_1) | instskip(NEXT) | instid1(SALU_CYCLE_1)
	s_or_b32 s0, s4, s0
	s_and_not1_b32 exec_lo, exec_lo, s0
	s_cbranch_execnz .LBB25_274
.LBB25_279:
	s_or_b32 exec_lo, exec_lo, s0
	v_add_nc_u32_e32 v4, v2, v52
	v_lshlrev_b32_e32 v53, 3, v1
	v_lshlrev_b32_e32 v13, 3, v51
	v_sub_co_u32 v2, s0, v2, v3
	s_delay_alu instid0(VALU_DEP_4)
	v_or_b32_e32 v4, 0x80000000, v4
	s_lshl_b64 s[4:5], s[64:65], 3
	v_lshlrev_b32_e32 v14, 3, v10
	v_or_b32_e32 v5, 0x1000, v1
	v_add_nc_u32_e32 v8, 0x1300, v1
	global_store_b32 v[6:7], v4, off
	global_load_b64 v[11:12], v53, s[56:57]
	v_sub_co_ci_u32_e64 v4, null, 0, 0, s0
	s_add_u32 s0, s52, s4
	s_addc_u32 s3, s53, s5
	v_add_co_u32 v13, s0, s0, v13
	s_delay_alu instid0(VALU_DEP_1) | instskip(SKIP_1) | instid1(VALU_DEP_3)
	v_add_co_ci_u32_e64 v15, null, s3, 0, s0
	v_add_nc_u32_e32 v6, 0x1100, v1
	v_add_co_u32 v55, vcc_lo, v13, v14
	s_delay_alu instid0(VALU_DEP_3)
	v_add_co_ci_u32_e32 v56, vcc_lo, 0, v15, vcc_lo
	v_add_nc_u32_e32 v7, 0x1200, v1
	v_or_b32_e32 v9, 0x1400, v1
	v_add_nc_u32_e32 v10, 0x1500, v1
	v_lshlrev_b32_e32 v54, 3, v54
	v_lshlrev_b32_e32 v50, 3, v50
	;; [unrolled: 1-line block ×19, first 2 shown]
	s_add_i32 s2, s2, -1
	s_delay_alu instid0(SALU_CYCLE_1)
	s_cmp_eq_u32 s15, s2
	s_cselect_b32 s2, -1, 0
	s_waitcnt vmcnt(0)
	v_add_co_u32 v11, vcc_lo, v2, v11
	v_add_co_ci_u32_e32 v12, vcc_lo, v4, v12, vcc_lo
	v_add_co_u32 v58, vcc_lo, 0x1000, v55
	v_add_co_ci_u32_e32 v59, vcc_lo, 0, v56, vcc_lo
	ds_store_b64 v53, v[11:12]
	s_waitcnt lgkmcnt(0)
	s_waitcnt_vscnt null, 0x0
	s_barrier
	buffer_gl0_inv
	ds_load_u8 v2, v1 offset:2304
	ds_load_u8 v4, v1 offset:2560
	;; [unrolled: 1-line block ×21, first 2 shown]
	s_waitcnt lgkmcnt(20)
	v_and_b32_e32 v11, 0xff, v2
	s_waitcnt lgkmcnt(19)
	v_and_b32_e32 v12, 0xff, v4
	;; [unrolled: 2-line block ×6, first 2 shown]
	v_and_b32_e32 v13, 0xff, v32
	s_waitcnt lgkmcnt(13)
	v_and_b32_e32 v18, 0xff, v108
	s_waitcnt lgkmcnt(12)
	;; [unrolled: 2-line block ×13, first 2 shown]
	v_and_b32_e32 v31, 0xff, v121
	v_and_b32_e32 v29, 0xff, v119
	v_lshrrev_b32_e32 v11, s60, v11
	v_lshrrev_b32_e32 v14, s60, v14
	;; [unrolled: 1-line block ×7, first 2 shown]
	ds_load_u8 v122, v1 offset:2048
	v_lshrrev_b32_e32 v17, s60, v17
	v_lshrrev_b32_e32 v13, s60, v13
	;; [unrolled: 1-line block ×14, first 2 shown]
	v_and_b32_e32 v11, s1, v11
	v_and_b32_e32 v14, s1, v14
	;; [unrolled: 1-line block ×21, first 2 shown]
	v_lshlrev_b32_e32 v29, 3, v11
	v_lshlrev_b32_e32 v25, 3, v14
	;; [unrolled: 1-line block ×21, first 2 shown]
	ds_load_b64 v[61:62], v11
	ds_load_b64 v[64:65], v12
	;; [unrolled: 1-line block ×6, first 2 shown]
	s_waitcnt lgkmcnt(6)
	v_and_b32_e32 v74, 0xff, v122
	s_delay_alu instid0(VALU_DEP_1)
	v_lshrrev_b32_e32 v82, s60, v74
	ds_load_b64 v[74:75], v21
	ds_load_b64 v[76:77], v22
	;; [unrolled: 1-line block ×4, first 2 shown]
	v_and_b32_e32 v90, s1, v82
	ds_load_b64 v[82:83], v14
	ds_load_b64 v[84:85], v15
	;; [unrolled: 1-line block ×4, first 2 shown]
	v_lshlrev_b32_e32 v123, 3, v90
	s_waitcnt lgkmcnt(11)
	v_add_co_u32 v66, vcc_lo, s50, v66
	v_add_co_ci_u32_e32 v67, vcc_lo, s51, v67, vcc_lo
	s_waitcnt lgkmcnt(10)
	v_add_co_u32 v68, vcc_lo, s50, v68
	v_add_co_ci_u32_e32 v69, vcc_lo, s51, v69, vcc_lo
	;; [unrolled: 3-line block ×7, first 2 shown]
	s_waitcnt lgkmcnt(4)
	v_add_co_u32 v80, vcc_lo, s50, v80
	ds_load_b64 v[90:91], v13
	ds_load_b64 v[92:93], v18
	;; [unrolled: 1-line block ×8, first 2 shown]
	v_add_co_ci_u32_e32 v81, vcc_lo, s51, v81, vcc_lo
	s_waitcnt lgkmcnt(11)
	v_add_co_u32 v82, vcc_lo, s50, v82
	v_add_co_ci_u32_e32 v83, vcc_lo, s51, v83, vcc_lo
	s_waitcnt lgkmcnt(10)
	v_add_co_u32 v84, vcc_lo, s50, v84
	;; [unrolled: 3-line block ×8, first 2 shown]
	v_add_co_ci_u32_e32 v97, vcc_lo, s51, v97, vcc_lo
	v_add_co_u32 v124, vcc_lo, s50, v61
	v_add_co_ci_u32_e32 v125, vcc_lo, s51, v62, vcc_lo
	v_add_co_u32 v126, vcc_lo, s50, v64
	;; [unrolled: 2-line block ×19, first 2 shown]
	v_add_co_ci_u32_e32 v95, vcc_lo, 0, v125, vcc_lo
	s_waitcnt lgkmcnt(3)
	v_add_co_u32 v96, vcc_lo, s50, v98
	v_add_co_ci_u32_e32 v97, vcc_lo, s51, v99, vcc_lo
	s_waitcnt lgkmcnt(2)
	v_add_co_u32 v98, vcc_lo, s50, v100
	;; [unrolled: 3-line block ×4, first 2 shown]
	v_add_co_ci_u32_e32 v103, vcc_lo, s51, v105, vcc_lo
	v_add_co_u32 v96, vcc_lo, v96, v1
	v_add_co_ci_u32_e32 v97, vcc_lo, 0, v97, vcc_lo
	v_add_co_u32 v98, vcc_lo, v98, v1
	;; [unrolled: 2-line block ×5, first 2 shown]
	v_add_co_ci_u32_e32 v105, vcc_lo, 0, v127, vcc_lo
	s_clause 0x15
	global_store_b8 v[96:97], v122, off
	global_store_b8 v[98:99], v2, off offset:256
	global_store_b8 v[100:101], v4, off offset:512
	global_store_b8 v[102:103], v32, off offset:768
	global_store_b8 v[61:62], v49, off offset:1024
	global_store_b8 v[64:65], v51, off offset:1280
	global_store_b8 v[66:67], v106, off offset:1536
	global_store_b8 v[68:69], v107, off offset:1792
	global_store_b8 v[70:71], v108, off offset:2048
	global_store_b8 v[72:73], v109, off offset:2304
	global_store_b8 v[74:75], v110, off offset:2560
	global_store_b8 v[76:77], v111, off offset:2816
	global_store_b8 v[78:79], v112, off offset:3072
	global_store_b8 v[80:81], v113, off offset:3328
	global_store_b8 v[82:83], v114, off offset:3584
	global_store_b8 v[84:85], v115, off offset:3840
	global_store_b8 v[86:87], v116, off
	global_store_b8 v[88:89], v117, off
	;; [unrolled: 1-line block ×6, first 2 shown]
	s_clause 0x15
	global_load_b64 v[61:62], v[55:56], off
	global_load_b64 v[64:65], v[55:56], off offset:256
	global_load_b64 v[66:67], v[55:56], off offset:512
	;; [unrolled: 1-line block ×15, first 2 shown]
	global_load_b64 v[92:93], v[58:59], off
	global_load_b64 v[94:95], v[58:59], off offset:256
	global_load_b64 v[96:97], v[58:59], off offset:512
	;; [unrolled: 1-line block ×5, first 2 shown]
	v_mov_b32_e32 v2, 0
	v_lshlrev_b32_e32 v32, 3, v63
	v_lshlrev_b32_e32 v49, 3, v60
	;; [unrolled: 1-line block ×4, first 2 shown]
	v_dual_mov_b32 v4, v2 :: v_dual_lshlrev_b32 v117, 3, v6
	v_lshlrev_b32_e32 v118, 3, v7
	v_lshlrev_b32_e32 v119, 3, v8
	;; [unrolled: 1-line block ×4, first 2 shown]
	s_waitcnt vmcnt(0)
	s_waitcnt_vscnt null, 0x0
	s_barrier
	buffer_gl0_inv
	v_add_nc_u32_e32 v102, 0x1000, v53
	v_add_nc_u32_e32 v103, 0x1800, v53
	v_or_b32_e32 v104, 0x2000, v53
	v_add_nc_u32_e32 v105, 0x2800, v53
	v_add_nc_u32_e32 v106, 0x3000, v53
	v_add_nc_u32_e32 v107, 0x3800, v53
	v_or_b32_e32 v108, 0x4000, v53
	v_add_nc_u32_e32 v109, 0x4800, v53
	;; [unrolled: 4-line block ×3, first 2 shown]
	v_add_nc_u32_e32 v114, 0x7000, v53
	v_add_nc_u32_e32 v115, 0x7800, v53
	ds_store_b64 v32, v[61:62] offset:2048
	ds_store_b64 v49, v[64:65] offset:2048
	;; [unrolled: 1-line block ×22, first 2 shown]
	s_waitcnt lgkmcnt(0)
	s_barrier
	buffer_gl0_inv
	ds_load_2addr_stride64_b64 v[5:8], v53 offset0:4 offset1:8
	ds_load_2addr_stride64_b64 v[32:35], v53 offset0:12 offset1:16
	ds_load_b64 v[9:10], v123
	ds_load_b64 v[62:63], v29
	ds_load_b64 v[29:30], v30
	ds_load_b64 v[64:65], v31
	ds_load_2addr_stride64_b64 v[36:39], v53 offset0:20 offset1:24
	ds_load_2addr_stride64_b64 v[40:43], v53 offset0:28 offset1:32
	ds_load_b64 v[66:67], v25
	ds_load_b64 v[68:69], v26
	ds_load_b64 v[70:71], v27
	ds_load_b64 v[72:73], v28
	;; [unrolled: 6-line block ×5, first 2 shown]
	ds_load_2addr_stride64_b64 v[58:61], v53 offset0:84 offset1:88
	ds_load_b64 v[96:97], v11
	ds_load_b64 v[11:12], v12
	s_waitcnt lgkmcnt(30)
	v_lshlrev_b64 v[9:10], 3, v[9:10]
	s_waitcnt lgkmcnt(29)
	v_lshlrev_b64 v[62:63], 3, v[62:63]
	;; [unrolled: 2-line block ×6, first 2 shown]
	v_add_co_u32 v0, vcc_lo, s54, v9
	v_add_co_ci_u32_e32 v10, vcc_lo, s55, v10, vcc_lo
	v_add_co_u32 v13, vcc_lo, s54, v62
	v_add_co_ci_u32_e32 v20, vcc_lo, s55, v63, vcc_lo
	;; [unrolled: 2-line block ×4, first 2 shown]
	s_waitcnt lgkmcnt(22)
	v_lshlrev_b64 v[70:71], 3, v[70:71]
	v_add_co_u32 v63, vcc_lo, s54, v66
	v_add_co_ci_u32_e32 v64, vcc_lo, s55, v67, vcc_lo
	s_waitcnt lgkmcnt(21)
	v_lshlrev_b64 v[72:73], 3, v[72:73]
	v_add_co_u32 v65, vcc_lo, s54, v68
	v_add_co_ci_u32_e32 v66, vcc_lo, s55, v69, vcc_lo
	;; [unrolled: 4-line block ×16, first 2 shown]
	v_add_co_u32 v95, vcc_lo, s54, v96
	v_add_co_ci_u32_e32 v96, vcc_lo, s55, v97, vcc_lo
	v_add_co_u32 v97, vcc_lo, s54, v11
	v_add_co_ci_u32_e32 v98, vcc_lo, s55, v12, vcc_lo
	;; [unrolled: 2-line block ×24, first 2 shown]
	s_clause 0x15
	global_store_b64 v[9:10], v[5:6], off
	global_store_b64 v[11:12], v[7:8], off offset:2048
	global_store_b64 v[18:19], v[32:33], off
	global_store_b64 v[29:30], v[34:35], off
	;; [unrolled: 1-line block ×20, first 2 shown]
.LBB25_280:
	s_and_b32 vcc_lo, exec_lo, s2
	s_cbranch_vccnz .LBB25_282
; %bb.281:
	s_nop 0
	s_sendmsg sendmsg(MSG_DEALLOC_VGPRS)
	s_endpgm
.LBB25_282:
	ds_load_b64 v[5:6], v53
	v_lshlrev_b64 v[0:1], 3, v[1:2]
	v_add_co_u32 v2, vcc_lo, v3, v52
	v_add_co_ci_u32_e32 v3, vcc_lo, 0, v4, vcc_lo
	s_delay_alu instid0(VALU_DEP_3) | instskip(NEXT) | instid1(VALU_DEP_4)
	v_add_co_u32 v0, vcc_lo, s58, v0
	v_add_co_ci_u32_e32 v1, vcc_lo, s59, v1, vcc_lo
	s_waitcnt lgkmcnt(0)
	v_add_co_u32 v2, vcc_lo, v2, v5
	v_add_co_ci_u32_e32 v3, vcc_lo, v3, v6, vcc_lo
	global_store_b64 v[0:1], v[2:3], off
	s_nop 0
	s_sendmsg sendmsg(MSG_DEALLOC_VGPRS)
	s_endpgm
.LBB25_283:
	global_load_b64 v[5:6], v[49:50], off
	s_or_b32 exec_lo, exec_lo, s47
                                        ; implicit-def: $vgpr7_vgpr8
	s_and_saveexec_b32 s47, s2
	s_cbranch_execz .LBB25_151
.LBB25_284:
	global_load_b64 v[7:8], v[49:50], off offset:256
	s_or_b32 exec_lo, exec_lo, s47
                                        ; implicit-def: $vgpr9_vgpr10
	s_and_saveexec_b32 s2, s3
	s_cbranch_execz .LBB25_152
.LBB25_285:
	global_load_b64 v[9:10], v[49:50], off offset:512
	s_or_b32 exec_lo, exec_lo, s2
                                        ; implicit-def: $vgpr11_vgpr12
	s_and_saveexec_b32 s2, s4
	s_cbranch_execz .LBB25_153
.LBB25_286:
	global_load_b64 v[11:12], v[49:50], off offset:768
	s_or_b32 exec_lo, exec_lo, s2
                                        ; implicit-def: $vgpr13_vgpr14
	s_and_saveexec_b32 s2, s5
	s_cbranch_execz .LBB25_154
.LBB25_287:
	global_load_b64 v[13:14], v[49:50], off offset:1024
	s_or_b32 exec_lo, exec_lo, s2
                                        ; implicit-def: $vgpr15_vgpr16
	s_and_saveexec_b32 s2, s6
	s_cbranch_execz .LBB25_155
.LBB25_288:
	global_load_b64 v[15:16], v[49:50], off offset:1280
	s_or_b32 exec_lo, exec_lo, s2
                                        ; implicit-def: $vgpr17_vgpr18
	s_and_saveexec_b32 s2, s7
	s_cbranch_execz .LBB25_156
.LBB25_289:
	global_load_b64 v[17:18], v[49:50], off offset:1536
	s_or_b32 exec_lo, exec_lo, s2
                                        ; implicit-def: $vgpr19_vgpr20
	s_and_saveexec_b32 s2, s8
	s_cbranch_execz .LBB25_157
.LBB25_290:
	global_load_b64 v[19:20], v[49:50], off offset:1792
	s_or_b32 exec_lo, exec_lo, s2
                                        ; implicit-def: $vgpr21_vgpr22
	s_and_saveexec_b32 s2, s9
	s_cbranch_execz .LBB25_158
.LBB25_291:
	global_load_b64 v[21:22], v[49:50], off offset:2048
	s_or_b32 exec_lo, exec_lo, s2
                                        ; implicit-def: $vgpr23_vgpr24
	s_and_saveexec_b32 s2, s10
	s_cbranch_execz .LBB25_159
.LBB25_292:
	global_load_b64 v[23:24], v[49:50], off offset:2304
	s_or_b32 exec_lo, exec_lo, s2
                                        ; implicit-def: $vgpr25_vgpr26
	s_and_saveexec_b32 s2, s11
	s_cbranch_execz .LBB25_160
.LBB25_293:
	global_load_b64 v[25:26], v[49:50], off offset:2560
	s_or_b32 exec_lo, exec_lo, s2
                                        ; implicit-def: $vgpr27_vgpr28
	s_and_saveexec_b32 s2, s12
	s_cbranch_execz .LBB25_161
.LBB25_294:
	global_load_b64 v[27:28], v[49:50], off offset:2816
	s_or_b32 exec_lo, exec_lo, s2
                                        ; implicit-def: $vgpr29_vgpr30
	s_and_saveexec_b32 s2, s13
	s_cbranch_execz .LBB25_162
.LBB25_295:
	global_load_b64 v[29:30], v[49:50], off offset:3072
	s_or_b32 exec_lo, exec_lo, s2
                                        ; implicit-def: $vgpr31_vgpr32
	s_and_saveexec_b32 s2, s14
	s_cbranch_execz .LBB25_163
.LBB25_296:
	global_load_b64 v[31:32], v[49:50], off offset:3328
	s_or_b32 exec_lo, exec_lo, s2
                                        ; implicit-def: $vgpr33_vgpr34
	s_and_saveexec_b32 s2, s16
	s_cbranch_execz .LBB25_164
.LBB25_297:
	global_load_b64 v[33:34], v[49:50], off offset:3584
	s_or_b32 exec_lo, exec_lo, s2
                                        ; implicit-def: $vgpr35_vgpr36
	s_and_saveexec_b32 s2, s18
	s_cbranch_execz .LBB25_165
.LBB25_298:
	global_load_b64 v[35:36], v[49:50], off offset:3840
	s_or_b32 exec_lo, exec_lo, s2
                                        ; implicit-def: $vgpr37_vgpr38
	s_and_saveexec_b32 s2, s23
	s_cbranch_execz .LBB25_166
.LBB25_299:
	v_add_co_u32 v37, vcc_lo, 0x1000, v49
	v_add_co_ci_u32_e32 v38, vcc_lo, 0, v50, vcc_lo
	global_load_b64 v[37:38], v[37:38], off
	s_or_b32 exec_lo, exec_lo, s2
                                        ; implicit-def: $vgpr39_vgpr40
	s_and_saveexec_b32 s2, s21
	s_cbranch_execz .LBB25_167
.LBB25_300:
	v_add_co_u32 v39, vcc_lo, 0x1000, v49
	v_add_co_ci_u32_e32 v40, vcc_lo, 0, v50, vcc_lo
	global_load_b64 v[39:40], v[39:40], off offset:256
	s_or_b32 exec_lo, exec_lo, s2
                                        ; implicit-def: $vgpr41_vgpr42
	s_and_saveexec_b32 s2, s22
	s_cbranch_execz .LBB25_168
.LBB25_301:
	v_add_co_u32 v41, vcc_lo, 0x1000, v49
	v_add_co_ci_u32_e32 v42, vcc_lo, 0, v50, vcc_lo
	global_load_b64 v[41:42], v[41:42], off offset:512
	s_or_b32 exec_lo, exec_lo, s2
                                        ; implicit-def: $vgpr43_vgpr44
	s_and_saveexec_b32 s2, s19
	s_cbranch_execz .LBB25_169
.LBB25_302:
	v_add_co_u32 v43, vcc_lo, 0x1000, v49
	v_add_co_ci_u32_e32 v44, vcc_lo, 0, v50, vcc_lo
	global_load_b64 v[43:44], v[43:44], off offset:768
	s_or_b32 exec_lo, exec_lo, s2
                                        ; implicit-def: $vgpr45_vgpr46
	s_and_saveexec_b32 s2, s20
	s_cbranch_execz .LBB25_170
.LBB25_303:
	v_add_co_u32 v45, vcc_lo, 0x1000, v49
	v_add_co_ci_u32_e32 v46, vcc_lo, 0, v50, vcc_lo
	global_load_b64 v[45:46], v[45:46], off offset:1024
	s_or_b32 exec_lo, exec_lo, s2
                                        ; implicit-def: $vgpr47_vgpr48
	s_and_saveexec_b32 s2, s17
	s_cbranch_execz .LBB25_171
.LBB25_304:
	v_add_co_u32 v47, vcc_lo, 0x1000, v49
	v_add_co_ci_u32_e32 v48, vcc_lo, 0, v50, vcc_lo
	global_load_b64 v[47:48], v[47:48], off offset:1280
	s_or_b32 exec_lo, exec_lo, s2
                                        ; implicit-def: $vgpr115
	s_and_saveexec_b32 s2, s40
	s_cbranch_execz .LBB25_172
.LBB25_305:
	ds_load_u8 v49, v1 offset:2048
	s_waitcnt lgkmcnt(0)
	v_lshrrev_b32_e32 v49, s60, v49
	s_delay_alu instid0(VALU_DEP_1)
	v_and_b32_e32 v115, s68, v49
	s_or_b32 exec_lo, exec_lo, s2
                                        ; implicit-def: $vgpr114
	s_and_saveexec_b32 s2, s45
	s_cbranch_execz .LBB25_173
.LBB25_306:
	ds_load_u8 v49, v1 offset:2304
	s_waitcnt lgkmcnt(0)
	v_lshrrev_b32_e32 v49, s60, v49
	s_delay_alu instid0(VALU_DEP_1)
	v_and_b32_e32 v114, s68, v49
	s_or_b32 exec_lo, exec_lo, s2
                                        ; implicit-def: $vgpr113
	s_and_saveexec_b32 s2, s46
	s_cbranch_execz .LBB25_174
.LBB25_307:
	ds_load_u8 v49, v1 offset:2560
	s_waitcnt lgkmcnt(0)
	v_lshrrev_b32_e32 v49, s60, v49
	s_delay_alu instid0(VALU_DEP_1)
	v_and_b32_e32 v113, s68, v49
	s_or_b32 exec_lo, exec_lo, s2
                                        ; implicit-def: $vgpr112
	s_and_saveexec_b32 s2, s44
	s_cbranch_execz .LBB25_175
.LBB25_308:
	ds_load_u8 v49, v1 offset:2816
	s_waitcnt lgkmcnt(0)
	v_lshrrev_b32_e32 v49, s60, v49
	s_delay_alu instid0(VALU_DEP_1)
	v_and_b32_e32 v112, s68, v49
	s_or_b32 exec_lo, exec_lo, s2
                                        ; implicit-def: $vgpr111
	s_and_saveexec_b32 s2, s43
	s_cbranch_execz .LBB25_176
.LBB25_309:
	ds_load_u8 v49, v1 offset:3072
	s_waitcnt lgkmcnt(0)
	v_lshrrev_b32_e32 v49, s60, v49
	s_delay_alu instid0(VALU_DEP_1)
	v_and_b32_e32 v111, s68, v49
	s_or_b32 exec_lo, exec_lo, s2
                                        ; implicit-def: $vgpr110
	s_and_saveexec_b32 s2, s42
	s_cbranch_execz .LBB25_177
.LBB25_310:
	ds_load_u8 v49, v1 offset:3328
	s_waitcnt lgkmcnt(0)
	v_lshrrev_b32_e32 v49, s60, v49
	s_delay_alu instid0(VALU_DEP_1)
	v_and_b32_e32 v110, s68, v49
	s_or_b32 exec_lo, exec_lo, s2
                                        ; implicit-def: $vgpr109
	s_and_saveexec_b32 s2, s41
	s_cbranch_execz .LBB25_178
.LBB25_311:
	ds_load_u8 v49, v1 offset:3584
	s_waitcnt lgkmcnt(0)
	v_lshrrev_b32_e32 v49, s60, v49
	s_delay_alu instid0(VALU_DEP_1)
	v_and_b32_e32 v109, s68, v49
	s_or_b32 exec_lo, exec_lo, s2
                                        ; implicit-def: $vgpr108
	s_and_saveexec_b32 s2, s39
	s_cbranch_execz .LBB25_179
.LBB25_312:
	ds_load_u8 v49, v1 offset:3840
	s_waitcnt lgkmcnt(0)
	v_lshrrev_b32_e32 v49, s60, v49
	s_delay_alu instid0(VALU_DEP_1)
	v_and_b32_e32 v108, s68, v49
	s_or_b32 exec_lo, exec_lo, s2
                                        ; implicit-def: $vgpr107
	s_and_saveexec_b32 s2, s38
	s_cbranch_execz .LBB25_180
.LBB25_313:
	ds_load_u8 v49, v1 offset:4096
	s_waitcnt lgkmcnt(0)
	v_lshrrev_b32_e32 v49, s60, v49
	s_delay_alu instid0(VALU_DEP_1)
	v_and_b32_e32 v107, s68, v49
	s_or_b32 exec_lo, exec_lo, s2
                                        ; implicit-def: $vgpr106
	s_and_saveexec_b32 s2, s37
	s_cbranch_execz .LBB25_181
.LBB25_314:
	ds_load_u8 v49, v1 offset:4352
	s_waitcnt lgkmcnt(0)
	v_lshrrev_b32_e32 v49, s60, v49
	s_delay_alu instid0(VALU_DEP_1)
	v_and_b32_e32 v106, s68, v49
	s_or_b32 exec_lo, exec_lo, s2
                                        ; implicit-def: $vgpr105
	s_and_saveexec_b32 s2, s36
	s_cbranch_execz .LBB25_182
.LBB25_315:
	ds_load_u8 v49, v1 offset:4608
	s_waitcnt lgkmcnt(0)
	v_lshrrev_b32_e32 v49, s60, v49
	s_delay_alu instid0(VALU_DEP_1)
	v_and_b32_e32 v105, s68, v49
	s_or_b32 exec_lo, exec_lo, s2
                                        ; implicit-def: $vgpr104
	s_and_saveexec_b32 s2, s35
	s_cbranch_execz .LBB25_183
.LBB25_316:
	ds_load_u8 v49, v1 offset:4864
	s_waitcnt lgkmcnt(0)
	v_lshrrev_b32_e32 v49, s60, v49
	s_delay_alu instid0(VALU_DEP_1)
	v_and_b32_e32 v104, s68, v49
	s_or_b32 exec_lo, exec_lo, s2
                                        ; implicit-def: $vgpr103
	s_and_saveexec_b32 s2, s34
	s_cbranch_execz .LBB25_184
.LBB25_317:
	ds_load_u8 v49, v1 offset:5120
	s_waitcnt lgkmcnt(0)
	v_lshrrev_b32_e32 v49, s60, v49
	s_delay_alu instid0(VALU_DEP_1)
	v_and_b32_e32 v103, s68, v49
	s_or_b32 exec_lo, exec_lo, s2
                                        ; implicit-def: $vgpr102
	s_and_saveexec_b32 s2, s33
	s_cbranch_execz .LBB25_185
.LBB25_318:
	ds_load_u8 v49, v1 offset:5376
	s_waitcnt lgkmcnt(0)
	v_lshrrev_b32_e32 v49, s60, v49
	s_delay_alu instid0(VALU_DEP_1)
	v_and_b32_e32 v102, s68, v49
	s_or_b32 exec_lo, exec_lo, s2
                                        ; implicit-def: $vgpr101
	s_and_saveexec_b32 s2, s31
	s_cbranch_execz .LBB25_186
.LBB25_319:
	ds_load_u8 v49, v1 offset:5632
	s_waitcnt lgkmcnt(0)
	v_lshrrev_b32_e32 v49, s60, v49
	s_delay_alu instid0(VALU_DEP_1)
	v_and_b32_e32 v101, s68, v49
	s_or_b32 exec_lo, exec_lo, s2
                                        ; implicit-def: $vgpr100
	s_and_saveexec_b32 s2, s30
	s_cbranch_execz .LBB25_187
.LBB25_320:
	ds_load_u8 v49, v1 offset:5888
	s_waitcnt lgkmcnt(0)
	v_lshrrev_b32_e32 v49, s60, v49
	s_delay_alu instid0(VALU_DEP_1)
	v_and_b32_e32 v100, s68, v49
	s_or_b32 exec_lo, exec_lo, s2
                                        ; implicit-def: $vgpr99
	s_and_saveexec_b32 s2, s29
	s_cbranch_execz .LBB25_188
.LBB25_321:
	ds_load_u8 v49, v1 offset:6144
	s_waitcnt lgkmcnt(0)
	v_lshrrev_b32_e32 v49, s60, v49
	s_delay_alu instid0(VALU_DEP_1)
	v_and_b32_e32 v99, s68, v49
	s_or_b32 exec_lo, exec_lo, s2
                                        ; implicit-def: $vgpr98
	s_and_saveexec_b32 s2, s28
	s_cbranch_execz .LBB25_189
.LBB25_322:
	ds_load_u8 v49, v1 offset:6400
	s_waitcnt lgkmcnt(0)
	v_lshrrev_b32_e32 v49, s60, v49
	s_delay_alu instid0(VALU_DEP_1)
	v_and_b32_e32 v98, s68, v49
	s_or_b32 exec_lo, exec_lo, s2
                                        ; implicit-def: $vgpr97
	s_and_saveexec_b32 s2, s27
	s_cbranch_execz .LBB25_190
.LBB25_323:
	ds_load_u8 v49, v1 offset:6656
	s_waitcnt lgkmcnt(0)
	v_lshrrev_b32_e32 v49, s60, v49
	s_delay_alu instid0(VALU_DEP_1)
	v_and_b32_e32 v97, s68, v49
	s_or_b32 exec_lo, exec_lo, s2
                                        ; implicit-def: $vgpr96
	s_and_saveexec_b32 s2, s26
	s_cbranch_execz .LBB25_191
.LBB25_324:
	ds_load_u8 v49, v1 offset:6912
	s_waitcnt lgkmcnt(0)
	v_lshrrev_b32_e32 v49, s60, v49
	s_delay_alu instid0(VALU_DEP_1)
	v_and_b32_e32 v96, s68, v49
	s_or_b32 exec_lo, exec_lo, s2
                                        ; implicit-def: $vgpr50
	s_and_saveexec_b32 s2, s25
	s_cbranch_execz .LBB25_192
.LBB25_325:
	ds_load_u8 v49, v1 offset:7168
	s_waitcnt lgkmcnt(0)
	v_lshrrev_b32_e32 v49, s60, v49
	s_delay_alu instid0(VALU_DEP_1)
	v_and_b32_e32 v50, s68, v49
	s_or_b32 exec_lo, exec_lo, s2
                                        ; implicit-def: $vgpr49
	s_and_saveexec_b32 s2, s24
	s_cbranch_execnz .LBB25_193
	s_branch .LBB25_194
.LBB25_326:
	v_lshlrev_b32_e32 v5, 3, v115
	ds_load_b64 v[5:6], v5
	ds_load_b64 v[7:8], v53 offset:2048
	s_waitcnt lgkmcnt(1)
	v_lshlrev_b64 v[5:6], 3, v[5:6]
	s_delay_alu instid0(VALU_DEP_1) | instskip(NEXT) | instid1(VALU_DEP_2)
	v_add_co_u32 v5, vcc_lo, s54, v5
	v_add_co_ci_u32_e32 v6, vcc_lo, s55, v6, vcc_lo
	s_delay_alu instid0(VALU_DEP_2) | instskip(NEXT) | instid1(VALU_DEP_2)
	v_add_co_u32 v5, vcc_lo, v5, v53
	v_add_co_ci_u32_e32 v6, vcc_lo, 0, v6, vcc_lo
	s_waitcnt lgkmcnt(0)
	global_store_b64 v[5:6], v[7:8], off
	s_or_b32 exec_lo, exec_lo, s2
	s_and_saveexec_b32 s2, s45
	s_cbranch_execz .LBB25_196
.LBB25_327:
	v_lshlrev_b32_e32 v5, 3, v114
	v_lshlrev_b32_e32 v9, 3, v1
	ds_load_b64 v[5:6], v5
	ds_load_b64 v[7:8], v9 offset:4096
	s_waitcnt lgkmcnt(1)
	v_lshlrev_b64 v[5:6], 3, v[5:6]
	s_delay_alu instid0(VALU_DEP_1) | instskip(NEXT) | instid1(VALU_DEP_2)
	v_add_co_u32 v5, vcc_lo, s54, v5
	v_add_co_ci_u32_e32 v6, vcc_lo, s55, v6, vcc_lo
	s_delay_alu instid0(VALU_DEP_2) | instskip(NEXT) | instid1(VALU_DEP_2)
	v_add_co_u32 v5, vcc_lo, v5, v9
	v_add_co_ci_u32_e32 v6, vcc_lo, 0, v6, vcc_lo
	s_waitcnt lgkmcnt(0)
	global_store_b64 v[5:6], v[7:8], off offset:2048
	s_or_b32 exec_lo, exec_lo, s2
	s_and_saveexec_b32 s2, s46
	s_cbranch_execz .LBB25_197
.LBB25_328:
	v_lshlrev_b32_e32 v5, 3, v113
	v_lshlrev_b32_e32 v7, 3, v1
	;; [unrolled: 1-line block ×3, first 2 shown]
	ds_load_b64 v[5:6], v5
	ds_load_b64 v[7:8], v7 offset:6144
	s_waitcnt lgkmcnt(1)
	v_lshlrev_b64 v[5:6], 3, v[5:6]
	s_delay_alu instid0(VALU_DEP_1) | instskip(NEXT) | instid1(VALU_DEP_2)
	v_add_co_u32 v5, vcc_lo, s54, v5
	v_add_co_ci_u32_e32 v6, vcc_lo, s55, v6, vcc_lo
	s_delay_alu instid0(VALU_DEP_2) | instskip(NEXT) | instid1(VALU_DEP_2)
	v_add_co_u32 v5, vcc_lo, v5, v9
	v_add_co_ci_u32_e32 v6, vcc_lo, 0, v6, vcc_lo
	s_waitcnt lgkmcnt(0)
	global_store_b64 v[5:6], v[7:8], off
	s_or_b32 exec_lo, exec_lo, s2
	s_and_saveexec_b32 s2, s44
	s_cbranch_execz .LBB25_198
.LBB25_329:
	v_lshlrev_b32_e32 v5, 3, v112
	v_lshlrev_b32_e32 v7, 3, v1
	;; [unrolled: 1-line block ×3, first 2 shown]
	ds_load_b64 v[5:6], v5
	ds_load_b64 v[7:8], v7 offset:8192
	s_waitcnt lgkmcnt(1)
	v_lshlrev_b64 v[5:6], 3, v[5:6]
	s_delay_alu instid0(VALU_DEP_1) | instskip(NEXT) | instid1(VALU_DEP_2)
	v_add_co_u32 v5, vcc_lo, s54, v5
	v_add_co_ci_u32_e32 v6, vcc_lo, s55, v6, vcc_lo
	s_delay_alu instid0(VALU_DEP_2) | instskip(NEXT) | instid1(VALU_DEP_2)
	v_add_co_u32 v5, vcc_lo, v5, v9
	v_add_co_ci_u32_e32 v6, vcc_lo, 0, v6, vcc_lo
	s_waitcnt lgkmcnt(0)
	global_store_b64 v[5:6], v[7:8], off
	s_or_b32 exec_lo, exec_lo, s2
	s_and_saveexec_b32 s2, s43
	s_cbranch_execz .LBB25_199
.LBB25_330:
	v_lshlrev_b32_e32 v5, 3, v111
	v_lshlrev_b32_e32 v7, 3, v1
	;; [unrolled: 1-line block ×3, first 2 shown]
	ds_load_b64 v[5:6], v5
	ds_load_b64 v[7:8], v7 offset:10240
	s_waitcnt lgkmcnt(1)
	v_lshlrev_b64 v[5:6], 3, v[5:6]
	s_delay_alu instid0(VALU_DEP_1) | instskip(NEXT) | instid1(VALU_DEP_2)
	v_add_co_u32 v5, vcc_lo, s54, v5
	v_add_co_ci_u32_e32 v6, vcc_lo, s55, v6, vcc_lo
	s_delay_alu instid0(VALU_DEP_2) | instskip(NEXT) | instid1(VALU_DEP_2)
	v_add_co_u32 v5, vcc_lo, v5, v9
	v_add_co_ci_u32_e32 v6, vcc_lo, 0, v6, vcc_lo
	s_waitcnt lgkmcnt(0)
	global_store_b64 v[5:6], v[7:8], off
	s_or_b32 exec_lo, exec_lo, s2
	s_and_saveexec_b32 s2, s42
	s_cbranch_execz .LBB25_200
.LBB25_331:
	v_lshlrev_b32_e32 v5, 3, v110
	v_lshlrev_b32_e32 v7, 3, v1
	;; [unrolled: 1-line block ×3, first 2 shown]
	ds_load_b64 v[5:6], v5
	ds_load_b64 v[7:8], v7 offset:12288
	s_waitcnt lgkmcnt(1)
	v_lshlrev_b64 v[5:6], 3, v[5:6]
	s_delay_alu instid0(VALU_DEP_1) | instskip(NEXT) | instid1(VALU_DEP_2)
	v_add_co_u32 v5, vcc_lo, s54, v5
	v_add_co_ci_u32_e32 v6, vcc_lo, s55, v6, vcc_lo
	s_delay_alu instid0(VALU_DEP_2) | instskip(NEXT) | instid1(VALU_DEP_2)
	v_add_co_u32 v5, vcc_lo, v5, v9
	v_add_co_ci_u32_e32 v6, vcc_lo, 0, v6, vcc_lo
	s_waitcnt lgkmcnt(0)
	global_store_b64 v[5:6], v[7:8], off
	s_or_b32 exec_lo, exec_lo, s2
	s_and_saveexec_b32 s2, s41
	s_cbranch_execz .LBB25_201
.LBB25_332:
	v_lshlrev_b32_e32 v5, 3, v109
	v_lshlrev_b32_e32 v7, 3, v1
	;; [unrolled: 1-line block ×3, first 2 shown]
	ds_load_b64 v[5:6], v5
	ds_load_b64 v[7:8], v7 offset:14336
	s_waitcnt lgkmcnt(1)
	v_lshlrev_b64 v[5:6], 3, v[5:6]
	s_delay_alu instid0(VALU_DEP_1) | instskip(NEXT) | instid1(VALU_DEP_2)
	v_add_co_u32 v5, vcc_lo, s54, v5
	v_add_co_ci_u32_e32 v6, vcc_lo, s55, v6, vcc_lo
	s_delay_alu instid0(VALU_DEP_2) | instskip(NEXT) | instid1(VALU_DEP_2)
	v_add_co_u32 v5, vcc_lo, v5, v9
	v_add_co_ci_u32_e32 v6, vcc_lo, 0, v6, vcc_lo
	s_waitcnt lgkmcnt(0)
	global_store_b64 v[5:6], v[7:8], off
	s_or_b32 exec_lo, exec_lo, s2
	s_and_saveexec_b32 s2, s39
	s_cbranch_execz .LBB25_202
.LBB25_333:
	v_lshlrev_b32_e32 v5, 3, v108
	v_lshlrev_b32_e32 v7, 3, v1
	;; [unrolled: 1-line block ×3, first 2 shown]
	ds_load_b64 v[5:6], v5
	ds_load_b64 v[7:8], v7 offset:16384
	s_waitcnt lgkmcnt(1)
	v_lshlrev_b64 v[5:6], 3, v[5:6]
	s_delay_alu instid0(VALU_DEP_1) | instskip(NEXT) | instid1(VALU_DEP_2)
	v_add_co_u32 v5, vcc_lo, s54, v5
	v_add_co_ci_u32_e32 v6, vcc_lo, s55, v6, vcc_lo
	s_delay_alu instid0(VALU_DEP_2) | instskip(NEXT) | instid1(VALU_DEP_2)
	v_add_co_u32 v5, vcc_lo, v5, v9
	v_add_co_ci_u32_e32 v6, vcc_lo, 0, v6, vcc_lo
	s_waitcnt lgkmcnt(0)
	global_store_b64 v[5:6], v[7:8], off
	s_or_b32 exec_lo, exec_lo, s2
	s_and_saveexec_b32 s2, s38
	s_cbranch_execz .LBB25_203
.LBB25_334:
	v_lshlrev_b32_e32 v5, 3, v107
	v_lshlrev_b32_e32 v7, 3, v1
	;; [unrolled: 1-line block ×3, first 2 shown]
	ds_load_b64 v[5:6], v5
	ds_load_b64 v[7:8], v7 offset:18432
	s_waitcnt lgkmcnt(1)
	v_lshlrev_b64 v[5:6], 3, v[5:6]
	s_delay_alu instid0(VALU_DEP_1) | instskip(NEXT) | instid1(VALU_DEP_2)
	v_add_co_u32 v5, vcc_lo, s54, v5
	v_add_co_ci_u32_e32 v6, vcc_lo, s55, v6, vcc_lo
	s_delay_alu instid0(VALU_DEP_2) | instskip(NEXT) | instid1(VALU_DEP_2)
	v_add_co_u32 v5, vcc_lo, v5, v9
	v_add_co_ci_u32_e32 v6, vcc_lo, 0, v6, vcc_lo
	s_waitcnt lgkmcnt(0)
	global_store_b64 v[5:6], v[7:8], off
	s_or_b32 exec_lo, exec_lo, s2
	s_and_saveexec_b32 s2, s37
	s_cbranch_execz .LBB25_204
.LBB25_335:
	v_lshlrev_b32_e32 v5, 3, v106
	v_lshlrev_b32_e32 v7, 3, v1
	;; [unrolled: 1-line block ×3, first 2 shown]
	ds_load_b64 v[5:6], v5
	ds_load_b64 v[7:8], v7 offset:20480
	s_waitcnt lgkmcnt(1)
	v_lshlrev_b64 v[5:6], 3, v[5:6]
	s_delay_alu instid0(VALU_DEP_1) | instskip(NEXT) | instid1(VALU_DEP_2)
	v_add_co_u32 v5, vcc_lo, s54, v5
	v_add_co_ci_u32_e32 v6, vcc_lo, s55, v6, vcc_lo
	s_delay_alu instid0(VALU_DEP_2) | instskip(NEXT) | instid1(VALU_DEP_2)
	v_add_co_u32 v5, vcc_lo, v5, v9
	v_add_co_ci_u32_e32 v6, vcc_lo, 0, v6, vcc_lo
	s_waitcnt lgkmcnt(0)
	global_store_b64 v[5:6], v[7:8], off
	s_or_b32 exec_lo, exec_lo, s2
	s_and_saveexec_b32 s2, s36
	s_cbranch_execz .LBB25_205
.LBB25_336:
	v_lshlrev_b32_e32 v5, 3, v105
	v_lshlrev_b32_e32 v7, 3, v1
	;; [unrolled: 1-line block ×3, first 2 shown]
	ds_load_b64 v[5:6], v5
	ds_load_b64 v[7:8], v7 offset:22528
	s_waitcnt lgkmcnt(1)
	v_lshlrev_b64 v[5:6], 3, v[5:6]
	s_delay_alu instid0(VALU_DEP_1) | instskip(NEXT) | instid1(VALU_DEP_2)
	v_add_co_u32 v5, vcc_lo, s54, v5
	v_add_co_ci_u32_e32 v6, vcc_lo, s55, v6, vcc_lo
	s_delay_alu instid0(VALU_DEP_2) | instskip(NEXT) | instid1(VALU_DEP_2)
	v_add_co_u32 v5, vcc_lo, v5, v9
	v_add_co_ci_u32_e32 v6, vcc_lo, 0, v6, vcc_lo
	s_waitcnt lgkmcnt(0)
	global_store_b64 v[5:6], v[7:8], off
	s_or_b32 exec_lo, exec_lo, s2
	s_and_saveexec_b32 s2, s35
	s_cbranch_execz .LBB25_206
.LBB25_337:
	v_lshlrev_b32_e32 v5, 3, v104
	v_lshlrev_b32_e32 v7, 3, v1
	v_lshlrev_b32_e32 v9, 3, v86
	ds_load_b64 v[5:6], v5
	ds_load_b64 v[7:8], v7 offset:24576
	s_waitcnt lgkmcnt(1)
	v_lshlrev_b64 v[5:6], 3, v[5:6]
	s_delay_alu instid0(VALU_DEP_1) | instskip(NEXT) | instid1(VALU_DEP_2)
	v_add_co_u32 v5, vcc_lo, s54, v5
	v_add_co_ci_u32_e32 v6, vcc_lo, s55, v6, vcc_lo
	s_delay_alu instid0(VALU_DEP_2) | instskip(NEXT) | instid1(VALU_DEP_2)
	v_add_co_u32 v5, vcc_lo, v5, v9
	v_add_co_ci_u32_e32 v6, vcc_lo, 0, v6, vcc_lo
	s_waitcnt lgkmcnt(0)
	global_store_b64 v[5:6], v[7:8], off
	s_or_b32 exec_lo, exec_lo, s2
	s_and_saveexec_b32 s2, s34
	s_cbranch_execz .LBB25_207
.LBB25_338:
	v_lshlrev_b32_e32 v5, 3, v103
	v_lshlrev_b32_e32 v7, 3, v1
	;; [unrolled: 1-line block ×3, first 2 shown]
	ds_load_b64 v[5:6], v5
	ds_load_b64 v[7:8], v7 offset:26624
	s_waitcnt lgkmcnt(1)
	v_lshlrev_b64 v[5:6], 3, v[5:6]
	s_delay_alu instid0(VALU_DEP_1) | instskip(NEXT) | instid1(VALU_DEP_2)
	v_add_co_u32 v5, vcc_lo, s54, v5
	v_add_co_ci_u32_e32 v6, vcc_lo, s55, v6, vcc_lo
	s_delay_alu instid0(VALU_DEP_2) | instskip(NEXT) | instid1(VALU_DEP_2)
	v_add_co_u32 v5, vcc_lo, v5, v9
	v_add_co_ci_u32_e32 v6, vcc_lo, 0, v6, vcc_lo
	s_waitcnt lgkmcnt(0)
	global_store_b64 v[5:6], v[7:8], off
	s_or_b32 exec_lo, exec_lo, s2
	s_and_saveexec_b32 s2, s33
	s_cbranch_execz .LBB25_208
.LBB25_339:
	v_lshlrev_b32_e32 v5, 3, v102
	v_lshlrev_b32_e32 v7, 3, v1
	;; [unrolled: 1-line block ×3, first 2 shown]
	ds_load_b64 v[5:6], v5
	ds_load_b64 v[7:8], v7 offset:28672
	s_waitcnt lgkmcnt(1)
	v_lshlrev_b64 v[5:6], 3, v[5:6]
	s_delay_alu instid0(VALU_DEP_1) | instskip(NEXT) | instid1(VALU_DEP_2)
	v_add_co_u32 v5, vcc_lo, s54, v5
	v_add_co_ci_u32_e32 v6, vcc_lo, s55, v6, vcc_lo
	s_delay_alu instid0(VALU_DEP_2) | instskip(NEXT) | instid1(VALU_DEP_2)
	v_add_co_u32 v5, vcc_lo, v5, v9
	v_add_co_ci_u32_e32 v6, vcc_lo, 0, v6, vcc_lo
	s_waitcnt lgkmcnt(0)
	global_store_b64 v[5:6], v[7:8], off
	s_or_b32 exec_lo, exec_lo, s2
	s_and_saveexec_b32 s2, s31
	s_cbranch_execz .LBB25_209
.LBB25_340:
	v_lshlrev_b32_e32 v5, 3, v101
	v_lshlrev_b32_e32 v7, 3, v1
	;; [unrolled: 1-line block ×3, first 2 shown]
	ds_load_b64 v[5:6], v5
	ds_load_b64 v[7:8], v7 offset:30720
	s_waitcnt lgkmcnt(1)
	v_lshlrev_b64 v[5:6], 3, v[5:6]
	s_delay_alu instid0(VALU_DEP_1) | instskip(NEXT) | instid1(VALU_DEP_2)
	v_add_co_u32 v5, vcc_lo, s54, v5
	v_add_co_ci_u32_e32 v6, vcc_lo, s55, v6, vcc_lo
	s_delay_alu instid0(VALU_DEP_2) | instskip(NEXT) | instid1(VALU_DEP_2)
	v_add_co_u32 v5, vcc_lo, v5, v9
	v_add_co_ci_u32_e32 v6, vcc_lo, 0, v6, vcc_lo
	s_waitcnt lgkmcnt(0)
	global_store_b64 v[5:6], v[7:8], off
	s_or_b32 exec_lo, exec_lo, s2
	s_and_saveexec_b32 s2, s30
	s_cbranch_execz .LBB25_210
.LBB25_341:
	v_lshlrev_b32_e32 v5, 3, v100
	v_lshlrev_b32_e32 v7, 3, v1
	;; [unrolled: 1-line block ×3, first 2 shown]
	ds_load_b64 v[5:6], v5
	ds_load_b64 v[7:8], v7 offset:32768
	s_waitcnt lgkmcnt(1)
	v_lshlrev_b64 v[5:6], 3, v[5:6]
	s_delay_alu instid0(VALU_DEP_1) | instskip(NEXT) | instid1(VALU_DEP_2)
	v_add_co_u32 v5, vcc_lo, s54, v5
	v_add_co_ci_u32_e32 v6, vcc_lo, s55, v6, vcc_lo
	s_delay_alu instid0(VALU_DEP_2) | instskip(NEXT) | instid1(VALU_DEP_2)
	v_add_co_u32 v5, vcc_lo, v5, v9
	v_add_co_ci_u32_e32 v6, vcc_lo, 0, v6, vcc_lo
	s_waitcnt lgkmcnt(0)
	global_store_b64 v[5:6], v[7:8], off
	s_or_b32 exec_lo, exec_lo, s2
	s_and_saveexec_b32 s2, s29
	s_cbranch_execz .LBB25_211
.LBB25_342:
	v_lshlrev_b32_e32 v5, 3, v99
	v_lshlrev_b32_e32 v7, 3, v1
	;; [unrolled: 1-line block ×3, first 2 shown]
	ds_load_b64 v[5:6], v5
	ds_load_b64 v[7:8], v7 offset:34816
	s_waitcnt lgkmcnt(1)
	v_lshlrev_b64 v[5:6], 3, v[5:6]
	s_delay_alu instid0(VALU_DEP_1) | instskip(NEXT) | instid1(VALU_DEP_2)
	v_add_co_u32 v5, vcc_lo, s54, v5
	v_add_co_ci_u32_e32 v6, vcc_lo, s55, v6, vcc_lo
	s_delay_alu instid0(VALU_DEP_2) | instskip(NEXT) | instid1(VALU_DEP_2)
	v_add_co_u32 v5, vcc_lo, v5, v9
	v_add_co_ci_u32_e32 v6, vcc_lo, 0, v6, vcc_lo
	s_waitcnt lgkmcnt(0)
	global_store_b64 v[5:6], v[7:8], off
	s_or_b32 exec_lo, exec_lo, s2
	s_and_saveexec_b32 s2, s28
	s_cbranch_execz .LBB25_212
.LBB25_343:
	v_lshlrev_b32_e32 v5, 3, v98
	v_lshlrev_b32_e32 v7, 3, v1
	;; [unrolled: 1-line block ×3, first 2 shown]
	ds_load_b64 v[5:6], v5
	ds_load_b64 v[7:8], v7 offset:36864
	s_waitcnt lgkmcnt(1)
	v_lshlrev_b64 v[5:6], 3, v[5:6]
	s_delay_alu instid0(VALU_DEP_1) | instskip(NEXT) | instid1(VALU_DEP_2)
	v_add_co_u32 v5, vcc_lo, s54, v5
	v_add_co_ci_u32_e32 v6, vcc_lo, s55, v6, vcc_lo
	s_delay_alu instid0(VALU_DEP_2) | instskip(NEXT) | instid1(VALU_DEP_2)
	v_add_co_u32 v5, vcc_lo, v5, v9
	v_add_co_ci_u32_e32 v6, vcc_lo, 0, v6, vcc_lo
	s_waitcnt lgkmcnt(0)
	global_store_b64 v[5:6], v[7:8], off
	s_or_b32 exec_lo, exec_lo, s2
	s_and_saveexec_b32 s2, s27
	s_cbranch_execz .LBB25_213
.LBB25_344:
	v_lshlrev_b32_e32 v5, 3, v97
	v_lshlrev_b32_e32 v7, 3, v1
	;; [unrolled: 1-line block ×3, first 2 shown]
	ds_load_b64 v[5:6], v5
	ds_load_b64 v[7:8], v7 offset:38912
	s_waitcnt lgkmcnt(1)
	v_lshlrev_b64 v[5:6], 3, v[5:6]
	s_delay_alu instid0(VALU_DEP_1) | instskip(NEXT) | instid1(VALU_DEP_2)
	v_add_co_u32 v5, vcc_lo, s54, v5
	v_add_co_ci_u32_e32 v6, vcc_lo, s55, v6, vcc_lo
	s_delay_alu instid0(VALU_DEP_2) | instskip(NEXT) | instid1(VALU_DEP_2)
	v_add_co_u32 v5, vcc_lo, v5, v9
	v_add_co_ci_u32_e32 v6, vcc_lo, 0, v6, vcc_lo
	s_waitcnt lgkmcnt(0)
	global_store_b64 v[5:6], v[7:8], off
	s_or_b32 exec_lo, exec_lo, s2
	s_and_saveexec_b32 s2, s26
	s_cbranch_execz .LBB25_214
.LBB25_345:
	v_lshlrev_b32_e32 v5, 3, v96
	v_lshlrev_b32_e32 v7, 3, v1
	v_lshlrev_b32_e32 v9, 3, v69
	ds_load_b64 v[5:6], v5
	ds_load_b64 v[7:8], v7 offset:40960
	s_waitcnt lgkmcnt(1)
	v_lshlrev_b64 v[5:6], 3, v[5:6]
	s_delay_alu instid0(VALU_DEP_1) | instskip(NEXT) | instid1(VALU_DEP_2)
	v_add_co_u32 v5, vcc_lo, s54, v5
	v_add_co_ci_u32_e32 v6, vcc_lo, s55, v6, vcc_lo
	s_delay_alu instid0(VALU_DEP_2) | instskip(NEXT) | instid1(VALU_DEP_2)
	v_add_co_u32 v5, vcc_lo, v5, v9
	v_add_co_ci_u32_e32 v6, vcc_lo, 0, v6, vcc_lo
	s_waitcnt lgkmcnt(0)
	global_store_b64 v[5:6], v[7:8], off
	s_or_b32 exec_lo, exec_lo, s2
	s_and_saveexec_b32 s2, s25
	s_cbranch_execz .LBB25_215
.LBB25_346:
	v_lshlrev_b32_e32 v5, 3, v50
	v_lshlrev_b32_e32 v7, 3, v1
	;; [unrolled: 1-line block ×3, first 2 shown]
	ds_load_b64 v[5:6], v5
	ds_load_b64 v[7:8], v7 offset:43008
	s_waitcnt lgkmcnt(1)
	v_lshlrev_b64 v[5:6], 3, v[5:6]
	s_delay_alu instid0(VALU_DEP_1) | instskip(NEXT) | instid1(VALU_DEP_2)
	v_add_co_u32 v5, vcc_lo, s54, v5
	v_add_co_ci_u32_e32 v6, vcc_lo, s55, v6, vcc_lo
	s_delay_alu instid0(VALU_DEP_2) | instskip(NEXT) | instid1(VALU_DEP_2)
	v_add_co_u32 v5, vcc_lo, v5, v9
	v_add_co_ci_u32_e32 v6, vcc_lo, 0, v6, vcc_lo
	s_waitcnt lgkmcnt(0)
	global_store_b64 v[5:6], v[7:8], off
	s_or_b32 exec_lo, exec_lo, s2
	s_and_saveexec_b32 s2, s24
	s_cbranch_execnz .LBB25_216
	s_branch .LBB25_217
	.section	.rodata,"a",@progbits
	.p2align	6, 0x0
	.amdhsa_kernel _ZN7rocprim17ROCPRIM_304000_NS6detail25onesweep_iteration_kernelINS1_34wrapped_radix_sort_onesweep_configINS0_14default_configEhN2at4cuda3cub6detail10OpaqueTypeILi8EEEEELb0EPhSC_PSA_SD_mNS0_19identity_decomposerEEEvT1_T2_T3_T4_jPT5_SK_PNS1_23onesweep_lookback_stateET6_jjj
		.amdhsa_group_segment_fixed_size 47104
		.amdhsa_private_segment_fixed_size 0
		.amdhsa_kernarg_size 336
		.amdhsa_user_sgpr_count 15
		.amdhsa_user_sgpr_dispatch_ptr 0
		.amdhsa_user_sgpr_queue_ptr 0
		.amdhsa_user_sgpr_kernarg_segment_ptr 1
		.amdhsa_user_sgpr_dispatch_id 0
		.amdhsa_user_sgpr_private_segment_size 0
		.amdhsa_wavefront_size32 1
		.amdhsa_uses_dynamic_stack 0
		.amdhsa_enable_private_segment 0
		.amdhsa_system_sgpr_workgroup_id_x 1
		.amdhsa_system_sgpr_workgroup_id_y 0
		.amdhsa_system_sgpr_workgroup_id_z 0
		.amdhsa_system_sgpr_workgroup_info 0
		.amdhsa_system_vgpr_workitem_id 2
		.amdhsa_next_free_vgpr 128
		.amdhsa_next_free_sgpr 72
		.amdhsa_reserve_vcc 1
		.amdhsa_float_round_mode_32 0
		.amdhsa_float_round_mode_16_64 0
		.amdhsa_float_denorm_mode_32 3
		.amdhsa_float_denorm_mode_16_64 3
		.amdhsa_dx10_clamp 1
		.amdhsa_ieee_mode 1
		.amdhsa_fp16_overflow 0
		.amdhsa_workgroup_processor_mode 1
		.amdhsa_memory_ordered 1
		.amdhsa_forward_progress 0
		.amdhsa_shared_vgpr_count 0
		.amdhsa_exception_fp_ieee_invalid_op 0
		.amdhsa_exception_fp_denorm_src 0
		.amdhsa_exception_fp_ieee_div_zero 0
		.amdhsa_exception_fp_ieee_overflow 0
		.amdhsa_exception_fp_ieee_underflow 0
		.amdhsa_exception_fp_ieee_inexact 0
		.amdhsa_exception_int_div_zero 0
	.end_amdhsa_kernel
	.section	.text._ZN7rocprim17ROCPRIM_304000_NS6detail25onesweep_iteration_kernelINS1_34wrapped_radix_sort_onesweep_configINS0_14default_configEhN2at4cuda3cub6detail10OpaqueTypeILi8EEEEELb0EPhSC_PSA_SD_mNS0_19identity_decomposerEEEvT1_T2_T3_T4_jPT5_SK_PNS1_23onesweep_lookback_stateET6_jjj,"axG",@progbits,_ZN7rocprim17ROCPRIM_304000_NS6detail25onesweep_iteration_kernelINS1_34wrapped_radix_sort_onesweep_configINS0_14default_configEhN2at4cuda3cub6detail10OpaqueTypeILi8EEEEELb0EPhSC_PSA_SD_mNS0_19identity_decomposerEEEvT1_T2_T3_T4_jPT5_SK_PNS1_23onesweep_lookback_stateET6_jjj,comdat
.Lfunc_end25:
	.size	_ZN7rocprim17ROCPRIM_304000_NS6detail25onesweep_iteration_kernelINS1_34wrapped_radix_sort_onesweep_configINS0_14default_configEhN2at4cuda3cub6detail10OpaqueTypeILi8EEEEELb0EPhSC_PSA_SD_mNS0_19identity_decomposerEEEvT1_T2_T3_T4_jPT5_SK_PNS1_23onesweep_lookback_stateET6_jjj, .Lfunc_end25-_ZN7rocprim17ROCPRIM_304000_NS6detail25onesweep_iteration_kernelINS1_34wrapped_radix_sort_onesweep_configINS0_14default_configEhN2at4cuda3cub6detail10OpaqueTypeILi8EEEEELb0EPhSC_PSA_SD_mNS0_19identity_decomposerEEEvT1_T2_T3_T4_jPT5_SK_PNS1_23onesweep_lookback_stateET6_jjj
                                        ; -- End function
	.section	.AMDGPU.csdata,"",@progbits
; Kernel info:
; codeLenInByte = 31396
; NumSgprs: 74
; NumVgprs: 128
; ScratchSize: 0
; MemoryBound: 0
; FloatMode: 240
; IeeeMode: 1
; LDSByteSize: 47104 bytes/workgroup (compile time only)
; SGPRBlocks: 9
; VGPRBlocks: 15
; NumSGPRsForWavesPerEU: 74
; NumVGPRsForWavesPerEU: 128
; Occupancy: 4
; WaveLimiterHint : 1
; COMPUTE_PGM_RSRC2:SCRATCH_EN: 0
; COMPUTE_PGM_RSRC2:USER_SGPR: 15
; COMPUTE_PGM_RSRC2:TRAP_HANDLER: 0
; COMPUTE_PGM_RSRC2:TGID_X_EN: 1
; COMPUTE_PGM_RSRC2:TGID_Y_EN: 0
; COMPUTE_PGM_RSRC2:TGID_Z_EN: 0
; COMPUTE_PGM_RSRC2:TIDIG_COMP_CNT: 2
	.section	.text._ZN7rocprim17ROCPRIM_304000_NS6detail28radix_sort_block_sort_kernelINS1_36wrapped_radix_sort_block_sort_configINS0_13kernel_configILj256ELj4ELj4294967295EEEaN2at4cuda3cub6detail10OpaqueTypeILi8EEEEELb1EPKaPaPKSB_PSB_NS0_19identity_decomposerEEEvT1_T2_T3_T4_jT5_jj,"axG",@progbits,_ZN7rocprim17ROCPRIM_304000_NS6detail28radix_sort_block_sort_kernelINS1_36wrapped_radix_sort_block_sort_configINS0_13kernel_configILj256ELj4ELj4294967295EEEaN2at4cuda3cub6detail10OpaqueTypeILi8EEEEELb1EPKaPaPKSB_PSB_NS0_19identity_decomposerEEEvT1_T2_T3_T4_jT5_jj,comdat
	.protected	_ZN7rocprim17ROCPRIM_304000_NS6detail28radix_sort_block_sort_kernelINS1_36wrapped_radix_sort_block_sort_configINS0_13kernel_configILj256ELj4ELj4294967295EEEaN2at4cuda3cub6detail10OpaqueTypeILi8EEEEELb1EPKaPaPKSB_PSB_NS0_19identity_decomposerEEEvT1_T2_T3_T4_jT5_jj ; -- Begin function _ZN7rocprim17ROCPRIM_304000_NS6detail28radix_sort_block_sort_kernelINS1_36wrapped_radix_sort_block_sort_configINS0_13kernel_configILj256ELj4ELj4294967295EEEaN2at4cuda3cub6detail10OpaqueTypeILi8EEEEELb1EPKaPaPKSB_PSB_NS0_19identity_decomposerEEEvT1_T2_T3_T4_jT5_jj
	.globl	_ZN7rocprim17ROCPRIM_304000_NS6detail28radix_sort_block_sort_kernelINS1_36wrapped_radix_sort_block_sort_configINS0_13kernel_configILj256ELj4ELj4294967295EEEaN2at4cuda3cub6detail10OpaqueTypeILi8EEEEELb1EPKaPaPKSB_PSB_NS0_19identity_decomposerEEEvT1_T2_T3_T4_jT5_jj
	.p2align	8
	.type	_ZN7rocprim17ROCPRIM_304000_NS6detail28radix_sort_block_sort_kernelINS1_36wrapped_radix_sort_block_sort_configINS0_13kernel_configILj256ELj4ELj4294967295EEEaN2at4cuda3cub6detail10OpaqueTypeILi8EEEEELb1EPKaPaPKSB_PSB_NS0_19identity_decomposerEEEvT1_T2_T3_T4_jT5_jj,@function
_ZN7rocprim17ROCPRIM_304000_NS6detail28radix_sort_block_sort_kernelINS1_36wrapped_radix_sort_block_sort_configINS0_13kernel_configILj256ELj4ELj4294967295EEEaN2at4cuda3cub6detail10OpaqueTypeILi8EEEEELb1EPKaPaPKSB_PSB_NS0_19identity_decomposerEEEvT1_T2_T3_T4_jT5_jj: ; @_ZN7rocprim17ROCPRIM_304000_NS6detail28radix_sort_block_sort_kernelINS1_36wrapped_radix_sort_block_sort_configINS0_13kernel_configILj256ELj4ELj4294967295EEEaN2at4cuda3cub6detail10OpaqueTypeILi8EEEEELb1EPKaPaPKSB_PSB_NS0_19identity_decomposerEEEvT1_T2_T3_T4_jT5_jj
; %bb.0:
	s_clause 0x1
	s_load_b32 s2, s[0:1], 0x20
	s_load_b256 s[16:23], s[0:1], 0x0
	v_and_b32_e32 v8, 0x3ff, v0
	v_mbcnt_lo_u32_b32 v7, -1, 0
	s_lshl_b32 s24, s15, 10
	s_mov_b32 s25, 0
	s_delay_alu instid0(VALU_DEP_2) | instskip(NEXT) | instid1(VALU_DEP_2)
	v_lshlrev_b32_e32 v1, 2, v8
	v_lshlrev_b32_e32 v16, 3, v7
	s_delay_alu instid0(VALU_DEP_2) | instskip(NEXT) | instid1(VALU_DEP_1)
	v_and_b32_e32 v18, 0x380, v1
	v_lshlrev_b32_e32 v17, 3, v18
	v_add_nc_u32_e32 v15, v7, v18
	s_waitcnt lgkmcnt(0)
	s_lshr_b32 s3, s2, 10
	s_delay_alu instid0(SALU_CYCLE_1) | instskip(SKIP_4) | instid1(VALU_DEP_1)
	s_cmp_lg_u32 s15, s3
	s_cselect_b32 s26, -1, 0
	s_add_u32 s4, s16, s24
	s_addc_u32 s5, s17, 0
	v_add_co_u32 v1, s4, s4, v7
	v_add_co_ci_u32_e64 v2, null, s5, 0, s4
	s_cmp_eq_u32 s15, s3
	s_delay_alu instid0(VALU_DEP_2) | instskip(NEXT) | instid1(VALU_DEP_2)
	v_add_co_u32 v9, vcc_lo, v1, v18
	v_add_co_ci_u32_e32 v10, vcc_lo, 0, v2, vcc_lo
	s_mov_b32 s3, -1
	s_cbranch_scc1 .LBB26_2
; %bb.1:
	s_lshl_b64 s[4:5], s[24:25], 3
	v_add_nc_u32_e32 v28, v7, v18
	s_add_u32 s3, s20, s4
	s_addc_u32 s4, s21, s5
	v_add_co_u32 v1, s3, s3, v16
	s_delay_alu instid0(VALU_DEP_1) | instskip(SKIP_1) | instid1(VALU_DEP_3)
	v_add_co_ci_u32_e64 v2, null, s4, 0, s3
	v_add_nc_u32_e32 v25, 32, v28
	v_add_co_u32 v19, vcc_lo, v1, v17
	s_delay_alu instid0(VALU_DEP_3)
	v_add_co_ci_u32_e32 v20, vcc_lo, 0, v2, vcc_lo
	s_clause 0x3
	global_load_u8 v12, v[9:10], off offset:96
	global_load_u8 v14, v[9:10], off offset:64
	;; [unrolled: 1-line block ×3, first 2 shown]
	global_load_u8 v11, v[9:10], off
	s_clause 0x3
	global_load_b64 v[1:2], v[19:20], off
	global_load_b64 v[3:4], v[19:20], off offset:256
	global_load_b64 v[5:6], v[19:20], off offset:512
	;; [unrolled: 1-line block ×3, first 2 shown]
	v_add_nc_u32_e32 v26, 64, v28
	v_add_nc_u32_e32 v27, 0x60, v28
	s_mov_b32 s3, s25
	s_delay_alu instid0(SALU_CYCLE_1)
	s_and_not1_b32 vcc_lo, exec_lo, s3
	s_sub_i32 s16, s2, s24
	s_cbranch_vccz .LBB26_3
	s_branch .LBB26_17
.LBB26_2:
                                        ; implicit-def: $vgpr11
                                        ; implicit-def: $vgpr13
                                        ; implicit-def: $vgpr14
                                        ; implicit-def: $vgpr12
                                        ; implicit-def: $vgpr1_vgpr2
                                        ; implicit-def: $vgpr3_vgpr4
                                        ; implicit-def: $vgpr5_vgpr6
                                        ; implicit-def: $vgpr21_vgpr22
                                        ; implicit-def: $vgpr28
                                        ; implicit-def: $vgpr25
                                        ; implicit-def: $vgpr26
                                        ; implicit-def: $vgpr27
	s_and_not1_b32 vcc_lo, exec_lo, s3
	s_sub_i32 s16, s2, s24
	s_cbranch_vccnz .LBB26_17
.LBB26_3:
	v_cmp_gt_u32_e32 vcc_lo, s16, v15
	s_waitcnt vmcnt(4)
	v_dual_mov_b32 v11, 0x80 :: v_dual_mov_b32 v12, 0x80
	v_dual_mov_b32 v13, 0x80 :: v_dual_mov_b32 v14, 0x80
	s_and_saveexec_b32 s2, vcc_lo
	s_cbranch_execz .LBB26_5
; %bb.4:
	global_load_u8 v11, v[9:10], off
	v_dual_mov_b32 v13, 0x80 :: v_dual_mov_b32 v14, 0x80
	v_mov_b32_e32 v12, 0x80
.LBB26_5:
	s_or_b32 exec_lo, exec_lo, s2
	v_add_nc_u32_e32 v25, 32, v15
	s_delay_alu instid0(VALU_DEP_1) | instskip(NEXT) | instid1(VALU_DEP_1)
	v_cmp_gt_u32_e64 s2, s16, v25
	s_and_saveexec_b32 s3, s2
	s_cbranch_execz .LBB26_7
; %bb.6:
	global_load_u8 v13, v[9:10], off offset:32
.LBB26_7:
	s_or_b32 exec_lo, exec_lo, s3
	v_add_nc_u32_e32 v26, 64, v15
	s_delay_alu instid0(VALU_DEP_1) | instskip(NEXT) | instid1(VALU_DEP_1)
	v_cmp_gt_u32_e64 s3, s16, v26
	s_and_saveexec_b32 s4, s3
	s_cbranch_execz .LBB26_9
; %bb.8:
	global_load_u8 v14, v[9:10], off offset:64
.LBB26_9:
	;; [unrolled: 9-line block ×3, first 2 shown]
	s_or_b32 exec_lo, exec_lo, s5
	s_lshl_b64 s[6:7], s[24:25], 3
	s_delay_alu instid0(SALU_CYCLE_1) | instskip(SKIP_3) | instid1(VALU_DEP_1)
	s_add_u32 s5, s20, s6
	s_addc_u32 s6, s21, s7
	s_waitcnt vmcnt(3)
	v_add_co_u32 v1, s5, s5, v16
	v_add_co_ci_u32_e64 v2, null, s6, 0, s5
	s_delay_alu instid0(VALU_DEP_2) | instskip(NEXT) | instid1(VALU_DEP_1)
	v_add_co_u32 v9, s5, v1, v17
	v_add_co_ci_u32_e64 v10, s5, 0, v2, s5
                                        ; implicit-def: $vgpr1_vgpr2
	s_and_saveexec_b32 s5, vcc_lo
	s_cbranch_execnz .LBB26_54
; %bb.12:
	s_or_b32 exec_lo, exec_lo, s5
                                        ; implicit-def: $vgpr3_vgpr4
	s_and_saveexec_b32 s5, s2
	s_cbranch_execnz .LBB26_55
.LBB26_13:
	s_or_b32 exec_lo, exec_lo, s5
                                        ; implicit-def: $vgpr5_vgpr6
	s_and_saveexec_b32 s2, s3
	s_cbranch_execnz .LBB26_56
.LBB26_14:
	s_or_b32 exec_lo, exec_lo, s2
                                        ; implicit-def: $vgpr21_vgpr22
	s_and_saveexec_b32 s2, s4
	s_cbranch_execz .LBB26_16
.LBB26_15:
	global_load_b64 v[21:22], v[9:10], off offset:768
.LBB26_16:
	s_or_b32 exec_lo, exec_lo, s2
	v_mov_b32_e32 v28, v15
.LBB26_17:
	s_clause 0x1
	s_load_b32 s2, s[0:1], 0x3c
	s_load_b64 s[14:15], s[0:1], 0x28
	s_waitcnt vmcnt(0)
	v_xor_b32_e32 v9, 0x7f, v11
	v_xor_b32_e32 v11, 0x7f, v14
	;; [unrolled: 1-line block ×3, first 2 shown]
	s_mov_b32 s20, 0
	v_xor_b32_e32 v10, 0x7f, v13
	v_bfe_u32 v13, v0, 10, 10
	v_bfe_u32 v0, v0, 20, 10
	v_and_b32_e32 v11, 0xff, v11
	v_lshlrev_b16 v12, 8, v12
	s_mov_b32 s28, s20
	s_mov_b32 s29, s20
	v_and_b32_e32 v16, 0x3e0, v8
	v_and_b32_e32 v9, 0xff, v9
	v_lshlrev_b16 v10, 8, v10
	v_or_b32_e32 v11, v11, v12
	v_add_nc_u32_e32 v17, -1, v7
	v_min_u32_e32 v16, 0xe0, v16
	s_mov_b32 s21, s20
	s_waitcnt lgkmcnt(0)
	s_lshr_b32 s1, s2, 16
	v_and_b32_e32 v14, 15, v7
	v_mad_u32_u24 v0, v0, s1, v13
	s_and_b32 s1, s2, 0xffff
	v_or_b32_e32 v13, v9, v10
	v_and_b32_e32 v15, 16, v7
	v_cmp_eq_u32_e64 s8, 0, v7
	v_mad_u64_u32 v[9:10], null, v0, s1, v[8:9]
	v_lshlrev_b32_e32 v10, 16, v11
	v_or_b32_e32 v11, 31, v16
	v_and_b32_e32 v0, 0xffff, v13
	v_mul_lo_u32 v13, v25, 7
	v_cmp_gt_u32_e64 s6, 8, v8
	v_cmp_lt_u32_e64 s7, 31, v8
	v_cmp_eq_u32_e64 s5, v11, v8
	v_dual_mov_b32 v11, s28 :: v_dual_mov_b32 v12, s29
	v_cmp_gt_i32_e32 vcc_lo, 0, v17
	v_lshlrev_b32_e32 v29, 5, v8
	v_or_b32_e32 v40, v0, v10
	v_lshrrev_b32_e32 v31, 5, v9
	v_lshrrev_b32_e32 v9, 3, v8
	v_cndmask_b32_e32 v0, v17, v7, vcc_lo
	v_add_nc_u32_e32 v30, 32, v29
	v_cmp_eq_u32_e64 s9, 0, v8
	v_add_nc_u32_e32 v37, v25, v13
	v_and_b32_e32 v33, 0x7c, v9
	v_lshlrev_b32_e32 v32, 2, v0
	v_dual_mov_b32 v9, s20 :: v_dual_and_b32 v0, 7, v7
	v_cmp_eq_u32_e64 s0, 0, v14
	v_cmp_lt_u32_e64 s1, 1, v14
	v_cmp_lt_u32_e64 s2, 3, v14
	;; [unrolled: 1-line block ×3, first 2 shown]
	v_cmp_eq_u32_e64 s10, 0, v0
	v_cmp_lt_u32_e64 s11, 1, v0
	v_cmp_lt_u32_e64 s12, 3, v0
	v_mul_lo_u32 v0, v28, 7
	v_mul_lo_u32 v14, v26, 7
	v_mov_b32_e32 v10, s21
	v_cmp_eq_u32_e64 s4, 0, v15
	v_mul_lo_u32 v15, v27, 7
	v_mul_i32_i24_e32 v7, 0xffffffe4, v8
	v_add_nc_u32_e32 v34, -4, v33
	s_add_i32 s17, s15, s14
	v_add_nc_u32_e32 v36, v28, v0
	v_add_nc_u32_e32 v38, v26, v14
	v_add_nc_u32_e32 v35, v29, v7
	v_add_nc_u32_e32 v39, v27, v15
	s_branch .LBB26_19
.LBB26_18:                              ;   in Loop: Header=BB26_19 Depth=1
	s_barrier
	buffer_gl0_inv
	ds_store_b8 v24, v40
	ds_store_b8 v23, v48
	;; [unrolled: 1-line block ×4, first 2 shown]
	s_waitcnt lgkmcnt(0)
	s_barrier
	buffer_gl0_inv
	ds_load_u8 v5, v25
	ds_load_u8 v6, v27
	;; [unrolled: 1-line block ×4, first 2 shown]
	v_mad_u64_u32 v[1:2], null, v24, 7, v[24:25]
	v_mad_u64_u32 v[2:3], null, v23, 7, v[23:24]
	;; [unrolled: 1-line block ×3, first 2 shown]
	s_waitcnt lgkmcnt(0)
	s_barrier
	buffer_gl0_inv
	s_add_i32 s15, s15, -8
	v_lshlrev_b16 v43, 8, v5
	v_mad_u64_u32 v[4:5], null, v0, 7, v[0:1]
	v_lshlrev_b16 v44, 8, v6
	ds_store_b64 v1, v[19:20]
	ds_store_b64 v2, v[17:18]
	;; [unrolled: 1-line block ×4, first 2 shown]
	s_waitcnt lgkmcnt(0)
	s_barrier
	buffer_gl0_inv
	ds_load_b64 v[1:2], v36
	ds_load_b64 v[3:4], v37
	;; [unrolled: 1-line block ×4, first 2 shown]
	v_or_b32_e32 v40, v40, v43
	v_or_b32_e32 v41, v41, v44
	s_waitcnt lgkmcnt(0)
	s_barrier
	buffer_gl0_inv
	v_and_b32_e32 v40, 0xffff, v40
	v_lshlrev_b32_e32 v41, 16, v41
	s_delay_alu instid0(VALU_DEP_1)
	v_or_b32_e32 v40, v40, v41
	s_cbranch_execz .LBB26_35
.LBB26_19:                              ; =>This Inner Loop Header: Depth=1
	s_delay_alu instid0(VALU_DEP_1)
	v_and_b32_e32 v0, 0xff, v40
	s_min_u32 s13, s15, 8
	ds_store_2addr_b64 v29, v[9:10], v[11:12] offset0:4 offset1:5
	ds_store_2addr_b64 v30, v[9:10], v[11:12] offset0:2 offset1:3
	s_lshl_b32 s13, -1, s13
	s_waitcnt lgkmcnt(0)
	v_lshrrev_b32_e32 v0, s14, v0
	s_not_b32 s20, s13
	s_barrier
	buffer_gl0_inv
	v_and_b32_e32 v7, s20, v0
	; wave barrier
	s_delay_alu instid0(VALU_DEP_1)
	v_and_b32_e32 v0, 1, v7
	v_lshlrev_b32_e32 v13, 30, v7
	v_lshlrev_b32_e32 v14, 29, v7
	;; [unrolled: 1-line block ×4, first 2 shown]
	v_add_co_u32 v0, s13, v0, -1
	s_delay_alu instid0(VALU_DEP_1)
	v_cndmask_b32_e64 v16, 0, 1, s13
	v_not_b32_e32 v20, v13
	v_cmp_gt_i32_e64 s13, 0, v13
	v_not_b32_e32 v13, v14
	v_lshlrev_b32_e32 v19, 25, v7
	v_cmp_ne_u32_e32 vcc_lo, 0, v16
	v_ashrrev_i32_e32 v20, 31, v20
	s_delay_alu instid0(VALU_DEP_4)
	v_ashrrev_i32_e32 v13, 31, v13
	v_xor_b32_e32 v0, vcc_lo, v0
	v_cmp_gt_i32_e32 vcc_lo, 0, v14
	v_not_b32_e32 v14, v15
	v_xor_b32_e32 v20, s13, v20
	v_cmp_gt_i32_e64 s13, 0, v15
	v_and_b32_e32 v0, exec_lo, v0
	v_not_b32_e32 v15, v17
	v_xor_b32_e32 v13, vcc_lo, v13
	v_cmp_gt_i32_e32 vcc_lo, 0, v17
	v_ashrrev_i32_e32 v14, 31, v14
	v_and_b32_e32 v0, v0, v20
	v_ashrrev_i32_e32 v15, 31, v15
	s_delay_alu instid0(VALU_DEP_3) | instskip(NEXT) | instid1(VALU_DEP_3)
	v_xor_b32_e32 v14, s13, v14
	v_and_b32_e32 v0, v0, v13
	v_not_b32_e32 v13, v19
	s_delay_alu instid0(VALU_DEP_4)
	v_xor_b32_e32 v15, vcc_lo, v15
	v_cmp_gt_i32_e32 vcc_lo, 0, v19
	v_mov_b32_e32 v20, v2
	v_lshlrev_b32_e32 v18, 26, v7
	v_lshlrev_b32_e32 v16, 24, v7
	v_and_b32_e32 v0, v0, v14
	v_ashrrev_i32_e32 v13, 31, v13
	v_mov_b32_e32 v19, v1
	v_not_b32_e32 v17, v18
	v_cmp_gt_i32_e64 s13, 0, v18
	v_not_b32_e32 v14, v16
	v_and_b32_e32 v0, v0, v15
	v_xor_b32_e32 v13, vcc_lo, v13
	v_ashrrev_i32_e32 v17, 31, v17
	v_lshl_add_u32 v1, v7, 3, v31
	v_ashrrev_i32_e32 v14, 31, v14
	s_delay_alu instid0(VALU_DEP_3) | instskip(SKIP_2) | instid1(VALU_DEP_3)
	v_xor_b32_e32 v17, s13, v17
	v_cmp_gt_i32_e64 s13, 0, v16
	v_dual_mov_b32 v16, v6 :: v_dual_mov_b32 v15, v5
	v_and_b32_e32 v0, v0, v17
	s_delay_alu instid0(VALU_DEP_3) | instskip(SKIP_1) | instid1(VALU_DEP_3)
	v_xor_b32_e32 v14, s13, v14
	v_dual_mov_b32 v18, v4 :: v_dual_mov_b32 v17, v3
	v_and_b32_e32 v0, v0, v13
	s_delay_alu instid0(VALU_DEP_1) | instskip(SKIP_2) | instid1(VALU_DEP_3)
	v_dual_mov_b32 v13, v21 :: v_dual_and_b32 v0, v0, v14
	v_mov_b32_e32 v14, v22
	v_lshl_add_u32 v22, v1, 2, 32
	v_mbcnt_lo_u32_b32 v21, v0, 0
	v_cmp_ne_u32_e64 s13, 0, v0
	s_delay_alu instid0(VALU_DEP_2) | instskip(NEXT) | instid1(VALU_DEP_2)
	v_cmp_eq_u32_e32 vcc_lo, 0, v21
	s_and_b32 s21, s13, vcc_lo
	s_delay_alu instid0(SALU_CYCLE_1)
	s_and_saveexec_b32 s13, s21
	s_cbranch_execz .LBB26_21
; %bb.20:                               ;   in Loop: Header=BB26_19 Depth=1
	v_bcnt_u32_b32 v0, v0, 0
	ds_store_b32 v22, v0
.LBB26_21:                              ;   in Loop: Header=BB26_19 Depth=1
	s_or_b32 exec_lo, exec_lo, s13
	v_bfe_u32 v0, v40, 8, 8
	; wave barrier
	s_delay_alu instid0(VALU_DEP_1) | instskip(NEXT) | instid1(VALU_DEP_1)
	v_lshrrev_b32_e32 v0, s14, v0
	v_and_b32_e32 v0, s20, v0
	s_delay_alu instid0(VALU_DEP_1)
	v_and_b32_e32 v1, 1, v0
	v_lshlrev_b32_e32 v2, 30, v0
	v_lshlrev_b32_e32 v3, 29, v0
	;; [unrolled: 1-line block ×4, first 2 shown]
	v_add_co_u32 v1, s13, v1, -1
	s_delay_alu instid0(VALU_DEP_1)
	v_cndmask_b32_e64 v5, 0, 1, s13
	v_not_b32_e32 v24, v2
	v_cmp_gt_i32_e64 s13, 0, v2
	v_not_b32_e32 v2, v3
	v_lshlrev_b32_e32 v7, 26, v0
	v_cmp_ne_u32_e32 vcc_lo, 0, v5
	v_ashrrev_i32_e32 v24, 31, v24
	v_lshlrev_b32_e32 v23, 25, v0
	v_ashrrev_i32_e32 v2, 31, v2
	v_lshlrev_b32_e32 v5, 24, v0
	v_xor_b32_e32 v1, vcc_lo, v1
	v_cmp_gt_i32_e32 vcc_lo, 0, v3
	v_not_b32_e32 v3, v4
	v_xor_b32_e32 v24, s13, v24
	v_cmp_gt_i32_e64 s13, 0, v4
	v_and_b32_e32 v1, exec_lo, v1
	v_not_b32_e32 v4, v6
	v_ashrrev_i32_e32 v3, 31, v3
	v_xor_b32_e32 v2, vcc_lo, v2
	v_cmp_gt_i32_e32 vcc_lo, 0, v6
	v_and_b32_e32 v1, v1, v24
	v_not_b32_e32 v6, v7
	v_ashrrev_i32_e32 v4, 31, v4
	v_xor_b32_e32 v3, s13, v3
	v_cmp_gt_i32_e64 s13, 0, v7
	v_and_b32_e32 v1, v1, v2
	v_not_b32_e32 v2, v23
	v_ashrrev_i32_e32 v6, 31, v6
	v_xor_b32_e32 v4, vcc_lo, v4
	v_cmp_gt_i32_e32 vcc_lo, 0, v23
	v_and_b32_e32 v1, v1, v3
	v_not_b32_e32 v3, v5
	v_ashrrev_i32_e32 v2, 31, v2
	v_xor_b32_e32 v6, s13, v6
	v_lshlrev_b32_e32 v0, 3, v0
	v_and_b32_e32 v1, v1, v4
	v_cmp_gt_i32_e64 s13, 0, v5
	v_ashrrev_i32_e32 v3, 31, v3
	v_xor_b32_e32 v2, vcc_lo, v2
	v_add_lshl_u32 v4, v0, v31, 2
	v_and_b32_e32 v1, v1, v6
	s_delay_alu instid0(VALU_DEP_4) | instskip(SKIP_3) | instid1(VALU_DEP_2)
	v_xor_b32_e32 v0, s13, v3
	ds_load_b32 v23, v4 offset:32
	v_and_b32_e32 v1, v1, v2
	v_add_nc_u32_e32 v24, 32, v4
	; wave barrier
	v_and_b32_e32 v0, v1, v0
	s_delay_alu instid0(VALU_DEP_1) | instskip(SKIP_1) | instid1(VALU_DEP_2)
	v_mbcnt_lo_u32_b32 v41, v0, 0
	v_cmp_ne_u32_e64 s13, 0, v0
	v_cmp_eq_u32_e32 vcc_lo, 0, v41
	s_delay_alu instid0(VALU_DEP_2) | instskip(NEXT) | instid1(SALU_CYCLE_1)
	s_and_b32 s21, s13, vcc_lo
	s_and_saveexec_b32 s13, s21
	s_cbranch_execz .LBB26_23
; %bb.22:                               ;   in Loop: Header=BB26_19 Depth=1
	s_waitcnt lgkmcnt(0)
	v_bcnt_u32_b32 v0, v0, v23
	ds_store_b32 v24, v0
.LBB26_23:                              ;   in Loop: Header=BB26_19 Depth=1
	s_or_b32 exec_lo, exec_lo, s13
	v_bfe_u32 v0, v40, 16, 8
	; wave barrier
	s_delay_alu instid0(VALU_DEP_1) | instskip(NEXT) | instid1(VALU_DEP_1)
	v_lshrrev_b32_e32 v0, s14, v0
	v_and_b32_e32 v0, s20, v0
	s_delay_alu instid0(VALU_DEP_1)
	v_and_b32_e32 v1, 1, v0
	v_lshlrev_b32_e32 v2, 30, v0
	v_lshlrev_b32_e32 v3, 29, v0
	;; [unrolled: 1-line block ×4, first 2 shown]
	v_add_co_u32 v1, s13, v1, -1
	s_delay_alu instid0(VALU_DEP_1)
	v_cndmask_b32_e64 v5, 0, 1, s13
	v_not_b32_e32 v43, v2
	v_cmp_gt_i32_e64 s13, 0, v2
	v_not_b32_e32 v2, v3
	v_lshlrev_b32_e32 v7, 26, v0
	v_cmp_ne_u32_e32 vcc_lo, 0, v5
	v_ashrrev_i32_e32 v43, 31, v43
	v_lshlrev_b32_e32 v42, 25, v0
	v_ashrrev_i32_e32 v2, 31, v2
	v_lshlrev_b32_e32 v5, 24, v0
	v_xor_b32_e32 v1, vcc_lo, v1
	v_cmp_gt_i32_e32 vcc_lo, 0, v3
	v_not_b32_e32 v3, v4
	v_xor_b32_e32 v43, s13, v43
	v_cmp_gt_i32_e64 s13, 0, v4
	v_and_b32_e32 v1, exec_lo, v1
	v_not_b32_e32 v4, v6
	v_ashrrev_i32_e32 v3, 31, v3
	v_xor_b32_e32 v2, vcc_lo, v2
	v_cmp_gt_i32_e32 vcc_lo, 0, v6
	v_and_b32_e32 v1, v1, v43
	v_not_b32_e32 v6, v7
	v_ashrrev_i32_e32 v4, 31, v4
	v_xor_b32_e32 v3, s13, v3
	v_cmp_gt_i32_e64 s13, 0, v7
	v_and_b32_e32 v1, v1, v2
	v_not_b32_e32 v2, v42
	v_ashrrev_i32_e32 v6, 31, v6
	v_xor_b32_e32 v4, vcc_lo, v4
	v_cmp_gt_i32_e32 vcc_lo, 0, v42
	v_and_b32_e32 v1, v1, v3
	v_not_b32_e32 v3, v5
	v_ashrrev_i32_e32 v2, 31, v2
	v_xor_b32_e32 v6, s13, v6
	v_lshlrev_b32_e32 v0, 3, v0
	v_and_b32_e32 v1, v1, v4
	v_cmp_gt_i32_e64 s13, 0, v5
	v_ashrrev_i32_e32 v3, 31, v3
	v_xor_b32_e32 v2, vcc_lo, v2
	v_add_lshl_u32 v4, v0, v31, 2
	v_and_b32_e32 v1, v1, v6
	s_delay_alu instid0(VALU_DEP_4) | instskip(SKIP_3) | instid1(VALU_DEP_2)
	v_xor_b32_e32 v0, s13, v3
	ds_load_b32 v43, v4 offset:32
	v_and_b32_e32 v1, v1, v2
	v_add_nc_u32_e32 v45, 32, v4
	; wave barrier
	v_and_b32_e32 v0, v1, v0
	s_delay_alu instid0(VALU_DEP_1) | instskip(SKIP_1) | instid1(VALU_DEP_2)
	v_mbcnt_lo_u32_b32 v44, v0, 0
	v_cmp_ne_u32_e64 s13, 0, v0
	v_cmp_eq_u32_e32 vcc_lo, 0, v44
	s_delay_alu instid0(VALU_DEP_2) | instskip(NEXT) | instid1(SALU_CYCLE_1)
	s_and_b32 s21, s13, vcc_lo
	s_and_saveexec_b32 s13, s21
	s_cbranch_execz .LBB26_25
; %bb.24:                               ;   in Loop: Header=BB26_19 Depth=1
	s_waitcnt lgkmcnt(0)
	v_bcnt_u32_b32 v0, v0, v43
	ds_store_b32 v45, v0
.LBB26_25:                              ;   in Loop: Header=BB26_19 Depth=1
	s_or_b32 exec_lo, exec_lo, s13
	v_lshrrev_b32_e32 v42, 24, v40
	; wave barrier
	s_delay_alu instid0(VALU_DEP_1) | instskip(NEXT) | instid1(VALU_DEP_1)
	v_lshrrev_b32_e32 v0, s14, v42
	v_and_b32_e32 v0, s20, v0
	s_delay_alu instid0(VALU_DEP_1)
	v_and_b32_e32 v1, 1, v0
	v_lshlrev_b32_e32 v2, 30, v0
	v_lshlrev_b32_e32 v3, 29, v0
	;; [unrolled: 1-line block ×4, first 2 shown]
	v_add_co_u32 v1, s13, v1, -1
	s_delay_alu instid0(VALU_DEP_1)
	v_cndmask_b32_e64 v5, 0, 1, s13
	v_not_b32_e32 v47, v2
	v_cmp_gt_i32_e64 s13, 0, v2
	v_not_b32_e32 v2, v3
	v_lshlrev_b32_e32 v7, 26, v0
	v_cmp_ne_u32_e32 vcc_lo, 0, v5
	v_ashrrev_i32_e32 v47, 31, v47
	v_lshlrev_b32_e32 v46, 25, v0
	v_ashrrev_i32_e32 v2, 31, v2
	v_lshlrev_b32_e32 v5, 24, v0
	v_xor_b32_e32 v1, vcc_lo, v1
	v_cmp_gt_i32_e32 vcc_lo, 0, v3
	v_not_b32_e32 v3, v4
	v_xor_b32_e32 v47, s13, v47
	v_cmp_gt_i32_e64 s13, 0, v4
	v_and_b32_e32 v1, exec_lo, v1
	v_not_b32_e32 v4, v6
	v_ashrrev_i32_e32 v3, 31, v3
	v_xor_b32_e32 v2, vcc_lo, v2
	v_cmp_gt_i32_e32 vcc_lo, 0, v6
	v_and_b32_e32 v1, v1, v47
	v_not_b32_e32 v6, v7
	v_ashrrev_i32_e32 v4, 31, v4
	v_xor_b32_e32 v3, s13, v3
	v_cmp_gt_i32_e64 s13, 0, v7
	v_and_b32_e32 v1, v1, v2
	v_not_b32_e32 v2, v46
	v_ashrrev_i32_e32 v6, 31, v6
	v_xor_b32_e32 v4, vcc_lo, v4
	v_cmp_gt_i32_e32 vcc_lo, 0, v46
	v_and_b32_e32 v1, v1, v3
	v_not_b32_e32 v3, v5
	v_ashrrev_i32_e32 v2, 31, v2
	v_xor_b32_e32 v6, s13, v6
	v_lshlrev_b32_e32 v0, 3, v0
	v_and_b32_e32 v1, v1, v4
	v_cmp_gt_i32_e64 s13, 0, v5
	v_ashrrev_i32_e32 v3, 31, v3
	v_xor_b32_e32 v2, vcc_lo, v2
	v_add_lshl_u32 v4, v0, v31, 2
	v_and_b32_e32 v1, v1, v6
	s_delay_alu instid0(VALU_DEP_4) | instskip(SKIP_3) | instid1(VALU_DEP_2)
	v_xor_b32_e32 v0, s13, v3
	ds_load_b32 v46, v4 offset:32
	v_and_b32_e32 v1, v1, v2
	v_add_nc_u32_e32 v48, 32, v4
	; wave barrier
	v_and_b32_e32 v0, v1, v0
	s_delay_alu instid0(VALU_DEP_1) | instskip(SKIP_1) | instid1(VALU_DEP_2)
	v_mbcnt_lo_u32_b32 v47, v0, 0
	v_cmp_ne_u32_e64 s13, 0, v0
	v_cmp_eq_u32_e32 vcc_lo, 0, v47
	s_delay_alu instid0(VALU_DEP_2) | instskip(NEXT) | instid1(SALU_CYCLE_1)
	s_and_b32 s20, s13, vcc_lo
	s_and_saveexec_b32 s13, s20
	s_cbranch_execz .LBB26_27
; %bb.26:                               ;   in Loop: Header=BB26_19 Depth=1
	s_waitcnt lgkmcnt(0)
	v_bcnt_u32_b32 v0, v0, v46
	ds_store_b32 v48, v0
.LBB26_27:                              ;   in Loop: Header=BB26_19 Depth=1
	s_or_b32 exec_lo, exec_lo, s13
	; wave barrier
	s_waitcnt lgkmcnt(0)
	s_barrier
	buffer_gl0_inv
	ds_load_2addr_b64 v[4:7], v29 offset0:4 offset1:5
	ds_load_2addr_b64 v[0:3], v30 offset0:2 offset1:3
	s_waitcnt lgkmcnt(1)
	v_add_nc_u32_e32 v49, v5, v4
	s_delay_alu instid0(VALU_DEP_1) | instskip(SKIP_1) | instid1(VALU_DEP_1)
	v_add3_u32 v49, v49, v6, v7
	s_waitcnt lgkmcnt(0)
	v_add3_u32 v49, v49, v0, v1
	s_delay_alu instid0(VALU_DEP_1) | instskip(NEXT) | instid1(VALU_DEP_1)
	v_add3_u32 v3, v49, v2, v3
	v_mov_b32_dpp v49, v3 row_shr:1 row_mask:0xf bank_mask:0xf
	s_delay_alu instid0(VALU_DEP_1) | instskip(NEXT) | instid1(VALU_DEP_1)
	v_cndmask_b32_e64 v49, v49, 0, s0
	v_add_nc_u32_e32 v3, v49, v3
	s_delay_alu instid0(VALU_DEP_1) | instskip(NEXT) | instid1(VALU_DEP_1)
	v_mov_b32_dpp v49, v3 row_shr:2 row_mask:0xf bank_mask:0xf
	v_cndmask_b32_e64 v49, 0, v49, s1
	s_delay_alu instid0(VALU_DEP_1) | instskip(NEXT) | instid1(VALU_DEP_1)
	v_add_nc_u32_e32 v3, v3, v49
	v_mov_b32_dpp v49, v3 row_shr:4 row_mask:0xf bank_mask:0xf
	s_delay_alu instid0(VALU_DEP_1) | instskip(NEXT) | instid1(VALU_DEP_1)
	v_cndmask_b32_e64 v49, 0, v49, s2
	v_add_nc_u32_e32 v3, v3, v49
	s_delay_alu instid0(VALU_DEP_1) | instskip(NEXT) | instid1(VALU_DEP_1)
	v_mov_b32_dpp v49, v3 row_shr:8 row_mask:0xf bank_mask:0xf
	v_cndmask_b32_e64 v49, 0, v49, s3
	s_delay_alu instid0(VALU_DEP_1) | instskip(SKIP_3) | instid1(VALU_DEP_1)
	v_add_nc_u32_e32 v3, v3, v49
	ds_swizzle_b32 v49, v3 offset:swizzle(BROADCAST,32,15)
	s_waitcnt lgkmcnt(0)
	v_cndmask_b32_e64 v49, v49, 0, s4
	v_add_nc_u32_e32 v3, v3, v49
	s_and_saveexec_b32 s13, s5
	s_cbranch_execz .LBB26_29
; %bb.28:                               ;   in Loop: Header=BB26_19 Depth=1
	ds_store_b32 v33, v3
.LBB26_29:                              ;   in Loop: Header=BB26_19 Depth=1
	s_or_b32 exec_lo, exec_lo, s13
	s_waitcnt lgkmcnt(0)
	s_barrier
	buffer_gl0_inv
	s_and_saveexec_b32 s13, s6
	s_cbranch_execz .LBB26_31
; %bb.30:                               ;   in Loop: Header=BB26_19 Depth=1
	ds_load_b32 v49, v35
	s_waitcnt lgkmcnt(0)
	v_mov_b32_dpp v50, v49 row_shr:1 row_mask:0xf bank_mask:0xf
	s_delay_alu instid0(VALU_DEP_1) | instskip(NEXT) | instid1(VALU_DEP_1)
	v_cndmask_b32_e64 v50, v50, 0, s10
	v_add_nc_u32_e32 v49, v50, v49
	s_delay_alu instid0(VALU_DEP_1) | instskip(NEXT) | instid1(VALU_DEP_1)
	v_mov_b32_dpp v50, v49 row_shr:2 row_mask:0xf bank_mask:0xf
	v_cndmask_b32_e64 v50, 0, v50, s11
	s_delay_alu instid0(VALU_DEP_1) | instskip(NEXT) | instid1(VALU_DEP_1)
	v_add_nc_u32_e32 v49, v49, v50
	v_mov_b32_dpp v50, v49 row_shr:4 row_mask:0xf bank_mask:0xf
	s_delay_alu instid0(VALU_DEP_1) | instskip(NEXT) | instid1(VALU_DEP_1)
	v_cndmask_b32_e64 v50, 0, v50, s12
	v_add_nc_u32_e32 v49, v49, v50
	ds_store_b32 v35, v49
.LBB26_31:                              ;   in Loop: Header=BB26_19 Depth=1
	s_or_b32 exec_lo, exec_lo, s13
	v_mov_b32_e32 v49, 0
	s_waitcnt lgkmcnt(0)
	s_barrier
	buffer_gl0_inv
	s_and_saveexec_b32 s13, s7
	s_cbranch_execz .LBB26_33
; %bb.32:                               ;   in Loop: Header=BB26_19 Depth=1
	ds_load_b32 v49, v34
.LBB26_33:                              ;   in Loop: Header=BB26_19 Depth=1
	s_or_b32 exec_lo, exec_lo, s13
	s_waitcnt lgkmcnt(0)
	v_add_nc_u32_e32 v3, v49, v3
	s_add_i32 s14, s14, 8
	s_delay_alu instid0(SALU_CYCLE_1) | instskip(SKIP_3) | instid1(VALU_DEP_1)
	s_cmp_ge_u32 s14, s17
	ds_bpermute_b32 v3, v32, v3
	s_waitcnt lgkmcnt(0)
	v_cndmask_b32_e64 v3, v3, v49, s8
	v_cndmask_b32_e64 v3, v3, 0, s9
	s_delay_alu instid0(VALU_DEP_1) | instskip(NEXT) | instid1(VALU_DEP_1)
	v_add_nc_u32_e32 v4, v3, v4
	v_add_nc_u32_e32 v5, v4, v5
	s_delay_alu instid0(VALU_DEP_1) | instskip(NEXT) | instid1(VALU_DEP_1)
	v_add_nc_u32_e32 v6, v5, v6
	v_add_nc_u32_e32 v49, v6, v7
	;; [unrolled: 3-line block ×3, first 2 shown]
	s_delay_alu instid0(VALU_DEP_1)
	v_add_nc_u32_e32 v1, v0, v2
	ds_store_2addr_b64 v29, v[3:4], v[5:6] offset0:4 offset1:5
	ds_store_2addr_b64 v30, v[49:50], v[0:1] offset0:2 offset1:3
	s_waitcnt lgkmcnt(0)
	s_barrier
	buffer_gl0_inv
	ds_load_b32 v0, v22
	ds_load_b32 v1, v24
	;; [unrolled: 1-line block ×4, first 2 shown]
	v_mov_b32_e32 v45, v40
	v_lshrrev_b32_e32 v48, 8, v40
	v_lshrrev_b32_e32 v49, 16, v40
	s_waitcnt lgkmcnt(0)
	v_add_nc_u32_e32 v24, v0, v21
	v_add3_u32 v23, v41, v23, v1
	v_add3_u32 v7, v44, v43, v2
	;; [unrolled: 1-line block ×3, first 2 shown]
	s_cbranch_scc0 .LBB26_18
; %bb.34:
                                        ; implicit-def: $sgpr14
                                        ; implicit-def: $vgpr40
                                        ; implicit-def: $vgpr1_vgpr2
                                        ; implicit-def: $vgpr3_vgpr4
                                        ; implicit-def: $vgpr5_vgpr6
                                        ; implicit-def: $vgpr21_vgpr22
.LBB26_35:
	v_mad_u64_u32 v[1:2], null, v24, 7, v[24:25]
	v_mad_u64_u32 v[2:3], null, v23, 7, v[23:24]
	v_mad_u64_u32 v[3:4], null, v7, 7, v[7:8]
	s_barrier
	buffer_gl0_inv
	v_mad_u64_u32 v[4:5], null, v0, 7, v[0:1]
	ds_store_b8 v24, v45
	ds_store_b8 v23, v48
	;; [unrolled: 1-line block ×4, first 2 shown]
	s_waitcnt lgkmcnt(0)
	s_barrier
	buffer_gl0_inv
	ds_load_u8 v9, v8
	ds_load_u8 v10, v8 offset:256
	ds_load_u8 v11, v8 offset:512
	;; [unrolled: 1-line block ×3, first 2 shown]
	v_mad_u32_u24 v0, v8, 7, v8
	s_waitcnt lgkmcnt(0)
	s_barrier
	buffer_gl0_inv
	ds_store_b64 v1, v[19:20]
	ds_store_b64 v2, v[17:18]
	;; [unrolled: 1-line block ×4, first 2 shown]
	s_waitcnt lgkmcnt(0)
	s_barrier
	buffer_gl0_inv
	ds_load_2addr_stride64_b64 v[4:7], v0 offset1:4
	ds_load_2addr_stride64_b64 v[0:3], v0 offset0:8 offset1:12
	s_add_u32 s0, s18, s24
	s_addc_u32 s1, s19, 0
	s_mov_b32 s2, 0
	s_and_not1_b32 vcc_lo, exec_lo, s26
	v_xor_b32_e32 v15, 0x7f, v9
	v_add_co_u32 v9, s0, s0, v8
	v_xor_b32_e32 v13, 0x7f, v10
	v_xor_b32_e32 v14, 0x7f, v11
	;; [unrolled: 1-line block ×3, first 2 shown]
	v_add_co_ci_u32_e64 v10, null, s1, 0, s0
	v_lshlrev_b32_e32 v11, 3, v8
	s_mov_b32 s0, -1
	s_cbranch_vccz .LBB26_39
; %bb.36:
	s_and_not1_b32 vcc_lo, exec_lo, s0
	s_cbranch_vccz .LBB26_40
.LBB26_37:
	s_and_saveexec_b32 s0, s2
	s_cbranch_execnz .LBB26_53
.LBB26_38:
	s_nop 0
	s_sendmsg sendmsg(MSG_DEALLOC_VGPRS)
	s_endpgm
.LBB26_39:
	s_lshl_b64 s[0:1], s[24:25], 3
	s_mov_b32 s2, -1
	s_add_u32 s4, s22, s0
	s_addc_u32 s5, s23, s1
	v_add_co_u32 v16, s0, s4, v11
	s_delay_alu instid0(VALU_DEP_1) | instskip(NEXT) | instid1(VALU_DEP_2)
	v_add_co_ci_u32_e64 v17, null, s5, 0, s0
	v_add_co_u32 v16, vcc_lo, 0x1000, v16
	s_delay_alu instid0(VALU_DEP_2)
	v_add_co_ci_u32_e32 v17, vcc_lo, 0, v17, vcc_lo
	s_clause 0x3
	global_store_b8 v[9:10], v15, off
	global_store_b8 v[9:10], v13, off offset:256
	global_store_b8 v[9:10], v14, off offset:512
	;; [unrolled: 1-line block ×3, first 2 shown]
	s_waitcnt lgkmcnt(1)
	s_clause 0x1
	global_store_b64 v11, v[6:7], s[4:5] offset:2048
	global_store_b64 v11, v[4:5], s[4:5]
	s_waitcnt lgkmcnt(0)
	global_store_b64 v[16:17], v[0:1], off
	s_cbranch_execnz .LBB26_37
.LBB26_40:
	v_cmp_gt_u32_e32 vcc_lo, s16, v8
	s_and_saveexec_b32 s0, vcc_lo
	s_cbranch_execz .LBB26_42
; %bb.41:
	global_store_b8 v[9:10], v15, off
.LBB26_42:
	s_or_b32 exec_lo, exec_lo, s0
	v_add_nc_u32_e32 v15, 0x100, v8
	s_delay_alu instid0(VALU_DEP_1) | instskip(NEXT) | instid1(VALU_DEP_1)
	v_cmp_gt_u32_e64 s0, s16, v15
	s_and_saveexec_b32 s1, s0
	s_cbranch_execz .LBB26_44
; %bb.43:
	global_store_b8 v[9:10], v13, off offset:256
.LBB26_44:
	s_or_b32 exec_lo, exec_lo, s1
	v_add_nc_u32_e32 v13, 0x200, v8
	s_delay_alu instid0(VALU_DEP_1) | instskip(NEXT) | instid1(VALU_DEP_1)
	v_cmp_gt_u32_e64 s1, s16, v13
	s_and_saveexec_b32 s2, s1
	s_cbranch_execz .LBB26_46
; %bb.45:
	global_store_b8 v[9:10], v14, off offset:512
.LBB26_46:
	;; [unrolled: 9-line block ×3, first 2 shown]
	s_or_b32 exec_lo, exec_lo, s3
	s_lshl_b64 s[4:5], s[24:25], 3
	s_delay_alu instid0(SALU_CYCLE_1) | instskip(SKIP_2) | instid1(VALU_DEP_1)
	s_add_u32 s3, s22, s4
	s_addc_u32 s4, s23, s5
	v_add_co_u32 v8, s3, s3, v11
	v_add_co_ci_u32_e64 v9, null, s4, 0, s3
	s_and_saveexec_b32 s3, vcc_lo
	s_cbranch_execnz .LBB26_57
; %bb.49:
	s_or_b32 exec_lo, exec_lo, s3
	s_and_saveexec_b32 s3, s0
	s_cbranch_execnz .LBB26_58
.LBB26_50:
	s_or_b32 exec_lo, exec_lo, s3
	s_and_saveexec_b32 s0, s1
	s_cbranch_execz .LBB26_52
.LBB26_51:
	s_waitcnt lgkmcnt(1)
	v_add_co_u32 v4, vcc_lo, 0x1000, v8
	v_add_co_ci_u32_e32 v5, vcc_lo, 0, v9, vcc_lo
	s_waitcnt lgkmcnt(0)
	global_store_b64 v[4:5], v[0:1], off
.LBB26_52:
	s_or_b32 exec_lo, exec_lo, s0
	s_and_saveexec_b32 s0, s2
	s_cbranch_execz .LBB26_38
.LBB26_53:
	s_lshl_b64 s[0:1], s[24:25], 3
	s_delay_alu instid0(SALU_CYCLE_1) | instskip(SKIP_3) | instid1(VALU_DEP_1)
	s_add_u32 s0, s22, s0
	s_addc_u32 s1, s23, s1
	s_waitcnt lgkmcnt(0)
	v_add_co_u32 v0, s0, s0, v11
	v_add_co_ci_u32_e64 v1, null, s1, 0, s0
	s_delay_alu instid0(VALU_DEP_2) | instskip(NEXT) | instid1(VALU_DEP_2)
	v_add_co_u32 v0, vcc_lo, 0x1000, v0
	v_add_co_ci_u32_e32 v1, vcc_lo, 0, v1, vcc_lo
	global_store_b64 v[0:1], v[2:3], off offset:2048
	s_nop 0
	s_sendmsg sendmsg(MSG_DEALLOC_VGPRS)
	s_endpgm
.LBB26_54:
	global_load_b64 v[1:2], v[9:10], off
	s_or_b32 exec_lo, exec_lo, s5
                                        ; implicit-def: $vgpr3_vgpr4
	s_and_saveexec_b32 s5, s2
	s_cbranch_execz .LBB26_13
.LBB26_55:
	global_load_b64 v[3:4], v[9:10], off offset:256
	s_or_b32 exec_lo, exec_lo, s5
                                        ; implicit-def: $vgpr5_vgpr6
	s_and_saveexec_b32 s2, s3
	s_cbranch_execz .LBB26_14
.LBB26_56:
	global_load_b64 v[5:6], v[9:10], off offset:512
	s_or_b32 exec_lo, exec_lo, s2
                                        ; implicit-def: $vgpr21_vgpr22
	s_and_saveexec_b32 s2, s4
	s_cbranch_execnz .LBB26_15
	s_branch .LBB26_16
.LBB26_57:
	s_waitcnt lgkmcnt(1)
	global_store_b64 v[8:9], v[4:5], off
	s_or_b32 exec_lo, exec_lo, s3
	s_and_saveexec_b32 s3, s0
	s_cbranch_execz .LBB26_50
.LBB26_58:
	s_waitcnt lgkmcnt(1)
	global_store_b64 v[8:9], v[6:7], off offset:2048
	s_or_b32 exec_lo, exec_lo, s3
	s_and_saveexec_b32 s0, s1
	s_cbranch_execnz .LBB26_51
	s_branch .LBB26_52
	.section	.rodata,"a",@progbits
	.p2align	6, 0x0
	.amdhsa_kernel _ZN7rocprim17ROCPRIM_304000_NS6detail28radix_sort_block_sort_kernelINS1_36wrapped_radix_sort_block_sort_configINS0_13kernel_configILj256ELj4ELj4294967295EEEaN2at4cuda3cub6detail10OpaqueTypeILi8EEEEELb1EPKaPaPKSB_PSB_NS0_19identity_decomposerEEEvT1_T2_T3_T4_jT5_jj
		.amdhsa_group_segment_fixed_size 8224
		.amdhsa_private_segment_fixed_size 0
		.amdhsa_kernarg_size 304
		.amdhsa_user_sgpr_count 15
		.amdhsa_user_sgpr_dispatch_ptr 0
		.amdhsa_user_sgpr_queue_ptr 0
		.amdhsa_user_sgpr_kernarg_segment_ptr 1
		.amdhsa_user_sgpr_dispatch_id 0
		.amdhsa_user_sgpr_private_segment_size 0
		.amdhsa_wavefront_size32 1
		.amdhsa_uses_dynamic_stack 0
		.amdhsa_enable_private_segment 0
		.amdhsa_system_sgpr_workgroup_id_x 1
		.amdhsa_system_sgpr_workgroup_id_y 0
		.amdhsa_system_sgpr_workgroup_id_z 0
		.amdhsa_system_sgpr_workgroup_info 0
		.amdhsa_system_vgpr_workitem_id 2
		.amdhsa_next_free_vgpr 51
		.amdhsa_next_free_sgpr 30
		.amdhsa_reserve_vcc 1
		.amdhsa_float_round_mode_32 0
		.amdhsa_float_round_mode_16_64 0
		.amdhsa_float_denorm_mode_32 3
		.amdhsa_float_denorm_mode_16_64 3
		.amdhsa_dx10_clamp 1
		.amdhsa_ieee_mode 1
		.amdhsa_fp16_overflow 0
		.amdhsa_workgroup_processor_mode 1
		.amdhsa_memory_ordered 1
		.amdhsa_forward_progress 0
		.amdhsa_shared_vgpr_count 0
		.amdhsa_exception_fp_ieee_invalid_op 0
		.amdhsa_exception_fp_denorm_src 0
		.amdhsa_exception_fp_ieee_div_zero 0
		.amdhsa_exception_fp_ieee_overflow 0
		.amdhsa_exception_fp_ieee_underflow 0
		.amdhsa_exception_fp_ieee_inexact 0
		.amdhsa_exception_int_div_zero 0
	.end_amdhsa_kernel
	.section	.text._ZN7rocprim17ROCPRIM_304000_NS6detail28radix_sort_block_sort_kernelINS1_36wrapped_radix_sort_block_sort_configINS0_13kernel_configILj256ELj4ELj4294967295EEEaN2at4cuda3cub6detail10OpaqueTypeILi8EEEEELb1EPKaPaPKSB_PSB_NS0_19identity_decomposerEEEvT1_T2_T3_T4_jT5_jj,"axG",@progbits,_ZN7rocprim17ROCPRIM_304000_NS6detail28radix_sort_block_sort_kernelINS1_36wrapped_radix_sort_block_sort_configINS0_13kernel_configILj256ELj4ELj4294967295EEEaN2at4cuda3cub6detail10OpaqueTypeILi8EEEEELb1EPKaPaPKSB_PSB_NS0_19identity_decomposerEEEvT1_T2_T3_T4_jT5_jj,comdat
.Lfunc_end26:
	.size	_ZN7rocprim17ROCPRIM_304000_NS6detail28radix_sort_block_sort_kernelINS1_36wrapped_radix_sort_block_sort_configINS0_13kernel_configILj256ELj4ELj4294967295EEEaN2at4cuda3cub6detail10OpaqueTypeILi8EEEEELb1EPKaPaPKSB_PSB_NS0_19identity_decomposerEEEvT1_T2_T3_T4_jT5_jj, .Lfunc_end26-_ZN7rocprim17ROCPRIM_304000_NS6detail28radix_sort_block_sort_kernelINS1_36wrapped_radix_sort_block_sort_configINS0_13kernel_configILj256ELj4ELj4294967295EEEaN2at4cuda3cub6detail10OpaqueTypeILi8EEEEELb1EPKaPaPKSB_PSB_NS0_19identity_decomposerEEEvT1_T2_T3_T4_jT5_jj
                                        ; -- End function
	.section	.AMDGPU.csdata,"",@progbits
; Kernel info:
; codeLenInByte = 4260
; NumSgprs: 32
; NumVgprs: 51
; ScratchSize: 0
; MemoryBound: 0
; FloatMode: 240
; IeeeMode: 1
; LDSByteSize: 8224 bytes/workgroup (compile time only)
; SGPRBlocks: 3
; VGPRBlocks: 6
; NumSGPRsForWavesPerEU: 32
; NumVGPRsForWavesPerEU: 51
; Occupancy: 16
; WaveLimiterHint : 1
; COMPUTE_PGM_RSRC2:SCRATCH_EN: 0
; COMPUTE_PGM_RSRC2:USER_SGPR: 15
; COMPUTE_PGM_RSRC2:TRAP_HANDLER: 0
; COMPUTE_PGM_RSRC2:TGID_X_EN: 1
; COMPUTE_PGM_RSRC2:TGID_Y_EN: 0
; COMPUTE_PGM_RSRC2:TGID_Z_EN: 0
; COMPUTE_PGM_RSRC2:TIDIG_COMP_CNT: 2
	.section	.text._ZN7rocprim17ROCPRIM_304000_NS6detail39device_merge_sort_compile_time_verifierINS1_36wrapped_merge_sort_block_sort_configINS1_28merge_sort_block_sort_configILj256ELj4ELNS0_20block_sort_algorithmE0EEEaN2at4cuda3cub6detail10OpaqueTypeILi8EEEEENS1_37wrapped_merge_sort_block_merge_configINS0_14default_configEaSC_EEEEvv,"axG",@progbits,_ZN7rocprim17ROCPRIM_304000_NS6detail39device_merge_sort_compile_time_verifierINS1_36wrapped_merge_sort_block_sort_configINS1_28merge_sort_block_sort_configILj256ELj4ELNS0_20block_sort_algorithmE0EEEaN2at4cuda3cub6detail10OpaqueTypeILi8EEEEENS1_37wrapped_merge_sort_block_merge_configINS0_14default_configEaSC_EEEEvv,comdat
	.protected	_ZN7rocprim17ROCPRIM_304000_NS6detail39device_merge_sort_compile_time_verifierINS1_36wrapped_merge_sort_block_sort_configINS1_28merge_sort_block_sort_configILj256ELj4ELNS0_20block_sort_algorithmE0EEEaN2at4cuda3cub6detail10OpaqueTypeILi8EEEEENS1_37wrapped_merge_sort_block_merge_configINS0_14default_configEaSC_EEEEvv ; -- Begin function _ZN7rocprim17ROCPRIM_304000_NS6detail39device_merge_sort_compile_time_verifierINS1_36wrapped_merge_sort_block_sort_configINS1_28merge_sort_block_sort_configILj256ELj4ELNS0_20block_sort_algorithmE0EEEaN2at4cuda3cub6detail10OpaqueTypeILi8EEEEENS1_37wrapped_merge_sort_block_merge_configINS0_14default_configEaSC_EEEEvv
	.globl	_ZN7rocprim17ROCPRIM_304000_NS6detail39device_merge_sort_compile_time_verifierINS1_36wrapped_merge_sort_block_sort_configINS1_28merge_sort_block_sort_configILj256ELj4ELNS0_20block_sort_algorithmE0EEEaN2at4cuda3cub6detail10OpaqueTypeILi8EEEEENS1_37wrapped_merge_sort_block_merge_configINS0_14default_configEaSC_EEEEvv
	.p2align	8
	.type	_ZN7rocprim17ROCPRIM_304000_NS6detail39device_merge_sort_compile_time_verifierINS1_36wrapped_merge_sort_block_sort_configINS1_28merge_sort_block_sort_configILj256ELj4ELNS0_20block_sort_algorithmE0EEEaN2at4cuda3cub6detail10OpaqueTypeILi8EEEEENS1_37wrapped_merge_sort_block_merge_configINS0_14default_configEaSC_EEEEvv,@function
_ZN7rocprim17ROCPRIM_304000_NS6detail39device_merge_sort_compile_time_verifierINS1_36wrapped_merge_sort_block_sort_configINS1_28merge_sort_block_sort_configILj256ELj4ELNS0_20block_sort_algorithmE0EEEaN2at4cuda3cub6detail10OpaqueTypeILi8EEEEENS1_37wrapped_merge_sort_block_merge_configINS0_14default_configEaSC_EEEEvv: ; @_ZN7rocprim17ROCPRIM_304000_NS6detail39device_merge_sort_compile_time_verifierINS1_36wrapped_merge_sort_block_sort_configINS1_28merge_sort_block_sort_configILj256ELj4ELNS0_20block_sort_algorithmE0EEEaN2at4cuda3cub6detail10OpaqueTypeILi8EEEEENS1_37wrapped_merge_sort_block_merge_configINS0_14default_configEaSC_EEEEvv
; %bb.0:
	s_endpgm
	.section	.rodata,"a",@progbits
	.p2align	6, 0x0
	.amdhsa_kernel _ZN7rocprim17ROCPRIM_304000_NS6detail39device_merge_sort_compile_time_verifierINS1_36wrapped_merge_sort_block_sort_configINS1_28merge_sort_block_sort_configILj256ELj4ELNS0_20block_sort_algorithmE0EEEaN2at4cuda3cub6detail10OpaqueTypeILi8EEEEENS1_37wrapped_merge_sort_block_merge_configINS0_14default_configEaSC_EEEEvv
		.amdhsa_group_segment_fixed_size 0
		.amdhsa_private_segment_fixed_size 0
		.amdhsa_kernarg_size 0
		.amdhsa_user_sgpr_count 15
		.amdhsa_user_sgpr_dispatch_ptr 0
		.amdhsa_user_sgpr_queue_ptr 0
		.amdhsa_user_sgpr_kernarg_segment_ptr 0
		.amdhsa_user_sgpr_dispatch_id 0
		.amdhsa_user_sgpr_private_segment_size 0
		.amdhsa_wavefront_size32 1
		.amdhsa_uses_dynamic_stack 0
		.amdhsa_enable_private_segment 0
		.amdhsa_system_sgpr_workgroup_id_x 1
		.amdhsa_system_sgpr_workgroup_id_y 0
		.amdhsa_system_sgpr_workgroup_id_z 0
		.amdhsa_system_sgpr_workgroup_info 0
		.amdhsa_system_vgpr_workitem_id 0
		.amdhsa_next_free_vgpr 1
		.amdhsa_next_free_sgpr 1
		.amdhsa_reserve_vcc 0
		.amdhsa_float_round_mode_32 0
		.amdhsa_float_round_mode_16_64 0
		.amdhsa_float_denorm_mode_32 3
		.amdhsa_float_denorm_mode_16_64 3
		.amdhsa_dx10_clamp 1
		.amdhsa_ieee_mode 1
		.amdhsa_fp16_overflow 0
		.amdhsa_workgroup_processor_mode 1
		.amdhsa_memory_ordered 1
		.amdhsa_forward_progress 0
		.amdhsa_shared_vgpr_count 0
		.amdhsa_exception_fp_ieee_invalid_op 0
		.amdhsa_exception_fp_denorm_src 0
		.amdhsa_exception_fp_ieee_div_zero 0
		.amdhsa_exception_fp_ieee_overflow 0
		.amdhsa_exception_fp_ieee_underflow 0
		.amdhsa_exception_fp_ieee_inexact 0
		.amdhsa_exception_int_div_zero 0
	.end_amdhsa_kernel
	.section	.text._ZN7rocprim17ROCPRIM_304000_NS6detail39device_merge_sort_compile_time_verifierINS1_36wrapped_merge_sort_block_sort_configINS1_28merge_sort_block_sort_configILj256ELj4ELNS0_20block_sort_algorithmE0EEEaN2at4cuda3cub6detail10OpaqueTypeILi8EEEEENS1_37wrapped_merge_sort_block_merge_configINS0_14default_configEaSC_EEEEvv,"axG",@progbits,_ZN7rocprim17ROCPRIM_304000_NS6detail39device_merge_sort_compile_time_verifierINS1_36wrapped_merge_sort_block_sort_configINS1_28merge_sort_block_sort_configILj256ELj4ELNS0_20block_sort_algorithmE0EEEaN2at4cuda3cub6detail10OpaqueTypeILi8EEEEENS1_37wrapped_merge_sort_block_merge_configINS0_14default_configEaSC_EEEEvv,comdat
.Lfunc_end27:
	.size	_ZN7rocprim17ROCPRIM_304000_NS6detail39device_merge_sort_compile_time_verifierINS1_36wrapped_merge_sort_block_sort_configINS1_28merge_sort_block_sort_configILj256ELj4ELNS0_20block_sort_algorithmE0EEEaN2at4cuda3cub6detail10OpaqueTypeILi8EEEEENS1_37wrapped_merge_sort_block_merge_configINS0_14default_configEaSC_EEEEvv, .Lfunc_end27-_ZN7rocprim17ROCPRIM_304000_NS6detail39device_merge_sort_compile_time_verifierINS1_36wrapped_merge_sort_block_sort_configINS1_28merge_sort_block_sort_configILj256ELj4ELNS0_20block_sort_algorithmE0EEEaN2at4cuda3cub6detail10OpaqueTypeILi8EEEEENS1_37wrapped_merge_sort_block_merge_configINS0_14default_configEaSC_EEEEvv
                                        ; -- End function
	.section	.AMDGPU.csdata,"",@progbits
; Kernel info:
; codeLenInByte = 4
; NumSgprs: 0
; NumVgprs: 0
; ScratchSize: 0
; MemoryBound: 0
; FloatMode: 240
; IeeeMode: 1
; LDSByteSize: 0 bytes/workgroup (compile time only)
; SGPRBlocks: 0
; VGPRBlocks: 0
; NumSGPRsForWavesPerEU: 1
; NumVGPRsForWavesPerEU: 1
; Occupancy: 16
; WaveLimiterHint : 0
; COMPUTE_PGM_RSRC2:SCRATCH_EN: 0
; COMPUTE_PGM_RSRC2:USER_SGPR: 15
; COMPUTE_PGM_RSRC2:TRAP_HANDLER: 0
; COMPUTE_PGM_RSRC2:TGID_X_EN: 1
; COMPUTE_PGM_RSRC2:TGID_Y_EN: 0
; COMPUTE_PGM_RSRC2:TGID_Z_EN: 0
; COMPUTE_PGM_RSRC2:TIDIG_COMP_CNT: 0
	.section	.text._ZN7rocprim17ROCPRIM_304000_NS6detail45device_block_merge_mergepath_partition_kernelINS1_37wrapped_merge_sort_block_merge_configINS0_14default_configEaN2at4cuda3cub6detail10OpaqueTypeILi8EEEEEPajNS1_19radix_merge_compareILb1ELb0EaNS0_19identity_decomposerEEEEEvT0_T1_jPSH_T2_SH_,"axG",@progbits,_ZN7rocprim17ROCPRIM_304000_NS6detail45device_block_merge_mergepath_partition_kernelINS1_37wrapped_merge_sort_block_merge_configINS0_14default_configEaN2at4cuda3cub6detail10OpaqueTypeILi8EEEEEPajNS1_19radix_merge_compareILb1ELb0EaNS0_19identity_decomposerEEEEEvT0_T1_jPSH_T2_SH_,comdat
	.protected	_ZN7rocprim17ROCPRIM_304000_NS6detail45device_block_merge_mergepath_partition_kernelINS1_37wrapped_merge_sort_block_merge_configINS0_14default_configEaN2at4cuda3cub6detail10OpaqueTypeILi8EEEEEPajNS1_19radix_merge_compareILb1ELb0EaNS0_19identity_decomposerEEEEEvT0_T1_jPSH_T2_SH_ ; -- Begin function _ZN7rocprim17ROCPRIM_304000_NS6detail45device_block_merge_mergepath_partition_kernelINS1_37wrapped_merge_sort_block_merge_configINS0_14default_configEaN2at4cuda3cub6detail10OpaqueTypeILi8EEEEEPajNS1_19radix_merge_compareILb1ELb0EaNS0_19identity_decomposerEEEEEvT0_T1_jPSH_T2_SH_
	.globl	_ZN7rocprim17ROCPRIM_304000_NS6detail45device_block_merge_mergepath_partition_kernelINS1_37wrapped_merge_sort_block_merge_configINS0_14default_configEaN2at4cuda3cub6detail10OpaqueTypeILi8EEEEEPajNS1_19radix_merge_compareILb1ELb0EaNS0_19identity_decomposerEEEEEvT0_T1_jPSH_T2_SH_
	.p2align	8
	.type	_ZN7rocprim17ROCPRIM_304000_NS6detail45device_block_merge_mergepath_partition_kernelINS1_37wrapped_merge_sort_block_merge_configINS0_14default_configEaN2at4cuda3cub6detail10OpaqueTypeILi8EEEEEPajNS1_19radix_merge_compareILb1ELb0EaNS0_19identity_decomposerEEEEEvT0_T1_jPSH_T2_SH_,@function
_ZN7rocprim17ROCPRIM_304000_NS6detail45device_block_merge_mergepath_partition_kernelINS1_37wrapped_merge_sort_block_merge_configINS0_14default_configEaN2at4cuda3cub6detail10OpaqueTypeILi8EEEEEPajNS1_19radix_merge_compareILb1ELb0EaNS0_19identity_decomposerEEEEEvT0_T1_jPSH_T2_SH_: ; @_ZN7rocprim17ROCPRIM_304000_NS6detail45device_block_merge_mergepath_partition_kernelINS1_37wrapped_merge_sort_block_merge_configINS0_14default_configEaN2at4cuda3cub6detail10OpaqueTypeILi8EEEEEPajNS1_19radix_merge_compareILb1ELb0EaNS0_19identity_decomposerEEEEEvT0_T1_jPSH_T2_SH_
; %bb.0:
	s_load_b64 s[2:3], s[0:1], 0x8
	v_lshl_or_b32 v0, s15, 7, v0
	s_waitcnt lgkmcnt(0)
	s_delay_alu instid0(VALU_DEP_1)
	v_cmp_gt_u32_e32 vcc_lo, s3, v0
	s_and_saveexec_b32 s3, vcc_lo
	s_cbranch_execz .LBB28_6
; %bb.1:
	s_load_b32 s3, s[0:1], 0x1c
	s_waitcnt lgkmcnt(0)
	s_lshr_b32 s4, s3, 9
	s_delay_alu instid0(SALU_CYCLE_1) | instskip(NEXT) | instid1(SALU_CYCLE_1)
	s_and_b32 s4, s4, 0x7ffffe
	s_sub_i32 s5, 0, s4
	s_add_i32 s4, s4, -1
	v_and_b32_e32 v1, s5, v0
	v_and_b32_e32 v4, s4, v0
	s_delay_alu instid0(VALU_DEP_2) | instskip(NEXT) | instid1(VALU_DEP_1)
	v_lshlrev_b32_e32 v1, 10, v1
	v_add_nc_u32_e32 v2, s3, v1
	s_delay_alu instid0(VALU_DEP_1) | instskip(SKIP_1) | instid1(VALU_DEP_2)
	v_min_u32_e32 v7, s2, v2
	v_min_u32_e32 v2, s2, v1
	v_add_nc_u32_e32 v3, s3, v7
	s_delay_alu instid0(VALU_DEP_1) | instskip(SKIP_2) | instid1(VALU_DEP_2)
	v_min_u32_e32 v1, s2, v3
	v_lshlrev_b32_e32 v3, 10, v4
	s_mov_b32 s2, exec_lo
	v_sub_nc_u32_e32 v4, v1, v2
	v_sub_nc_u32_e32 v5, v1, v7
	s_delay_alu instid0(VALU_DEP_2) | instskip(SKIP_1) | instid1(VALU_DEP_2)
	v_min_u32_e32 v1, v4, v3
	v_sub_nc_u32_e32 v4, v7, v2
	v_sub_nc_u32_e64 v3, v1, v5 clamp
	s_delay_alu instid0(VALU_DEP_2) | instskip(NEXT) | instid1(VALU_DEP_1)
	v_min_u32_e32 v4, v1, v4
	v_cmpx_lt_u32_e64 v3, v4
	s_cbranch_execz .LBB28_5
; %bb.2:
	s_load_b64 s[4:5], s[0:1], 0x0
	s_waitcnt lgkmcnt(0)
	v_add_co_u32 v5, s3, s4, v2
	s_delay_alu instid0(VALU_DEP_1) | instskip(SKIP_1) | instid1(VALU_DEP_1)
	v_add_co_ci_u32_e64 v6, null, s5, 0, s3
	v_add_co_u32 v7, s3, s4, v7
	v_add_co_ci_u32_e64 v8, null, s5, 0, s3
	s_mov_b32 s3, 0
	.p2align	6
.LBB28_3:                               ; =>This Inner Loop Header: Depth=1
	v_add_nc_u32_e32 v9, v4, v3
	s_delay_alu instid0(VALU_DEP_1) | instskip(NEXT) | instid1(VALU_DEP_1)
	v_lshrrev_b32_e32 v13, 1, v9
	v_xad_u32 v11, v13, -1, v1
	v_add_co_u32 v9, vcc_lo, v5, v13
	v_add_co_ci_u32_e32 v10, vcc_lo, 0, v6, vcc_lo
	s_delay_alu instid0(VALU_DEP_3)
	v_add_co_u32 v11, vcc_lo, v7, v11
	v_add_co_ci_u32_e32 v12, vcc_lo, 0, v8, vcc_lo
	s_clause 0x1
	global_load_i8 v9, v[9:10], off
	global_load_i8 v10, v[11:12], off
	v_add_nc_u32_e32 v11, 1, v13
	s_waitcnt vmcnt(0)
	v_cmp_gt_i16_e32 vcc_lo, v10, v9
	s_delay_alu instid0(VALU_DEP_2) | instskip(NEXT) | instid1(VALU_DEP_1)
	v_dual_cndmask_b32 v4, v4, v13 :: v_dual_cndmask_b32 v3, v11, v3
	v_cmp_ge_u32_e32 vcc_lo, v3, v4
	s_or_b32 s3, vcc_lo, s3
	s_delay_alu instid0(SALU_CYCLE_1)
	s_and_not1_b32 exec_lo, exec_lo, s3
	s_cbranch_execnz .LBB28_3
; %bb.4:
	s_or_b32 exec_lo, exec_lo, s3
.LBB28_5:
	s_delay_alu instid0(SALU_CYCLE_1) | instskip(SKIP_2) | instid1(VALU_DEP_1)
	s_or_b32 exec_lo, exec_lo, s2
	s_load_b64 s[0:1], s[0:1], 0x10
	v_dual_mov_b32 v1, 0 :: v_dual_add_nc_u32 v2, v3, v2
	v_lshlrev_b64 v[0:1], 2, v[0:1]
	s_waitcnt lgkmcnt(0)
	s_delay_alu instid0(VALU_DEP_1) | instskip(NEXT) | instid1(VALU_DEP_2)
	v_add_co_u32 v0, vcc_lo, s0, v0
	v_add_co_ci_u32_e32 v1, vcc_lo, s1, v1, vcc_lo
	global_store_b32 v[0:1], v2, off
.LBB28_6:
	s_nop 0
	s_sendmsg sendmsg(MSG_DEALLOC_VGPRS)
	s_endpgm
	.section	.rodata,"a",@progbits
	.p2align	6, 0x0
	.amdhsa_kernel _ZN7rocprim17ROCPRIM_304000_NS6detail45device_block_merge_mergepath_partition_kernelINS1_37wrapped_merge_sort_block_merge_configINS0_14default_configEaN2at4cuda3cub6detail10OpaqueTypeILi8EEEEEPajNS1_19radix_merge_compareILb1ELb0EaNS0_19identity_decomposerEEEEEvT0_T1_jPSH_T2_SH_
		.amdhsa_group_segment_fixed_size 0
		.amdhsa_private_segment_fixed_size 0
		.amdhsa_kernarg_size 32
		.amdhsa_user_sgpr_count 15
		.amdhsa_user_sgpr_dispatch_ptr 0
		.amdhsa_user_sgpr_queue_ptr 0
		.amdhsa_user_sgpr_kernarg_segment_ptr 1
		.amdhsa_user_sgpr_dispatch_id 0
		.amdhsa_user_sgpr_private_segment_size 0
		.amdhsa_wavefront_size32 1
		.amdhsa_uses_dynamic_stack 0
		.amdhsa_enable_private_segment 0
		.amdhsa_system_sgpr_workgroup_id_x 1
		.amdhsa_system_sgpr_workgroup_id_y 0
		.amdhsa_system_sgpr_workgroup_id_z 0
		.amdhsa_system_sgpr_workgroup_info 0
		.amdhsa_system_vgpr_workitem_id 0
		.amdhsa_next_free_vgpr 14
		.amdhsa_next_free_sgpr 16
		.amdhsa_reserve_vcc 1
		.amdhsa_float_round_mode_32 0
		.amdhsa_float_round_mode_16_64 0
		.amdhsa_float_denorm_mode_32 3
		.amdhsa_float_denorm_mode_16_64 3
		.amdhsa_dx10_clamp 1
		.amdhsa_ieee_mode 1
		.amdhsa_fp16_overflow 0
		.amdhsa_workgroup_processor_mode 1
		.amdhsa_memory_ordered 1
		.amdhsa_forward_progress 0
		.amdhsa_shared_vgpr_count 0
		.amdhsa_exception_fp_ieee_invalid_op 0
		.amdhsa_exception_fp_denorm_src 0
		.amdhsa_exception_fp_ieee_div_zero 0
		.amdhsa_exception_fp_ieee_overflow 0
		.amdhsa_exception_fp_ieee_underflow 0
		.amdhsa_exception_fp_ieee_inexact 0
		.amdhsa_exception_int_div_zero 0
	.end_amdhsa_kernel
	.section	.text._ZN7rocprim17ROCPRIM_304000_NS6detail45device_block_merge_mergepath_partition_kernelINS1_37wrapped_merge_sort_block_merge_configINS0_14default_configEaN2at4cuda3cub6detail10OpaqueTypeILi8EEEEEPajNS1_19radix_merge_compareILb1ELb0EaNS0_19identity_decomposerEEEEEvT0_T1_jPSH_T2_SH_,"axG",@progbits,_ZN7rocprim17ROCPRIM_304000_NS6detail45device_block_merge_mergepath_partition_kernelINS1_37wrapped_merge_sort_block_merge_configINS0_14default_configEaN2at4cuda3cub6detail10OpaqueTypeILi8EEEEEPajNS1_19radix_merge_compareILb1ELb0EaNS0_19identity_decomposerEEEEEvT0_T1_jPSH_T2_SH_,comdat
.Lfunc_end28:
	.size	_ZN7rocprim17ROCPRIM_304000_NS6detail45device_block_merge_mergepath_partition_kernelINS1_37wrapped_merge_sort_block_merge_configINS0_14default_configEaN2at4cuda3cub6detail10OpaqueTypeILi8EEEEEPajNS1_19radix_merge_compareILb1ELb0EaNS0_19identity_decomposerEEEEEvT0_T1_jPSH_T2_SH_, .Lfunc_end28-_ZN7rocprim17ROCPRIM_304000_NS6detail45device_block_merge_mergepath_partition_kernelINS1_37wrapped_merge_sort_block_merge_configINS0_14default_configEaN2at4cuda3cub6detail10OpaqueTypeILi8EEEEEPajNS1_19radix_merge_compareILb1ELb0EaNS0_19identity_decomposerEEEEEvT0_T1_jPSH_T2_SH_
                                        ; -- End function
	.section	.AMDGPU.csdata,"",@progbits
; Kernel info:
; codeLenInByte = 412
; NumSgprs: 18
; NumVgprs: 14
; ScratchSize: 0
; MemoryBound: 0
; FloatMode: 240
; IeeeMode: 1
; LDSByteSize: 0 bytes/workgroup (compile time only)
; SGPRBlocks: 2
; VGPRBlocks: 1
; NumSGPRsForWavesPerEU: 18
; NumVGPRsForWavesPerEU: 14
; Occupancy: 16
; WaveLimiterHint : 0
; COMPUTE_PGM_RSRC2:SCRATCH_EN: 0
; COMPUTE_PGM_RSRC2:USER_SGPR: 15
; COMPUTE_PGM_RSRC2:TRAP_HANDLER: 0
; COMPUTE_PGM_RSRC2:TGID_X_EN: 1
; COMPUTE_PGM_RSRC2:TGID_Y_EN: 0
; COMPUTE_PGM_RSRC2:TGID_Z_EN: 0
; COMPUTE_PGM_RSRC2:TIDIG_COMP_CNT: 0
	.section	.text._ZN7rocprim17ROCPRIM_304000_NS6detail35device_block_merge_mergepath_kernelINS1_37wrapped_merge_sort_block_merge_configINS0_14default_configEaN2at4cuda3cub6detail10OpaqueTypeILi8EEEEEPaSC_PSA_SD_jNS1_19radix_merge_compareILb1ELb0EaNS0_19identity_decomposerEEEEEvT0_T1_T2_T3_T4_SL_jT5_PKSL_NS1_7vsmem_tE,"axG",@progbits,_ZN7rocprim17ROCPRIM_304000_NS6detail35device_block_merge_mergepath_kernelINS1_37wrapped_merge_sort_block_merge_configINS0_14default_configEaN2at4cuda3cub6detail10OpaqueTypeILi8EEEEEPaSC_PSA_SD_jNS1_19radix_merge_compareILb1ELb0EaNS0_19identity_decomposerEEEEEvT0_T1_T2_T3_T4_SL_jT5_PKSL_NS1_7vsmem_tE,comdat
	.protected	_ZN7rocprim17ROCPRIM_304000_NS6detail35device_block_merge_mergepath_kernelINS1_37wrapped_merge_sort_block_merge_configINS0_14default_configEaN2at4cuda3cub6detail10OpaqueTypeILi8EEEEEPaSC_PSA_SD_jNS1_19radix_merge_compareILb1ELb0EaNS0_19identity_decomposerEEEEEvT0_T1_T2_T3_T4_SL_jT5_PKSL_NS1_7vsmem_tE ; -- Begin function _ZN7rocprim17ROCPRIM_304000_NS6detail35device_block_merge_mergepath_kernelINS1_37wrapped_merge_sort_block_merge_configINS0_14default_configEaN2at4cuda3cub6detail10OpaqueTypeILi8EEEEEPaSC_PSA_SD_jNS1_19radix_merge_compareILb1ELb0EaNS0_19identity_decomposerEEEEEvT0_T1_T2_T3_T4_SL_jT5_PKSL_NS1_7vsmem_tE
	.globl	_ZN7rocprim17ROCPRIM_304000_NS6detail35device_block_merge_mergepath_kernelINS1_37wrapped_merge_sort_block_merge_configINS0_14default_configEaN2at4cuda3cub6detail10OpaqueTypeILi8EEEEEPaSC_PSA_SD_jNS1_19radix_merge_compareILb1ELb0EaNS0_19identity_decomposerEEEEEvT0_T1_T2_T3_T4_SL_jT5_PKSL_NS1_7vsmem_tE
	.p2align	8
	.type	_ZN7rocprim17ROCPRIM_304000_NS6detail35device_block_merge_mergepath_kernelINS1_37wrapped_merge_sort_block_merge_configINS0_14default_configEaN2at4cuda3cub6detail10OpaqueTypeILi8EEEEEPaSC_PSA_SD_jNS1_19radix_merge_compareILb1ELb0EaNS0_19identity_decomposerEEEEEvT0_T1_T2_T3_T4_SL_jT5_PKSL_NS1_7vsmem_tE,@function
_ZN7rocprim17ROCPRIM_304000_NS6detail35device_block_merge_mergepath_kernelINS1_37wrapped_merge_sort_block_merge_configINS0_14default_configEaN2at4cuda3cub6detail10OpaqueTypeILi8EEEEEPaSC_PSA_SD_jNS1_19radix_merge_compareILb1ELb0EaNS0_19identity_decomposerEEEEEvT0_T1_T2_T3_T4_SL_jT5_PKSL_NS1_7vsmem_tE: ; @_ZN7rocprim17ROCPRIM_304000_NS6detail35device_block_merge_mergepath_kernelINS1_37wrapped_merge_sort_block_merge_configINS0_14default_configEaN2at4cuda3cub6detail10OpaqueTypeILi8EEEEEPaSC_PSA_SD_jNS1_19radix_merge_compareILb1ELb0EaNS0_19identity_decomposerEEEEEvT0_T1_T2_T3_T4_SL_jT5_PKSL_NS1_7vsmem_tE
; %bb.0:
	s_clause 0x1
	s_load_b64 s[22:23], s[0:1], 0x40
	s_load_b128 s[16:19], s[0:1], 0x20
	s_add_u32 s20, s0, 64
	s_addc_u32 s21, s1, 0
	s_waitcnt lgkmcnt(0)
	s_mul_i32 s2, s23, s15
	s_delay_alu instid0(SALU_CYCLE_1) | instskip(NEXT) | instid1(SALU_CYCLE_1)
	s_add_i32 s2, s2, s14
	s_mul_i32 s2, s2, s22
	s_delay_alu instid0(SALU_CYCLE_1) | instskip(NEXT) | instid1(SALU_CYCLE_1)
	s_add_i32 s2, s2, s13
	s_cmp_ge_u32 s2, s18
	s_cbranch_scc1 .LBB29_53
; %bb.1:
	v_mov_b32_e32 v1, 0
	s_load_b64 s[4:5], s[0:1], 0x30
	s_lshr_b32 s26, s16, 10
	s_mov_b32 s15, 0
	s_cmp_lg_u32 s2, s26
	global_load_b32 v2, v1, s[20:21] offset:14
	s_mov_b32 s3, s15
	s_cselect_b32 s18, -1, 0
	s_lshl_b64 s[6:7], s[2:3], 2
	s_waitcnt lgkmcnt(0)
	s_add_u32 s4, s4, s6
	s_addc_u32 s5, s5, s7
	s_lshr_b32 s3, s17, 9
	s_load_b64 s[24:25], s[4:5], 0x0
	s_and_b32 s3, s3, 0x7ffffe
	s_load_b256 s[4:11], s[0:1], 0x0
	s_sub_i32 s0, 0, s3
	s_lshl_b32 s3, s2, 10
	s_and_b32 s1, s2, s0
	s_or_b32 s0, s2, s0
	s_lshl_b32 s12, s1, 11
	s_lshl_b32 s1, s1, 10
	s_add_i32 s12, s12, s17
	s_sub_i32 s14, s3, s1
	s_sub_i32 s1, s12, s1
	s_add_i32 s12, s12, s14
	s_min_u32 s14, s16, s1
	s_add_i32 s1, s1, s17
	s_waitcnt lgkmcnt(0)
	s_sub_i32 s17, s12, s24
	s_sub_i32 s19, s12, s25
	s_min_u32 s12, s16, s17
	s_addk_i32 s19, 0x400
	s_cmp_eq_u32 s0, -1
	s_cselect_b32 s0, s1, s19
	s_cselect_b32 s1, s14, s25
	s_min_u32 s0, s0, s16
	s_sub_i32 s17, s1, s24
	s_sub_i32 s19, s0, s12
	s_add_u32 s1, s4, s24
	s_addc_u32 s23, s5, 0
	s_mov_b32 s14, s24
	s_add_u32 s24, s4, s12
	s_addc_u32 s5, s5, 0
	s_cmp_lt_u32 s13, s22
	v_cmp_gt_u32_e32 vcc_lo, s17, v0
	s_cselect_b32 s0, 12, 18
	s_mov_b32 s13, s15
	s_add_u32 s20, s20, s0
	s_addc_u32 s21, s21, 0
	s_mov_b32 s0, -1
	s_cmp_eq_u32 s2, s26
	s_waitcnt vmcnt(0)
	v_lshrrev_b32_e32 v3, 16, v2
	v_and_b32_e32 v2, 0xffff, v2
	global_load_u16 v1, v1, s[20:21]
	v_mul_lo_u32 v2, v2, v3
	s_waitcnt vmcnt(0)
	s_delay_alu instid0(VALU_DEP_1) | instskip(NEXT) | instid1(VALU_DEP_1)
	v_mul_lo_u32 v1, v2, v1
	v_add_nc_u32_e32 v1, v1, v0
	s_cbranch_scc1 .LBB29_3
; %bb.2:
	v_subrev_nc_u32_e32 v2, s17, v0
	v_add_co_u32 v4, s0, s1, v0
	s_delay_alu instid0(VALU_DEP_3) | instskip(SKIP_1) | instid1(VALU_DEP_4)
	v_subrev_nc_u32_e32 v6, s17, v1
	v_add_co_ci_u32_e64 v3, null, s23, 0, s0
	v_add_co_u32 v2, s0, s24, v2
	s_delay_alu instid0(VALU_DEP_1) | instskip(SKIP_1) | instid1(VALU_DEP_1)
	v_add_co_ci_u32_e64 v5, null, s5, 0, s0
	v_add_co_u32 v8, s0, s1, v1
	v_add_co_ci_u32_e64 v7, null, s23, 0, s0
	v_add_co_u32 v6, s0, s24, v6
	s_delay_alu instid0(VALU_DEP_1) | instskip(SKIP_3) | instid1(VALU_DEP_2)
	v_add_co_ci_u32_e64 v9, null, s5, 0, s0
	v_cmp_gt_u32_e64 s0, s17, v1
	v_dual_cndmask_b32 v3, v5, v3 :: v_dual_cndmask_b32 v2, v2, v4
	s_add_i32 s4, s19, s17
	v_cndmask_b32_e64 v7, v9, v7, s0
	v_cndmask_b32_e64 v6, v6, v8, s0
	global_load_u8 v5, v[2:3], off
	global_load_u8 v7, v[6:7], off
	s_mov_b32 s0, s15
	s_delay_alu instid0(SALU_CYCLE_1)
	s_and_not1_b32 vcc_lo, exec_lo, s0
	s_cbranch_vccz .LBB29_4
	s_branch .LBB29_9
.LBB29_3:
                                        ; implicit-def: $vgpr5
                                        ; implicit-def: $vgpr7
                                        ; implicit-def: $sgpr4
	s_and_not1_b32 vcc_lo, exec_lo, s0
	s_cbranch_vccnz .LBB29_9
.LBB29_4:
	s_add_i32 s4, s19, s17
	s_mov_b32 s0, exec_lo
                                        ; implicit-def: $vgpr5
	v_cmpx_gt_u32_e64 s4, v0
	s_cbranch_execz .LBB29_6
; %bb.5:
	v_subrev_nc_u32_e32 v2, s17, v0
	v_add_co_u32 v4, s2, s1, v0
	s_delay_alu instid0(VALU_DEP_1) | instskip(NEXT) | instid1(VALU_DEP_3)
	v_add_co_ci_u32_e64 v3, null, s23, 0, s2
	v_add_co_u32 v2, s2, s24, v2
	s_waitcnt vmcnt(1)
	v_add_co_ci_u32_e64 v5, null, s5, 0, s2
	v_cmp_gt_u32_e32 vcc_lo, s17, v0
	s_delay_alu instid0(VALU_DEP_2)
	v_dual_cndmask_b32 v3, v5, v3 :: v_dual_cndmask_b32 v2, v2, v4
	global_load_u8 v5, v[2:3], off
.LBB29_6:
	s_or_b32 exec_lo, exec_lo, s0
	s_delay_alu instid0(SALU_CYCLE_1)
	s_mov_b32 s0, exec_lo
                                        ; implicit-def: $vgpr7
	v_cmpx_gt_u32_e64 s4, v1
	s_cbranch_execz .LBB29_8
; %bb.7:
	v_subrev_nc_u32_e32 v2, s17, v1
	v_add_co_u32 v3, s1, s1, v1
	s_delay_alu instid0(VALU_DEP_1) | instskip(NEXT) | instid1(VALU_DEP_3)
	v_add_co_ci_u32_e64 v4, null, s23, 0, s1
	v_add_co_u32 v6, s1, s24, v2
	s_delay_alu instid0(VALU_DEP_1) | instskip(SKIP_1) | instid1(VALU_DEP_3)
	v_add_co_ci_u32_e64 v2, null, s5, 0, s1
	v_cmp_gt_u32_e32 vcc_lo, s17, v1
	v_cndmask_b32_e32 v1, v6, v3, vcc_lo
	s_delay_alu instid0(VALU_DEP_3)
	v_cndmask_b32_e32 v2, v2, v4, vcc_lo
	global_load_u8 v7, v[1:2], off
.LBB29_8:
	s_or_b32 exec_lo, exec_lo, s0
.LBB29_9:
	v_lshlrev_b32_e32 v6, 1, v0
	s_mov_b32 s0, exec_lo
	s_waitcnt vmcnt(0)
	ds_store_b8 v0, v5
	ds_store_b8 v0, v7 offset:512
	s_waitcnt lgkmcnt(0)
	s_barrier
	v_min_u32_e32 v2, s4, v6
	buffer_gl0_inv
	v_sub_nc_u32_e64 v1, v2, s19 clamp
	v_min_u32_e32 v3, s17, v2
	s_delay_alu instid0(VALU_DEP_1)
	v_cmpx_lt_u32_e64 v1, v3
	s_cbranch_execz .LBB29_13
; %bb.10:
	v_add_nc_u32_e32 v4, s17, v2
	s_mov_b32 s1, 0
.LBB29_11:                              ; =>This Inner Loop Header: Depth=1
	v_add_nc_u32_e32 v8, v3, v1
	s_delay_alu instid0(VALU_DEP_1) | instskip(NEXT) | instid1(VALU_DEP_1)
	v_lshrrev_b32_e32 v8, 1, v8
	v_xad_u32 v9, v8, -1, v4
	v_add_nc_u32_e32 v11, 1, v8
	ds_load_i8 v10, v8
	ds_load_i8 v9, v9
	s_waitcnt lgkmcnt(0)
	v_cmp_gt_i16_e32 vcc_lo, v9, v10
	v_cndmask_b32_e32 v3, v3, v8, vcc_lo
	v_cndmask_b32_e32 v1, v11, v1, vcc_lo
	s_delay_alu instid0(VALU_DEP_1) | instskip(SKIP_1) | instid1(SALU_CYCLE_1)
	v_cmp_ge_u32_e32 vcc_lo, v1, v3
	s_or_b32 s1, vcc_lo, s1
	s_and_not1_b32 exec_lo, exec_lo, s1
	s_cbranch_execnz .LBB29_11
; %bb.12:
	s_or_b32 exec_lo, exec_lo, s1
.LBB29_13:
	s_delay_alu instid0(SALU_CYCLE_1) | instskip(SKIP_2) | instid1(VALU_DEP_2)
	s_or_b32 exec_lo, exec_lo, s0
	v_sub_nc_u32_e32 v2, v2, v1
	v_cmp_ge_u32_e32 vcc_lo, s17, v1
                                        ; implicit-def: $vgpr9
                                        ; implicit-def: $vgpr10
	v_add_nc_u32_e32 v2, s17, v2
	s_delay_alu instid0(VALU_DEP_1) | instskip(NEXT) | instid1(VALU_DEP_1)
	v_cmp_ge_u32_e64 s0, s4, v2
	s_or_b32 s0, vcc_lo, s0
	s_delay_alu instid0(SALU_CYCLE_1)
	s_and_saveexec_b32 s5, s0
	s_cbranch_execz .LBB29_19
; %bb.14:
	v_cmp_gt_u32_e32 vcc_lo, s17, v1
                                        ; implicit-def: $vgpr3
	s_and_saveexec_b32 s0, vcc_lo
	s_cbranch_execz .LBB29_16
; %bb.15:
	ds_load_u8 v3, v1
.LBB29_16:
	s_or_b32 exec_lo, exec_lo, s0
	v_cmp_le_u32_e64 s0, s4, v2
	s_mov_b32 s2, exec_lo
                                        ; implicit-def: $vgpr4
	v_cmpx_gt_u32_e64 s4, v2
	s_cbranch_execz .LBB29_18
; %bb.17:
	ds_load_u8 v4, v2
.LBB29_18:
	s_or_b32 exec_lo, exec_lo, s2
	s_waitcnt lgkmcnt(0)
	v_bfe_i32 v5, v3, 0, 8
	v_bfe_i32 v7, v4, 0, 8
	s_delay_alu instid0(VALU_DEP_1) | instskip(NEXT) | instid1(VALU_DEP_1)
	v_cmp_le_i16_e64 s1, v7, v5
	s_and_b32 s1, vcc_lo, s1
	s_delay_alu instid0(SALU_CYCLE_1) | instskip(SKIP_1) | instid1(VALU_DEP_1)
	s_or_b32 vcc_lo, s0, s1
	v_dual_mov_b32 v5, s17 :: v_dual_cndmask_b32 v10, v2, v1
	v_cndmask_b32_e32 v5, s4, v5, vcc_lo
	s_delay_alu instid0(VALU_DEP_2) | instskip(NEXT) | instid1(VALU_DEP_2)
	v_add_nc_u32_e32 v7, 1, v10
	v_add_nc_u32_e32 v5, -1, v5
	s_delay_alu instid0(VALU_DEP_1)
	v_min_u32_e32 v5, v7, v5
	ds_load_u8 v5, v5
	s_waitcnt lgkmcnt(0)
	v_cndmask_b32_e32 v8, v5, v4, vcc_lo
	v_cndmask_b32_e32 v2, v7, v2, vcc_lo
	;; [unrolled: 1-line block ×4, first 2 shown]
	s_delay_alu instid0(VALU_DEP_4) | instskip(NEXT) | instid1(VALU_DEP_4)
	v_bfe_i32 v5, v8, 0, 8
	v_cmp_le_u32_e64 s2, s4, v2
	s_delay_alu instid0(VALU_DEP_4) | instskip(NEXT) | instid1(VALU_DEP_4)
	v_bfe_i32 v9, v11, 0, 8
	v_cmp_gt_u32_e64 s0, s17, v1
	s_delay_alu instid0(VALU_DEP_2) | instskip(SKIP_1) | instid1(VALU_DEP_2)
	v_cmp_le_i16_e64 s1, v5, v9
	v_cndmask_b32_e32 v5, v4, v3, vcc_lo
	s_and_b32 s0, s0, s1
	s_delay_alu instid0(SALU_CYCLE_1)
	s_or_b32 vcc_lo, s2, s0
	v_cndmask_b32_e32 v9, v2, v1, vcc_lo
	v_cndmask_b32_e32 v7, v8, v11, vcc_lo
.LBB29_19:
	s_or_b32 exec_lo, exec_lo, s5
	s_lshl_b64 s[0:1], s[14:15], 3
	v_or_b32_e32 v8, 0x200, v0
	s_add_u32 s2, s8, s0
	s_addc_u32 s5, s9, s1
	s_lshl_b64 s[12:13], s[12:13], 3
	v_cmp_gt_u32_e64 s1, s17, v0
	v_cmp_le_u32_e64 s0, s17, v0
	s_add_u32 s8, s8, s12
	s_mov_b32 s14, 0
	s_addc_u32 s9, s9, s13
	s_and_not1_b32 vcc_lo, exec_lo, s18
	s_barrier
	buffer_gl0_inv
	s_cbranch_vccnz .LBB29_21
; %bb.20:
	v_subrev_nc_u32_e32 v1, s17, v0
	v_dual_mov_b32 v2, 0 :: v_dual_lshlrev_b32 v13, 3, v0
	s_mov_b32 s14, -1
	s_delay_alu instid0(VALU_DEP_1) | instskip(NEXT) | instid1(VALU_DEP_2)
	v_lshlrev_b64 v[3:4], 3, v[1:2]
	v_add_co_u32 v14, s12, s2, v13
	s_delay_alu instid0(VALU_DEP_1) | instskip(NEXT) | instid1(VALU_DEP_3)
	v_add_co_ci_u32_e64 v15, null, s5, 0, s12
	v_add_co_u32 v1, vcc_lo, s8, v3
	s_delay_alu instid0(VALU_DEP_4) | instskip(NEXT) | instid1(VALU_DEP_1)
	v_add_co_ci_u32_e32 v3, vcc_lo, s9, v4, vcc_lo
	v_cndmask_b32_e64 v4, v3, v15, s1
	s_delay_alu instid0(VALU_DEP_3)
	v_cndmask_b32_e64 v3, v1, v14, s1
	v_subrev_nc_u32_e32 v1, s17, v8
	global_load_b64 v[11:12], v[3:4], off
	v_lshlrev_b64 v[1:2], 3, v[1:2]
	v_add_co_u32 v3, vcc_lo, 0x1000, v14
	v_add_co_ci_u32_e32 v4, vcc_lo, 0, v15, vcc_lo
	s_delay_alu instid0(VALU_DEP_3) | instskip(NEXT) | instid1(VALU_DEP_4)
	v_add_co_u32 v1, vcc_lo, s8, v1
	v_add_co_ci_u32_e32 v2, vcc_lo, s9, v2, vcc_lo
	v_cmp_gt_u32_e32 vcc_lo, s17, v8
	s_delay_alu instid0(VALU_DEP_2)
	v_dual_cndmask_b32 v2, v2, v4 :: v_dual_cndmask_b32 v1, v1, v3
	v_or_b32_e32 v4, 0x1000, v13
	s_waitcnt vmcnt(0)
	ds_store_b64 v13, v[11:12]
	s_cbranch_execz .LBB29_22
	s_branch .LBB29_33
.LBB29_21:
                                        ; implicit-def: $vgpr4
                                        ; implicit-def: $vgpr1_vgpr2
.LBB29_22:
	s_mov_b32 s1, 0
                                        ; implicit-def: $vgpr1_vgpr2
	s_and_saveexec_b32 s12, s0
	s_delay_alu instid0(SALU_CYCLE_1)
	s_xor_b32 s0, exec_lo, s12
	s_cbranch_execnz .LBB29_54
; %bb.23:
	s_and_not1_saveexec_b32 s0, s0
	s_cbranch_execnz .LBB29_57
.LBB29_24:
	s_or_b32 exec_lo, exec_lo, s0
	s_and_saveexec_b32 s0, s1
	s_cbranch_execz .LBB29_26
.LBB29_25:
	global_load_b64 v[1:2], v[1:2], off
	v_mad_u32_u24 v3, v0, 7, v0
	s_waitcnt vmcnt(0)
	ds_store_b64 v3, v[1:2]
.LBB29_26:
	s_or_b32 exec_lo, exec_lo, s0
	s_delay_alu instid0(SALU_CYCLE_1)
	s_mov_b32 s0, exec_lo
                                        ; implicit-def: $vgpr4
                                        ; implicit-def: $vgpr1_vgpr2
	v_cmpx_le_u32_e64 s17, v8
	s_xor_b32 s0, exec_lo, s0
	s_cbranch_execz .LBB29_30
; %bb.27:
	v_subrev_nc_u32_e32 v3, s17, v8
	s_mov_b32 s12, s14
	s_mov_b32 s1, exec_lo
                                        ; implicit-def: $vgpr4
                                        ; implicit-def: $vgpr1_vgpr2
	s_delay_alu instid0(VALU_DEP_1)
	v_cmpx_gt_u32_e64 s19, v3
; %bb.28:
	v_mov_b32_e32 v4, 0
	v_mul_u32_u24_e32 v11, 7, v0
	s_or_b32 s12, s14, exec_lo
	s_delay_alu instid0(VALU_DEP_2) | instskip(NEXT) | instid1(VALU_DEP_2)
	v_lshlrev_b64 v[1:2], 3, v[3:4]
	v_add3_u32 v4, v0, v11, 0x1000
	s_delay_alu instid0(VALU_DEP_2) | instskip(NEXT) | instid1(VALU_DEP_3)
	v_add_co_u32 v1, vcc_lo, s8, v1
	v_add_co_ci_u32_e32 v2, vcc_lo, s9, v2, vcc_lo
; %bb.29:
	s_or_b32 exec_lo, exec_lo, s1
	s_delay_alu instid0(SALU_CYCLE_1) | instskip(SKIP_1) | instid1(SALU_CYCLE_1)
	s_and_not1_b32 s1, s14, exec_lo
	s_and_b32 s8, s12, exec_lo
	s_or_b32 s14, s1, s8
.LBB29_30:
	s_and_not1_saveexec_b32 s0, s0
; %bb.31:
	v_lshlrev_b32_e32 v1, 3, v8
	v_mul_u32_u24_e32 v3, 7, v0
	s_or_b32 s14, s14, exec_lo
	s_delay_alu instid0(VALU_DEP_2) | instskip(NEXT) | instid1(VALU_DEP_1)
	v_add_co_u32 v1, s1, s2, v1
	v_add_co_ci_u32_e64 v2, null, s5, 0, s1
	s_delay_alu instid0(VALU_DEP_3)
	v_add3_u32 v4, v0, v3, 0x1000
; %bb.32:
	s_or_b32 exec_lo, exec_lo, s0
.LBB29_33:
	s_and_saveexec_b32 s0, s14
	s_cbranch_execz .LBB29_35
; %bb.34:
	global_load_b64 v[1:2], v[1:2], off
	s_waitcnt vmcnt(0)
	ds_store_b64 v4, v[1:2]
.LBB29_35:
	s_or_b32 exec_lo, exec_lo, s0
	v_add_nc_u32_e32 v1, s3, v6
	s_and_not1_b32 vcc_lo, exec_lo, s18
	s_waitcnt lgkmcnt(0)
	s_barrier
	buffer_gl0_inv
	s_cbranch_vccnz .LBB29_37
; %bb.36:
	v_lshlrev_b32_e32 v2, 3, v10
	s_mov_b32 s0, -1
	ds_load_b64 v[3:4], v2
	v_mov_b32_e32 v2, 0
	s_delay_alu instid0(VALU_DEP_1) | instskip(NEXT) | instid1(VALU_DEP_1)
	v_lshlrev_b64 v[11:12], 3, v[1:2]
	v_add_co_u32 v11, vcc_lo, s10, v11
	s_delay_alu instid0(VALU_DEP_2)
	v_add_co_ci_u32_e32 v12, vcc_lo, s11, v12, vcc_lo
	s_waitcnt lgkmcnt(0)
	global_store_b64 v[11:12], v[3:4], off
	s_cbranch_execz .LBB29_38
	s_branch .LBB29_43
.LBB29_37:
	s_mov_b32 s0, 0
.LBB29_38:
	s_mov_b32 s1, exec_lo
	v_cmpx_gt_u32_e64 s4, v6
	s_cbranch_execz .LBB29_40
; %bb.39:
	v_lshlrev_b32_e32 v2, 3, v10
	ds_load_b64 v[3:4], v2
	v_mov_b32_e32 v2, 0
	s_delay_alu instid0(VALU_DEP_1) | instskip(NEXT) | instid1(VALU_DEP_1)
	v_lshlrev_b64 v[10:11], 3, v[1:2]
	v_add_co_u32 v10, vcc_lo, s10, v10
	s_delay_alu instid0(VALU_DEP_2)
	v_add_co_ci_u32_e32 v11, vcc_lo, s11, v11, vcc_lo
	s_waitcnt lgkmcnt(0)
	global_store_b64 v[10:11], v[3:4], off
.LBB29_40:
	s_or_b32 exec_lo, exec_lo, s1
	v_or_b32_e32 v2, 1, v6
	s_mov_b32 s1, exec_lo
	s_delay_alu instid0(VALU_DEP_1)
	v_cmpx_gt_u32_e64 s4, v2
; %bb.41:
	v_mov_b32_e32 v2, 0
	s_or_b32 s0, s0, exec_lo
; %bb.42:
	s_or_b32 exec_lo, exec_lo, s1
.LBB29_43:
	s_and_saveexec_b32 s1, s0
	s_cbranch_execz .LBB29_45
; %bb.44:
	v_lshlrev_b32_e32 v3, 3, v9
	v_lshlrev_b64 v[1:2], 3, v[1:2]
	ds_load_b64 v[3:4], v3
	v_add_co_u32 v1, vcc_lo, s10, v1
	v_add_co_ci_u32_e32 v2, vcc_lo, s11, v2, vcc_lo
	s_waitcnt lgkmcnt(0)
	global_store_b64 v[1:2], v[3:4], off offset:8
.LBB29_45:
	s_or_b32 exec_lo, exec_lo, s1
	v_lshrrev_b32_e32 v1, 4, v0
	v_and_b32_e32 v2, 0xff, v5
	v_lshlrev_b16 v3, 8, v7
	v_lshrrev_b32_e32 v4, 5, v8
	s_add_u32 s1, s6, s3
	v_and_b32_e32 v1, 28, v1
	s_waitcnt_vscnt null, 0x0
	v_or_b32_e32 v2, v2, v3
	v_lshrrev_b32_e32 v3, 5, v0
	v_and_b32_e32 v4, 28, v4
	v_add_nc_u32_e32 v1, v1, v6
	s_barrier
	buffer_gl0_inv
	s_barrier
	buffer_gl0_inv
	s_addc_u32 s2, s7, 0
	ds_store_b16 v1, v2
	v_add_co_u32 v1, s1, s1, v0
	v_and_b32_e32 v3, 12, v3
	v_add_co_ci_u32_e64 v2, null, s2, 0, s1
	v_add_nc_u32_e32 v5, v0, v4
	s_mov_b32 s0, 0
	s_and_b32 vcc_lo, exec_lo, s18
	s_waitcnt lgkmcnt(0)
	s_cbranch_vccz .LBB29_47
; %bb.46:
	v_add_nc_u32_e32 v4, v0, v3
	s_barrier
	buffer_gl0_inv
	s_mov_b32 s0, -1
	ds_load_u8 v6, v4
	ds_load_u8 v4, v5 offset:512
	s_waitcnt lgkmcnt(1)
	global_store_b8 v[1:2], v6, off
	s_cbranch_execz .LBB29_48
	s_branch .LBB29_51
.LBB29_47:
                                        ; implicit-def: $vgpr4
.LBB29_48:
	s_waitcnt lgkmcnt(0)
	s_waitcnt_vscnt null, 0x0
	s_barrier
	buffer_gl0_inv
	ds_load_u8 v4, v5 offset:512
	s_sub_i32 s0, s16, s3
	s_mov_b32 s1, exec_lo
	v_cmpx_gt_u32_e64 s0, v0
	s_cbranch_execz .LBB29_50
; %bb.49:
	v_add_nc_u32_e32 v0, v0, v3
	ds_load_u8 v0, v0
	s_waitcnt lgkmcnt(0)
	global_store_b8 v[1:2], v0, off
.LBB29_50:
	s_or_b32 exec_lo, exec_lo, s1
	v_cmp_gt_u32_e64 s0, s0, v8
.LBB29_51:
	s_delay_alu instid0(VALU_DEP_1)
	s_and_saveexec_b32 s1, s0
	s_cbranch_execz .LBB29_53
; %bb.52:
	s_waitcnt lgkmcnt(0)
	global_store_b8 v[1:2], v4, off offset:512
.LBB29_53:
	s_nop 0
	s_sendmsg sendmsg(MSG_DEALLOC_VGPRS)
	s_endpgm
.LBB29_54:
	v_subrev_nc_u32_e32 v3, s17, v0
	s_mov_b32 s12, exec_lo
                                        ; implicit-def: $vgpr1_vgpr2
	s_delay_alu instid0(VALU_DEP_1)
	v_cmpx_gt_u32_e64 s19, v3
	s_xor_b32 s12, exec_lo, s12
; %bb.55:
	v_mov_b32_e32 v4, 0
	s_mov_b32 s1, exec_lo
	s_delay_alu instid0(VALU_DEP_1) | instskip(NEXT) | instid1(VALU_DEP_1)
	v_lshlrev_b64 v[1:2], 3, v[3:4]
	v_add_co_u32 v1, vcc_lo, s8, v1
	s_delay_alu instid0(VALU_DEP_2)
	v_add_co_ci_u32_e32 v2, vcc_lo, s9, v2, vcc_lo
; %bb.56:
	s_or_b32 exec_lo, exec_lo, s12
	s_delay_alu instid0(SALU_CYCLE_1)
	s_and_b32 s1, s1, exec_lo
	s_and_not1_saveexec_b32 s0, s0
	s_cbranch_execz .LBB29_24
.LBB29_57:
	v_lshlrev_b32_e32 v1, 3, v0
	s_or_b32 s1, s1, exec_lo
	s_delay_alu instid0(VALU_DEP_1) | instskip(NEXT) | instid1(VALU_DEP_1)
	v_add_co_u32 v1, s12, s2, v1
	v_add_co_ci_u32_e64 v2, null, s5, 0, s12
	s_or_b32 exec_lo, exec_lo, s0
	s_and_saveexec_b32 s0, s1
	s_cbranch_execnz .LBB29_25
	s_branch .LBB29_26
	.section	.rodata,"a",@progbits
	.p2align	6, 0x0
	.amdhsa_kernel _ZN7rocprim17ROCPRIM_304000_NS6detail35device_block_merge_mergepath_kernelINS1_37wrapped_merge_sort_block_merge_configINS0_14default_configEaN2at4cuda3cub6detail10OpaqueTypeILi8EEEEEPaSC_PSA_SD_jNS1_19radix_merge_compareILb1ELb0EaNS0_19identity_decomposerEEEEEvT0_T1_T2_T3_T4_SL_jT5_PKSL_NS1_7vsmem_tE
		.amdhsa_group_segment_fixed_size 8208
		.amdhsa_private_segment_fixed_size 0
		.amdhsa_kernarg_size 320
		.amdhsa_user_sgpr_count 13
		.amdhsa_user_sgpr_dispatch_ptr 0
		.amdhsa_user_sgpr_queue_ptr 0
		.amdhsa_user_sgpr_kernarg_segment_ptr 1
		.amdhsa_user_sgpr_dispatch_id 0
		.amdhsa_user_sgpr_private_segment_size 0
		.amdhsa_wavefront_size32 1
		.amdhsa_uses_dynamic_stack 0
		.amdhsa_enable_private_segment 0
		.amdhsa_system_sgpr_workgroup_id_x 1
		.amdhsa_system_sgpr_workgroup_id_y 1
		.amdhsa_system_sgpr_workgroup_id_z 1
		.amdhsa_system_sgpr_workgroup_info 0
		.amdhsa_system_vgpr_workitem_id 0
		.amdhsa_next_free_vgpr 16
		.amdhsa_next_free_sgpr 27
		.amdhsa_reserve_vcc 1
		.amdhsa_float_round_mode_32 0
		.amdhsa_float_round_mode_16_64 0
		.amdhsa_float_denorm_mode_32 3
		.amdhsa_float_denorm_mode_16_64 3
		.amdhsa_dx10_clamp 1
		.amdhsa_ieee_mode 1
		.amdhsa_fp16_overflow 0
		.amdhsa_workgroup_processor_mode 1
		.amdhsa_memory_ordered 1
		.amdhsa_forward_progress 0
		.amdhsa_shared_vgpr_count 0
		.amdhsa_exception_fp_ieee_invalid_op 0
		.amdhsa_exception_fp_denorm_src 0
		.amdhsa_exception_fp_ieee_div_zero 0
		.amdhsa_exception_fp_ieee_overflow 0
		.amdhsa_exception_fp_ieee_underflow 0
		.amdhsa_exception_fp_ieee_inexact 0
		.amdhsa_exception_int_div_zero 0
	.end_amdhsa_kernel
	.section	.text._ZN7rocprim17ROCPRIM_304000_NS6detail35device_block_merge_mergepath_kernelINS1_37wrapped_merge_sort_block_merge_configINS0_14default_configEaN2at4cuda3cub6detail10OpaqueTypeILi8EEEEEPaSC_PSA_SD_jNS1_19radix_merge_compareILb1ELb0EaNS0_19identity_decomposerEEEEEvT0_T1_T2_T3_T4_SL_jT5_PKSL_NS1_7vsmem_tE,"axG",@progbits,_ZN7rocprim17ROCPRIM_304000_NS6detail35device_block_merge_mergepath_kernelINS1_37wrapped_merge_sort_block_merge_configINS0_14default_configEaN2at4cuda3cub6detail10OpaqueTypeILi8EEEEEPaSC_PSA_SD_jNS1_19radix_merge_compareILb1ELb0EaNS0_19identity_decomposerEEEEEvT0_T1_T2_T3_T4_SL_jT5_PKSL_NS1_7vsmem_tE,comdat
.Lfunc_end29:
	.size	_ZN7rocprim17ROCPRIM_304000_NS6detail35device_block_merge_mergepath_kernelINS1_37wrapped_merge_sort_block_merge_configINS0_14default_configEaN2at4cuda3cub6detail10OpaqueTypeILi8EEEEEPaSC_PSA_SD_jNS1_19radix_merge_compareILb1ELb0EaNS0_19identity_decomposerEEEEEvT0_T1_T2_T3_T4_SL_jT5_PKSL_NS1_7vsmem_tE, .Lfunc_end29-_ZN7rocprim17ROCPRIM_304000_NS6detail35device_block_merge_mergepath_kernelINS1_37wrapped_merge_sort_block_merge_configINS0_14default_configEaN2at4cuda3cub6detail10OpaqueTypeILi8EEEEEPaSC_PSA_SD_jNS1_19radix_merge_compareILb1ELb0EaNS0_19identity_decomposerEEEEEvT0_T1_T2_T3_T4_SL_jT5_PKSL_NS1_7vsmem_tE
                                        ; -- End function
	.section	.AMDGPU.csdata,"",@progbits
; Kernel info:
; codeLenInByte = 2376
; NumSgprs: 29
; NumVgprs: 16
; ScratchSize: 0
; MemoryBound: 1
; FloatMode: 240
; IeeeMode: 1
; LDSByteSize: 8208 bytes/workgroup (compile time only)
; SGPRBlocks: 3
; VGPRBlocks: 1
; NumSGPRsForWavesPerEU: 29
; NumVGPRsForWavesPerEU: 16
; Occupancy: 16
; WaveLimiterHint : 1
; COMPUTE_PGM_RSRC2:SCRATCH_EN: 0
; COMPUTE_PGM_RSRC2:USER_SGPR: 13
; COMPUTE_PGM_RSRC2:TRAP_HANDLER: 0
; COMPUTE_PGM_RSRC2:TGID_X_EN: 1
; COMPUTE_PGM_RSRC2:TGID_Y_EN: 1
; COMPUTE_PGM_RSRC2:TGID_Z_EN: 1
; COMPUTE_PGM_RSRC2:TIDIG_COMP_CNT: 0
	.section	.text._ZN7rocprim17ROCPRIM_304000_NS6detail33device_block_merge_oddeven_kernelINS1_37wrapped_merge_sort_block_merge_configINS0_14default_configEaN2at4cuda3cub6detail10OpaqueTypeILi8EEEEEPaSC_PSA_SD_jNS1_19radix_merge_compareILb1ELb0EaNS0_19identity_decomposerEEEEEvT0_T1_T2_T3_T4_SL_T5_,"axG",@progbits,_ZN7rocprim17ROCPRIM_304000_NS6detail33device_block_merge_oddeven_kernelINS1_37wrapped_merge_sort_block_merge_configINS0_14default_configEaN2at4cuda3cub6detail10OpaqueTypeILi8EEEEEPaSC_PSA_SD_jNS1_19radix_merge_compareILb1ELb0EaNS0_19identity_decomposerEEEEEvT0_T1_T2_T3_T4_SL_T5_,comdat
	.protected	_ZN7rocprim17ROCPRIM_304000_NS6detail33device_block_merge_oddeven_kernelINS1_37wrapped_merge_sort_block_merge_configINS0_14default_configEaN2at4cuda3cub6detail10OpaqueTypeILi8EEEEEPaSC_PSA_SD_jNS1_19radix_merge_compareILb1ELb0EaNS0_19identity_decomposerEEEEEvT0_T1_T2_T3_T4_SL_T5_ ; -- Begin function _ZN7rocprim17ROCPRIM_304000_NS6detail33device_block_merge_oddeven_kernelINS1_37wrapped_merge_sort_block_merge_configINS0_14default_configEaN2at4cuda3cub6detail10OpaqueTypeILi8EEEEEPaSC_PSA_SD_jNS1_19radix_merge_compareILb1ELb0EaNS0_19identity_decomposerEEEEEvT0_T1_T2_T3_T4_SL_T5_
	.globl	_ZN7rocprim17ROCPRIM_304000_NS6detail33device_block_merge_oddeven_kernelINS1_37wrapped_merge_sort_block_merge_configINS0_14default_configEaN2at4cuda3cub6detail10OpaqueTypeILi8EEEEEPaSC_PSA_SD_jNS1_19radix_merge_compareILb1ELb0EaNS0_19identity_decomposerEEEEEvT0_T1_T2_T3_T4_SL_T5_
	.p2align	8
	.type	_ZN7rocprim17ROCPRIM_304000_NS6detail33device_block_merge_oddeven_kernelINS1_37wrapped_merge_sort_block_merge_configINS0_14default_configEaN2at4cuda3cub6detail10OpaqueTypeILi8EEEEEPaSC_PSA_SD_jNS1_19radix_merge_compareILb1ELb0EaNS0_19identity_decomposerEEEEEvT0_T1_T2_T3_T4_SL_T5_,@function
_ZN7rocprim17ROCPRIM_304000_NS6detail33device_block_merge_oddeven_kernelINS1_37wrapped_merge_sort_block_merge_configINS0_14default_configEaN2at4cuda3cub6detail10OpaqueTypeILi8EEEEEPaSC_PSA_SD_jNS1_19radix_merge_compareILb1ELb0EaNS0_19identity_decomposerEEEEEvT0_T1_T2_T3_T4_SL_T5_: ; @_ZN7rocprim17ROCPRIM_304000_NS6detail33device_block_merge_oddeven_kernelINS1_37wrapped_merge_sort_block_merge_configINS0_14default_configEaN2at4cuda3cub6detail10OpaqueTypeILi8EEEEEPaSC_PSA_SD_jNS1_19radix_merge_compareILb1ELb0EaNS0_19identity_decomposerEEEEEvT0_T1_T2_T3_T4_SL_T5_
; %bb.0:
	s_load_b64 s[16:17], s[0:1], 0x20
	s_waitcnt lgkmcnt(0)
	s_lshr_b32 s2, s16, 8
	s_delay_alu instid0(SALU_CYCLE_1) | instskip(SKIP_4) | instid1(SALU_CYCLE_1)
	s_cmp_lg_u32 s15, s2
	s_cselect_b32 s4, -1, 0
	s_cmp_eq_u32 s15, s2
	s_cselect_b32 s3, -1, 0
	s_lshl_b32 s12, s15, 8
	s_sub_i32 s2, s16, s12
	s_delay_alu instid0(SALU_CYCLE_1) | instskip(NEXT) | instid1(VALU_DEP_1)
	v_cmp_gt_u32_e64 s2, s2, v0
	s_or_b32 s4, s4, s2
	s_delay_alu instid0(SALU_CYCLE_1)
	s_and_saveexec_b32 s5, s4
	s_cbranch_execz .LBB30_26
; %bb.1:
	s_load_b256 s[4:11], s[0:1], 0x0
	s_mov_b32 s13, 0
	v_lshlrev_b32_e32 v1, 3, v0
	v_add_nc_u32_e32 v5, s12, v0
	s_waitcnt lgkmcnt(0)
	s_add_u32 s0, s4, s12
	s_addc_u32 s1, s5, 0
	s_lshl_b64 s[18:19], s[12:13], 3
	s_delay_alu instid0(SALU_CYCLE_1) | instskip(SKIP_4) | instid1(SALU_CYCLE_1)
	s_add_u32 s8, s8, s18
	s_addc_u32 s9, s9, s19
	global_load_b64 v[1:2], v1, s[8:9]
	global_load_i8 v7, v0, s[0:1]
	s_lshr_b32 s0, s17, 8
	s_sub_i32 s1, 0, s0
	s_delay_alu instid0(SALU_CYCLE_1) | instskip(NEXT) | instid1(SALU_CYCLE_1)
	s_and_b32 s1, s15, s1
	s_and_b32 s0, s1, s0
	s_lshl_b32 s9, s1, 8
	s_sub_i32 s1, 0, s17
	s_cmp_eq_u32 s0, 0
	s_cselect_b32 s0, -1, 0
	s_delay_alu instid0(SALU_CYCLE_1) | instskip(SKIP_1) | instid1(SALU_CYCLE_1)
	s_and_b32 s8, s0, exec_lo
	s_cselect_b32 s1, s17, s1
	s_add_i32 s1, s1, s9
	s_delay_alu instid0(SALU_CYCLE_1)
	s_cmp_lt_u32 s1, s16
	s_cbranch_scc1 .LBB30_6
; %bb.2:
	s_and_b32 vcc_lo, exec_lo, s3
	s_cbranch_vccz .LBB30_7
; %bb.3:
	s_mov_b32 s8, 0
	s_mov_b32 s12, exec_lo
                                        ; implicit-def: $vgpr3_vgpr4
	v_cmpx_gt_u32_e64 s16, v5
	s_cbranch_execz .LBB30_5
; %bb.4:
	v_mov_b32_e32 v6, 0
	s_mov_b32 s13, exec_lo
	s_waitcnt vmcnt(0)
	global_store_b8 v5, v7, s[6:7]
	v_lshlrev_b64 v[3:4], 3, v[5:6]
	s_delay_alu instid0(VALU_DEP_1) | instskip(NEXT) | instid1(VALU_DEP_2)
	v_add_co_u32 v3, vcc_lo, s10, v3
	v_add_co_ci_u32_e32 v4, vcc_lo, s11, v4, vcc_lo
.LBB30_5:
	s_or_b32 exec_lo, exec_lo, s12
	s_delay_alu instid0(SALU_CYCLE_1)
	s_and_b32 vcc_lo, exec_lo, s8
	s_cbranch_vccnz .LBB30_8
	s_branch .LBB30_9
.LBB30_6:
                                        ; implicit-def: $vgpr3_vgpr4
	s_cbranch_execnz .LBB30_10
	s_branch .LBB30_24
.LBB30_7:
                                        ; implicit-def: $vgpr3_vgpr4
	s_cbranch_execz .LBB30_9
.LBB30_8:
	v_mov_b32_e32 v6, 0
	s_or_b32 s13, s13, exec_lo
	s_waitcnt vmcnt(0)
	global_store_b8 v5, v7, s[6:7]
	v_lshlrev_b64 v[3:4], 3, v[5:6]
	s_delay_alu instid0(VALU_DEP_1) | instskip(NEXT) | instid1(VALU_DEP_2)
	v_add_co_u32 v3, vcc_lo, s10, v3
	v_add_co_ci_u32_e32 v4, vcc_lo, s11, v4, vcc_lo
.LBB30_9:
	s_branch .LBB30_24
.LBB30_10:
	s_min_u32 s8, s1, s16
	s_and_b32 vcc_lo, exec_lo, s3
	s_add_i32 s12, s9, s8
	s_min_u32 s9, s9, s8
	v_subrev_nc_u32_e32 v0, s12, v5
	s_add_i32 s12, s8, s17
	s_delay_alu instid0(SALU_CYCLE_1) | instskip(NEXT) | instid1(VALU_DEP_1)
	s_min_u32 s3, s12, s16
	v_add_nc_u32_e32 v0, s9, v0
	s_cbranch_vccz .LBB30_18
; %bb.11:
                                        ; implicit-def: $vgpr3_vgpr4
	s_and_saveexec_b32 s9, s2
	s_cbranch_execz .LBB30_17
; %bb.12:
	v_mov_b32_e32 v3, s8
	s_cmp_ge_u32 s1, s3
	s_cbranch_scc1 .LBB30_16
; %bb.13:
	v_dual_mov_b32 v4, s3 :: v_dual_mov_b32 v3, s8
	s_mov_b32 s2, 0
	.p2align	6
.LBB30_14:                              ; =>This Inner Loop Header: Depth=1
	s_delay_alu instid0(VALU_DEP_1) | instskip(NEXT) | instid1(VALU_DEP_1)
	v_add_nc_u32_e32 v5, v3, v4
	v_lshrrev_b32_e32 v5, 1, v5
	global_load_i8 v6, v5, s[4:5]
	s_waitcnt vmcnt(0)
	v_cmp_gt_i16_e32 vcc_lo, v6, v7
	v_cndmask_b32_e64 v8, 0, 1, vcc_lo
	v_cmp_le_i16_e32 vcc_lo, v7, v6
	v_cndmask_b32_e64 v6, 0, 1, vcc_lo
	s_delay_alu instid0(VALU_DEP_1) | instskip(SKIP_1) | instid1(VALU_DEP_2)
	v_cndmask_b32_e64 v6, v6, v8, s0
	v_add_nc_u32_e32 v8, 1, v5
	v_and_b32_e32 v6, 1, v6
	s_delay_alu instid0(VALU_DEP_1) | instskip(NEXT) | instid1(VALU_DEP_3)
	v_cmp_eq_u32_e32 vcc_lo, 1, v6
	v_cndmask_b32_e32 v3, v3, v8, vcc_lo
	v_cndmask_b32_e32 v4, v5, v4, vcc_lo
	s_delay_alu instid0(VALU_DEP_1) | instskip(SKIP_1) | instid1(SALU_CYCLE_1)
	v_cmp_ge_u32_e32 vcc_lo, v3, v4
	s_or_b32 s2, vcc_lo, s2
	s_and_not1_b32 exec_lo, exec_lo, s2
	s_cbranch_execnz .LBB30_14
; %bb.15:
	s_or_b32 exec_lo, exec_lo, s2
.LBB30_16:
	s_delay_alu instid0(VALU_DEP_1) | instskip(SKIP_4) | instid1(VALU_DEP_1)
	v_dual_mov_b32 v6, 0 :: v_dual_add_nc_u32 v5, v3, v0
	s_or_b32 s13, s13, exec_lo
	s_waitcnt vmcnt(0)
	global_store_b8 v5, v7, s[6:7]
	v_lshlrev_b64 v[3:4], 3, v[5:6]
	v_add_co_u32 v3, vcc_lo, s10, v3
	s_delay_alu instid0(VALU_DEP_2)
	v_add_co_ci_u32_e32 v4, vcc_lo, s11, v4, vcc_lo
.LBB30_17:
	s_or_b32 exec_lo, exec_lo, s9
	s_branch .LBB30_24
.LBB30_18:
                                        ; implicit-def: $vgpr3_vgpr4
	s_cbranch_execz .LBB30_24
; %bb.19:
	v_mov_b32_e32 v3, s8
	s_cmp_ge_u32 s1, s3
	s_cbranch_scc1 .LBB30_23
; %bb.20:
	v_dual_mov_b32 v4, s3 :: v_dual_mov_b32 v3, s8
	s_mov_b32 s1, 0
	.p2align	6
.LBB30_21:                              ; =>This Inner Loop Header: Depth=1
	s_delay_alu instid0(VALU_DEP_1) | instskip(NEXT) | instid1(VALU_DEP_1)
	v_add_nc_u32_e32 v5, v3, v4
	v_lshrrev_b32_e32 v5, 1, v5
	global_load_i8 v6, v5, s[4:5]
	s_waitcnt vmcnt(0)
	v_cmp_gt_i16_e32 vcc_lo, v6, v7
	v_cndmask_b32_e64 v8, 0, 1, vcc_lo
	v_cmp_le_i16_e32 vcc_lo, v7, v6
	v_cndmask_b32_e64 v6, 0, 1, vcc_lo
	s_delay_alu instid0(VALU_DEP_1) | instskip(SKIP_1) | instid1(VALU_DEP_2)
	v_cndmask_b32_e64 v6, v6, v8, s0
	v_add_nc_u32_e32 v8, 1, v5
	v_and_b32_e32 v6, 1, v6
	s_delay_alu instid0(VALU_DEP_1) | instskip(NEXT) | instid1(VALU_DEP_3)
	v_cmp_eq_u32_e32 vcc_lo, 1, v6
	v_cndmask_b32_e32 v3, v3, v8, vcc_lo
	v_cndmask_b32_e32 v4, v5, v4, vcc_lo
	s_delay_alu instid0(VALU_DEP_1) | instskip(SKIP_1) | instid1(SALU_CYCLE_1)
	v_cmp_ge_u32_e32 vcc_lo, v3, v4
	s_or_b32 s1, vcc_lo, s1
	s_and_not1_b32 exec_lo, exec_lo, s1
	s_cbranch_execnz .LBB30_21
; %bb.22:
	s_or_b32 exec_lo, exec_lo, s1
.LBB30_23:
	s_delay_alu instid0(VALU_DEP_1) | instskip(SKIP_4) | instid1(VALU_DEP_1)
	v_dual_mov_b32 v6, 0 :: v_dual_add_nc_u32 v5, v3, v0
	s_mov_b32 s13, -1
	s_waitcnt vmcnt(0)
	global_store_b8 v5, v7, s[6:7]
	v_lshlrev_b64 v[3:4], 3, v[5:6]
	v_add_co_u32 v3, vcc_lo, s10, v3
	s_delay_alu instid0(VALU_DEP_2)
	v_add_co_ci_u32_e32 v4, vcc_lo, s11, v4, vcc_lo
.LBB30_24:
	s_and_b32 exec_lo, exec_lo, s13
	s_cbranch_execz .LBB30_26
; %bb.25:
	s_waitcnt vmcnt(1)
	global_store_b64 v[3:4], v[1:2], off
.LBB30_26:
	s_nop 0
	s_sendmsg sendmsg(MSG_DEALLOC_VGPRS)
	s_endpgm
	.section	.rodata,"a",@progbits
	.p2align	6, 0x0
	.amdhsa_kernel _ZN7rocprim17ROCPRIM_304000_NS6detail33device_block_merge_oddeven_kernelINS1_37wrapped_merge_sort_block_merge_configINS0_14default_configEaN2at4cuda3cub6detail10OpaqueTypeILi8EEEEEPaSC_PSA_SD_jNS1_19radix_merge_compareILb1ELb0EaNS0_19identity_decomposerEEEEEvT0_T1_T2_T3_T4_SL_T5_
		.amdhsa_group_segment_fixed_size 0
		.amdhsa_private_segment_fixed_size 0
		.amdhsa_kernarg_size 44
		.amdhsa_user_sgpr_count 15
		.amdhsa_user_sgpr_dispatch_ptr 0
		.amdhsa_user_sgpr_queue_ptr 0
		.amdhsa_user_sgpr_kernarg_segment_ptr 1
		.amdhsa_user_sgpr_dispatch_id 0
		.amdhsa_user_sgpr_private_segment_size 0
		.amdhsa_wavefront_size32 1
		.amdhsa_uses_dynamic_stack 0
		.amdhsa_enable_private_segment 0
		.amdhsa_system_sgpr_workgroup_id_x 1
		.amdhsa_system_sgpr_workgroup_id_y 0
		.amdhsa_system_sgpr_workgroup_id_z 0
		.amdhsa_system_sgpr_workgroup_info 0
		.amdhsa_system_vgpr_workitem_id 0
		.amdhsa_next_free_vgpr 9
		.amdhsa_next_free_sgpr 20
		.amdhsa_reserve_vcc 1
		.amdhsa_float_round_mode_32 0
		.amdhsa_float_round_mode_16_64 0
		.amdhsa_float_denorm_mode_32 3
		.amdhsa_float_denorm_mode_16_64 3
		.amdhsa_dx10_clamp 1
		.amdhsa_ieee_mode 1
		.amdhsa_fp16_overflow 0
		.amdhsa_workgroup_processor_mode 1
		.amdhsa_memory_ordered 1
		.amdhsa_forward_progress 0
		.amdhsa_shared_vgpr_count 0
		.amdhsa_exception_fp_ieee_invalid_op 0
		.amdhsa_exception_fp_denorm_src 0
		.amdhsa_exception_fp_ieee_div_zero 0
		.amdhsa_exception_fp_ieee_overflow 0
		.amdhsa_exception_fp_ieee_underflow 0
		.amdhsa_exception_fp_ieee_inexact 0
		.amdhsa_exception_int_div_zero 0
	.end_amdhsa_kernel
	.section	.text._ZN7rocprim17ROCPRIM_304000_NS6detail33device_block_merge_oddeven_kernelINS1_37wrapped_merge_sort_block_merge_configINS0_14default_configEaN2at4cuda3cub6detail10OpaqueTypeILi8EEEEEPaSC_PSA_SD_jNS1_19radix_merge_compareILb1ELb0EaNS0_19identity_decomposerEEEEEvT0_T1_T2_T3_T4_SL_T5_,"axG",@progbits,_ZN7rocprim17ROCPRIM_304000_NS6detail33device_block_merge_oddeven_kernelINS1_37wrapped_merge_sort_block_merge_configINS0_14default_configEaN2at4cuda3cub6detail10OpaqueTypeILi8EEEEEPaSC_PSA_SD_jNS1_19radix_merge_compareILb1ELb0EaNS0_19identity_decomposerEEEEEvT0_T1_T2_T3_T4_SL_T5_,comdat
.Lfunc_end30:
	.size	_ZN7rocprim17ROCPRIM_304000_NS6detail33device_block_merge_oddeven_kernelINS1_37wrapped_merge_sort_block_merge_configINS0_14default_configEaN2at4cuda3cub6detail10OpaqueTypeILi8EEEEEPaSC_PSA_SD_jNS1_19radix_merge_compareILb1ELb0EaNS0_19identity_decomposerEEEEEvT0_T1_T2_T3_T4_SL_T5_, .Lfunc_end30-_ZN7rocprim17ROCPRIM_304000_NS6detail33device_block_merge_oddeven_kernelINS1_37wrapped_merge_sort_block_merge_configINS0_14default_configEaN2at4cuda3cub6detail10OpaqueTypeILi8EEEEEPaSC_PSA_SD_jNS1_19radix_merge_compareILb1ELb0EaNS0_19identity_decomposerEEEEEvT0_T1_T2_T3_T4_SL_T5_
                                        ; -- End function
	.section	.AMDGPU.csdata,"",@progbits
; Kernel info:
; codeLenInByte = 812
; NumSgprs: 22
; NumVgprs: 9
; ScratchSize: 0
; MemoryBound: 0
; FloatMode: 240
; IeeeMode: 1
; LDSByteSize: 0 bytes/workgroup (compile time only)
; SGPRBlocks: 2
; VGPRBlocks: 1
; NumSGPRsForWavesPerEU: 22
; NumVGPRsForWavesPerEU: 9
; Occupancy: 16
; WaveLimiterHint : 0
; COMPUTE_PGM_RSRC2:SCRATCH_EN: 0
; COMPUTE_PGM_RSRC2:USER_SGPR: 15
; COMPUTE_PGM_RSRC2:TRAP_HANDLER: 0
; COMPUTE_PGM_RSRC2:TGID_X_EN: 1
; COMPUTE_PGM_RSRC2:TGID_Y_EN: 0
; COMPUTE_PGM_RSRC2:TGID_Z_EN: 0
; COMPUTE_PGM_RSRC2:TIDIG_COMP_CNT: 0
	.section	.text._ZN7rocprim17ROCPRIM_304000_NS6detail16transform_kernelINS1_24wrapped_transform_configINS0_14default_configEaEEaPaS6_NS0_8identityIaEEEEvT1_mT2_T3_,"axG",@progbits,_ZN7rocprim17ROCPRIM_304000_NS6detail16transform_kernelINS1_24wrapped_transform_configINS0_14default_configEaEEaPaS6_NS0_8identityIaEEEEvT1_mT2_T3_,comdat
	.protected	_ZN7rocprim17ROCPRIM_304000_NS6detail16transform_kernelINS1_24wrapped_transform_configINS0_14default_configEaEEaPaS6_NS0_8identityIaEEEEvT1_mT2_T3_ ; -- Begin function _ZN7rocprim17ROCPRIM_304000_NS6detail16transform_kernelINS1_24wrapped_transform_configINS0_14default_configEaEEaPaS6_NS0_8identityIaEEEEvT1_mT2_T3_
	.globl	_ZN7rocprim17ROCPRIM_304000_NS6detail16transform_kernelINS1_24wrapped_transform_configINS0_14default_configEaEEaPaS6_NS0_8identityIaEEEEvT1_mT2_T3_
	.p2align	8
	.type	_ZN7rocprim17ROCPRIM_304000_NS6detail16transform_kernelINS1_24wrapped_transform_configINS0_14default_configEaEEaPaS6_NS0_8identityIaEEEEvT1_mT2_T3_,@function
_ZN7rocprim17ROCPRIM_304000_NS6detail16transform_kernelINS1_24wrapped_transform_configINS0_14default_configEaEEaPaS6_NS0_8identityIaEEEEvT1_mT2_T3_: ; @_ZN7rocprim17ROCPRIM_304000_NS6detail16transform_kernelINS1_24wrapped_transform_configINS0_14default_configEaEEaPaS6_NS0_8identityIaEEEEvT1_mT2_T3_
; %bb.0:
	s_clause 0x2
	s_load_b32 s2, s[0:1], 0x20
	s_load_b128 s[4:7], s[0:1], 0x0
	s_load_b64 s[8:9], s[0:1], 0x10
	s_lshl_b32 s3, s15, 12
	s_waitcnt lgkmcnt(0)
	s_add_i32 s2, s2, -1
	s_add_u32 s0, s4, s3
	s_addc_u32 s1, s5, 0
	v_add_co_u32 v1, s0, s0, v0
	s_delay_alu instid0(VALU_DEP_1)
	v_add_co_ci_u32_e64 v2, null, s1, 0, s0
	s_mov_b32 s4, 0
	s_cmp_lg_u32 s15, s2
	s_mov_b32 s0, -1
	s_cbranch_scc0 .LBB31_2
; %bb.1:
	s_clause 0x3
	global_load_u8 v6, v[1:2], off
	global_load_u8 v7, v[1:2], off offset:1024
	global_load_u8 v8, v[1:2], off offset:2048
	;; [unrolled: 1-line block ×3, first 2 shown]
	s_add_u32 s0, s8, s3
	s_addc_u32 s1, s9, 0
	v_add_co_u32 v4, s0, s0, v0
	s_delay_alu instid0(VALU_DEP_1)
	v_add_co_ci_u32_e64 v5, null, s1, 0, s0
	s_mov_b32 s4, -1
	s_waitcnt vmcnt(3)
	global_store_b8 v[4:5], v6, off
	s_waitcnt vmcnt(2)
	global_store_b8 v[4:5], v7, off offset:1024
	s_waitcnt vmcnt(1)
	global_store_b8 v[4:5], v8, off offset:2048
	s_cbranch_execz .LBB31_3
	s_branch .LBB31_17
.LBB31_2:
                                        ; implicit-def: $vgpr3
	s_and_not1_b32 vcc_lo, exec_lo, s0
	s_cbranch_vccnz .LBB31_17
.LBB31_3:
	s_sub_i32 s2, s6, s3
                                        ; implicit-def: $vgpr4
	s_delay_alu instid0(SALU_CYCLE_1)
	v_cmp_gt_u32_e32 vcc_lo, s2, v0
	s_and_saveexec_b32 s0, vcc_lo
	s_cbranch_execz .LBB31_5
; %bb.4:
	global_load_u8 v4, v[1:2], off
.LBB31_5:
	s_or_b32 exec_lo, exec_lo, s0
	s_waitcnt vmcnt(0)
	v_or_b32_e32 v3, 0x400, v0
                                        ; implicit-def: $vgpr6
	s_delay_alu instid0(VALU_DEP_1) | instskip(NEXT) | instid1(VALU_DEP_1)
	v_cmp_gt_u32_e64 s0, s2, v3
	s_and_saveexec_b32 s1, s0
	s_cbranch_execz .LBB31_7
; %bb.6:
	global_load_u8 v6, v[1:2], off offset:1024
.LBB31_7:
	s_or_b32 exec_lo, exec_lo, s1
	v_or_b32_e32 v3, 0x800, v0
	s_delay_alu instid0(VALU_DEP_1) | instskip(NEXT) | instid1(VALU_DEP_1)
	v_cmp_gt_u32_e64 s1, s2, v3
                                        ; implicit-def: $vgpr3
	s_and_saveexec_b32 s5, s1
	s_cbranch_execz .LBB31_9
; %bb.8:
	global_load_u8 v3, v[1:2], off offset:2048
.LBB31_9:
	s_or_b32 exec_lo, exec_lo, s5
	v_or_b32_e32 v5, 0xc00, v0
	s_delay_alu instid0(VALU_DEP_1) | instskip(NEXT) | instid1(VALU_DEP_1)
	v_cmp_gt_u32_e64 s2, s2, v5
                                        ; implicit-def: $vgpr5
	s_and_saveexec_b32 s5, s2
	s_cbranch_execz .LBB31_11
; %bb.10:
	global_load_u8 v5, v[1:2], off offset:3072
.LBB31_11:
	s_or_b32 exec_lo, exec_lo, s5
	v_and_b32_e32 v1, 0xff, v4
	s_waitcnt vmcnt(0)
	v_lshlrev_b16 v2, 8, v6
	v_and_b32_e32 v4, 0xff, v3
	v_lshlrev_b16 v6, 8, v5
	s_add_u32 s5, s8, s3
	s_addc_u32 s6, s9, 0
	v_or_b32_e32 v1, v1, v2
	s_delay_alu instid0(VALU_DEP_2) | instskip(NEXT) | instid1(VALU_DEP_2)
	v_or_b32_e32 v2, v4, v6
	v_and_b32_e32 v1, 0xffff, v1
	s_delay_alu instid0(VALU_DEP_2) | instskip(NEXT) | instid1(VALU_DEP_1)
	v_lshlrev_b32_e32 v2, 16, v2
	v_or_b32_e32 v4, v1, v2
	v_add_co_u32 v1, s5, s5, v0
	s_delay_alu instid0(VALU_DEP_1)
	v_add_co_ci_u32_e64 v2, null, s6, 0, s5
	s_and_saveexec_b32 s5, vcc_lo
	s_cbranch_execnz .LBB31_20
; %bb.12:
	s_or_b32 exec_lo, exec_lo, s5
	s_and_saveexec_b32 s5, s0
	s_cbranch_execnz .LBB31_21
.LBB31_13:
	s_or_b32 exec_lo, exec_lo, s5
	v_perm_b32 v4, v4, v4, 0x7060104
	s_and_saveexec_b32 s0, s1
	s_cbranch_execnz .LBB31_22
.LBB31_14:
	s_or_b32 exec_lo, exec_lo, s0
                                        ; implicit-def: $vgpr3
	s_and_saveexec_b32 s0, s2
.LBB31_15:
	v_lshlrev_b32_e32 v1, 24, v5
	s_or_b32 s4, s4, exec_lo
	s_delay_alu instid0(VALU_DEP_1) | instskip(NEXT) | instid1(VALU_DEP_1)
	v_cndmask_b32_e64 v1, v4, v1, s2
	v_lshrrev_b32_e32 v3, 24, v1
.LBB31_16:
	s_or_b32 exec_lo, exec_lo, s0
.LBB31_17:
	s_and_saveexec_b32 s0, s4
	s_cbranch_execnz .LBB31_19
; %bb.18:
	s_nop 0
	s_sendmsg sendmsg(MSG_DEALLOC_VGPRS)
	s_endpgm
.LBB31_19:
	s_add_u32 s0, s8, s3
	s_addc_u32 s1, s9, 0
	v_add_co_u32 v0, s0, s0, v0
	s_delay_alu instid0(VALU_DEP_1)
	v_add_co_ci_u32_e64 v1, null, s1, 0, s0
	s_waitcnt vmcnt(0)
	global_store_b8 v[0:1], v3, off offset:3072
	s_nop 0
	s_sendmsg sendmsg(MSG_DEALLOC_VGPRS)
	s_endpgm
.LBB31_20:
	global_store_b8 v[1:2], v4, off
	s_or_b32 exec_lo, exec_lo, s5
	s_and_saveexec_b32 s5, s0
	s_cbranch_execz .LBB31_13
.LBB31_21:
	v_lshrrev_b32_e32 v6, 8, v4
	global_store_b8 v[1:2], v6, off offset:1024
	s_or_b32 exec_lo, exec_lo, s5
	v_perm_b32 v4, v4, v4, 0x7060104
	s_and_saveexec_b32 s0, s1
	s_cbranch_execz .LBB31_14
.LBB31_22:
	v_lshlrev_b32_e32 v3, 16, v3
	s_delay_alu instid0(VALU_DEP_1)
	v_cndmask_b32_e64 v3, v4, v3, s1
	global_store_d16_hi_b8 v[1:2], v3, off offset:2048
	s_or_b32 exec_lo, exec_lo, s0
                                        ; implicit-def: $vgpr3
	s_and_saveexec_b32 s0, s2
	s_cbranch_execnz .LBB31_15
	s_branch .LBB31_16
	.section	.rodata,"a",@progbits
	.p2align	6, 0x0
	.amdhsa_kernel _ZN7rocprim17ROCPRIM_304000_NS6detail16transform_kernelINS1_24wrapped_transform_configINS0_14default_configEaEEaPaS6_NS0_8identityIaEEEEvT1_mT2_T3_
		.amdhsa_group_segment_fixed_size 0
		.amdhsa_private_segment_fixed_size 0
		.amdhsa_kernarg_size 288
		.amdhsa_user_sgpr_count 15
		.amdhsa_user_sgpr_dispatch_ptr 0
		.amdhsa_user_sgpr_queue_ptr 0
		.amdhsa_user_sgpr_kernarg_segment_ptr 1
		.amdhsa_user_sgpr_dispatch_id 0
		.amdhsa_user_sgpr_private_segment_size 0
		.amdhsa_wavefront_size32 1
		.amdhsa_uses_dynamic_stack 0
		.amdhsa_enable_private_segment 0
		.amdhsa_system_sgpr_workgroup_id_x 1
		.amdhsa_system_sgpr_workgroup_id_y 0
		.amdhsa_system_sgpr_workgroup_id_z 0
		.amdhsa_system_sgpr_workgroup_info 0
		.amdhsa_system_vgpr_workitem_id 0
		.amdhsa_next_free_vgpr 9
		.amdhsa_next_free_sgpr 16
		.amdhsa_reserve_vcc 1
		.amdhsa_float_round_mode_32 0
		.amdhsa_float_round_mode_16_64 0
		.amdhsa_float_denorm_mode_32 3
		.amdhsa_float_denorm_mode_16_64 3
		.amdhsa_dx10_clamp 1
		.amdhsa_ieee_mode 1
		.amdhsa_fp16_overflow 0
		.amdhsa_workgroup_processor_mode 1
		.amdhsa_memory_ordered 1
		.amdhsa_forward_progress 0
		.amdhsa_shared_vgpr_count 0
		.amdhsa_exception_fp_ieee_invalid_op 0
		.amdhsa_exception_fp_denorm_src 0
		.amdhsa_exception_fp_ieee_div_zero 0
		.amdhsa_exception_fp_ieee_overflow 0
		.amdhsa_exception_fp_ieee_underflow 0
		.amdhsa_exception_fp_ieee_inexact 0
		.amdhsa_exception_int_div_zero 0
	.end_amdhsa_kernel
	.section	.text._ZN7rocprim17ROCPRIM_304000_NS6detail16transform_kernelINS1_24wrapped_transform_configINS0_14default_configEaEEaPaS6_NS0_8identityIaEEEEvT1_mT2_T3_,"axG",@progbits,_ZN7rocprim17ROCPRIM_304000_NS6detail16transform_kernelINS1_24wrapped_transform_configINS0_14default_configEaEEaPaS6_NS0_8identityIaEEEEvT1_mT2_T3_,comdat
.Lfunc_end31:
	.size	_ZN7rocprim17ROCPRIM_304000_NS6detail16transform_kernelINS1_24wrapped_transform_configINS0_14default_configEaEEaPaS6_NS0_8identityIaEEEEvT1_mT2_T3_, .Lfunc_end31-_ZN7rocprim17ROCPRIM_304000_NS6detail16transform_kernelINS1_24wrapped_transform_configINS0_14default_configEaEEaPaS6_NS0_8identityIaEEEEvT1_mT2_T3_
                                        ; -- End function
	.section	.AMDGPU.csdata,"",@progbits
; Kernel info:
; codeLenInByte = 704
; NumSgprs: 18
; NumVgprs: 9
; ScratchSize: 0
; MemoryBound: 0
; FloatMode: 240
; IeeeMode: 1
; LDSByteSize: 0 bytes/workgroup (compile time only)
; SGPRBlocks: 2
; VGPRBlocks: 1
; NumSGPRsForWavesPerEU: 18
; NumVGPRsForWavesPerEU: 9
; Occupancy: 16
; WaveLimiterHint : 1
; COMPUTE_PGM_RSRC2:SCRATCH_EN: 0
; COMPUTE_PGM_RSRC2:USER_SGPR: 15
; COMPUTE_PGM_RSRC2:TRAP_HANDLER: 0
; COMPUTE_PGM_RSRC2:TGID_X_EN: 1
; COMPUTE_PGM_RSRC2:TGID_Y_EN: 0
; COMPUTE_PGM_RSRC2:TGID_Z_EN: 0
; COMPUTE_PGM_RSRC2:TIDIG_COMP_CNT: 0
	.section	.text._ZN7rocprim17ROCPRIM_304000_NS6detail45device_block_merge_mergepath_partition_kernelINS1_37wrapped_merge_sort_block_merge_configINS0_14default_configEaN2at4cuda3cub6detail10OpaqueTypeILi8EEEEEPajNS1_19radix_merge_compareILb1ELb1EaNS0_19identity_decomposerEEEEEvT0_T1_jPSH_T2_SH_,"axG",@progbits,_ZN7rocprim17ROCPRIM_304000_NS6detail45device_block_merge_mergepath_partition_kernelINS1_37wrapped_merge_sort_block_merge_configINS0_14default_configEaN2at4cuda3cub6detail10OpaqueTypeILi8EEEEEPajNS1_19radix_merge_compareILb1ELb1EaNS0_19identity_decomposerEEEEEvT0_T1_jPSH_T2_SH_,comdat
	.protected	_ZN7rocprim17ROCPRIM_304000_NS6detail45device_block_merge_mergepath_partition_kernelINS1_37wrapped_merge_sort_block_merge_configINS0_14default_configEaN2at4cuda3cub6detail10OpaqueTypeILi8EEEEEPajNS1_19radix_merge_compareILb1ELb1EaNS0_19identity_decomposerEEEEEvT0_T1_jPSH_T2_SH_ ; -- Begin function _ZN7rocprim17ROCPRIM_304000_NS6detail45device_block_merge_mergepath_partition_kernelINS1_37wrapped_merge_sort_block_merge_configINS0_14default_configEaN2at4cuda3cub6detail10OpaqueTypeILi8EEEEEPajNS1_19radix_merge_compareILb1ELb1EaNS0_19identity_decomposerEEEEEvT0_T1_jPSH_T2_SH_
	.globl	_ZN7rocprim17ROCPRIM_304000_NS6detail45device_block_merge_mergepath_partition_kernelINS1_37wrapped_merge_sort_block_merge_configINS0_14default_configEaN2at4cuda3cub6detail10OpaqueTypeILi8EEEEEPajNS1_19radix_merge_compareILb1ELb1EaNS0_19identity_decomposerEEEEEvT0_T1_jPSH_T2_SH_
	.p2align	8
	.type	_ZN7rocprim17ROCPRIM_304000_NS6detail45device_block_merge_mergepath_partition_kernelINS1_37wrapped_merge_sort_block_merge_configINS0_14default_configEaN2at4cuda3cub6detail10OpaqueTypeILi8EEEEEPajNS1_19radix_merge_compareILb1ELb1EaNS0_19identity_decomposerEEEEEvT0_T1_jPSH_T2_SH_,@function
_ZN7rocprim17ROCPRIM_304000_NS6detail45device_block_merge_mergepath_partition_kernelINS1_37wrapped_merge_sort_block_merge_configINS0_14default_configEaN2at4cuda3cub6detail10OpaqueTypeILi8EEEEEPajNS1_19radix_merge_compareILb1ELb1EaNS0_19identity_decomposerEEEEEvT0_T1_jPSH_T2_SH_: ; @_ZN7rocprim17ROCPRIM_304000_NS6detail45device_block_merge_mergepath_partition_kernelINS1_37wrapped_merge_sort_block_merge_configINS0_14default_configEaN2at4cuda3cub6detail10OpaqueTypeILi8EEEEEPajNS1_19radix_merge_compareILb1ELb1EaNS0_19identity_decomposerEEEEEvT0_T1_jPSH_T2_SH_
; %bb.0:
	s_load_b64 s[4:5], s[0:1], 0x8
	v_lshl_or_b32 v0, s15, 7, v0
	s_mov_b32 s2, exec_lo
	s_waitcnt lgkmcnt(0)
	s_delay_alu instid0(VALU_DEP_1)
	v_cmpx_gt_u32_e64 s5, v0
	s_cbranch_execz .LBB32_6
; %bb.1:
	s_load_b64 s[2:3], s[0:1], 0x18
	s_waitcnt lgkmcnt(0)
	s_lshr_b32 s5, s3, 9
	s_delay_alu instid0(SALU_CYCLE_1) | instskip(NEXT) | instid1(SALU_CYCLE_1)
	s_and_b32 s5, s5, 0x7ffffe
	s_sub_i32 s6, 0, s5
	s_add_i32 s5, s5, -1
	v_and_b32_e32 v1, s6, v0
	v_and_b32_e32 v4, s5, v0
	s_delay_alu instid0(VALU_DEP_2) | instskip(NEXT) | instid1(VALU_DEP_1)
	v_lshlrev_b32_e32 v1, 10, v1
	v_add_nc_u32_e32 v2, s3, v1
	s_delay_alu instid0(VALU_DEP_1) | instskip(SKIP_1) | instid1(VALU_DEP_2)
	v_min_u32_e32 v7, s4, v2
	v_min_u32_e32 v2, s4, v1
	v_add_nc_u32_e32 v3, s3, v7
	s_mov_b32 s3, exec_lo
	s_delay_alu instid0(VALU_DEP_1) | instskip(SKIP_1) | instid1(VALU_DEP_2)
	v_min_u32_e32 v1, s4, v3
	v_lshlrev_b32_e32 v3, 10, v4
	v_sub_nc_u32_e32 v4, v1, v2
	v_sub_nc_u32_e32 v5, v1, v7
	s_delay_alu instid0(VALU_DEP_2) | instskip(SKIP_1) | instid1(VALU_DEP_2)
	v_min_u32_e32 v1, v4, v3
	v_sub_nc_u32_e32 v4, v7, v2
	v_sub_nc_u32_e64 v3, v1, v5 clamp
	s_delay_alu instid0(VALU_DEP_2) | instskip(NEXT) | instid1(VALU_DEP_1)
	v_min_u32_e32 v4, v1, v4
	v_cmpx_lt_u32_e64 v3, v4
	s_cbranch_execz .LBB32_5
; %bb.2:
	s_load_b64 s[4:5], s[0:1], 0x0
	s_waitcnt lgkmcnt(0)
	v_add_co_u32 v5, s6, s4, v2
	v_add_co_u32 v7, s4, s4, v7
	v_add_co_ci_u32_e64 v6, null, s5, 0, s6
	v_add_co_ci_u32_e64 v8, null, s5, 0, s4
	s_mov_b32 s4, 0
	.p2align	6
.LBB32_3:                               ; =>This Inner Loop Header: Depth=1
	v_add_nc_u32_e32 v9, v4, v3
	s_delay_alu instid0(VALU_DEP_1) | instskip(NEXT) | instid1(VALU_DEP_1)
	v_lshrrev_b32_e32 v13, 1, v9
	v_xad_u32 v11, v13, -1, v1
	v_add_co_u32 v9, vcc_lo, v5, v13
	v_add_co_ci_u32_e32 v10, vcc_lo, 0, v6, vcc_lo
	s_delay_alu instid0(VALU_DEP_3)
	v_add_co_u32 v11, vcc_lo, v7, v11
	v_add_co_ci_u32_e32 v12, vcc_lo, 0, v8, vcc_lo
	s_clause 0x1
	global_load_u8 v9, v[9:10], off
	global_load_u8 v10, v[11:12], off
	v_add_nc_u32_e32 v11, 1, v13
	s_waitcnt vmcnt(1)
	v_and_b32_e32 v9, s2, v9
	s_waitcnt vmcnt(0)
	v_and_b32_e32 v10, s2, v10
	s_delay_alu instid0(VALU_DEP_2) | instskip(NEXT) | instid1(VALU_DEP_2)
	v_bfe_i32 v9, v9, 0, 8
	v_bfe_i32 v10, v10, 0, 8
	s_delay_alu instid0(VALU_DEP_1) | instskip(SKIP_1) | instid1(VALU_DEP_1)
	v_cmp_gt_i16_e32 vcc_lo, v10, v9
	v_dual_cndmask_b32 v3, v11, v3 :: v_dual_cndmask_b32 v4, v4, v13
	v_cmp_ge_u32_e32 vcc_lo, v3, v4
	s_or_b32 s4, vcc_lo, s4
	s_delay_alu instid0(SALU_CYCLE_1)
	s_and_not1_b32 exec_lo, exec_lo, s4
	s_cbranch_execnz .LBB32_3
; %bb.4:
	s_or_b32 exec_lo, exec_lo, s4
.LBB32_5:
	s_delay_alu instid0(SALU_CYCLE_1) | instskip(SKIP_2) | instid1(VALU_DEP_1)
	s_or_b32 exec_lo, exec_lo, s3
	s_load_b64 s[0:1], s[0:1], 0x10
	v_dual_mov_b32 v1, 0 :: v_dual_add_nc_u32 v2, v3, v2
	v_lshlrev_b64 v[0:1], 2, v[0:1]
	s_waitcnt lgkmcnt(0)
	s_delay_alu instid0(VALU_DEP_1) | instskip(NEXT) | instid1(VALU_DEP_2)
	v_add_co_u32 v0, vcc_lo, s0, v0
	v_add_co_ci_u32_e32 v1, vcc_lo, s1, v1, vcc_lo
	global_store_b32 v[0:1], v2, off
.LBB32_6:
	s_nop 0
	s_sendmsg sendmsg(MSG_DEALLOC_VGPRS)
	s_endpgm
	.section	.rodata,"a",@progbits
	.p2align	6, 0x0
	.amdhsa_kernel _ZN7rocprim17ROCPRIM_304000_NS6detail45device_block_merge_mergepath_partition_kernelINS1_37wrapped_merge_sort_block_merge_configINS0_14default_configEaN2at4cuda3cub6detail10OpaqueTypeILi8EEEEEPajNS1_19radix_merge_compareILb1ELb1EaNS0_19identity_decomposerEEEEEvT0_T1_jPSH_T2_SH_
		.amdhsa_group_segment_fixed_size 0
		.amdhsa_private_segment_fixed_size 0
		.amdhsa_kernarg_size 32
		.amdhsa_user_sgpr_count 15
		.amdhsa_user_sgpr_dispatch_ptr 0
		.amdhsa_user_sgpr_queue_ptr 0
		.amdhsa_user_sgpr_kernarg_segment_ptr 1
		.amdhsa_user_sgpr_dispatch_id 0
		.amdhsa_user_sgpr_private_segment_size 0
		.amdhsa_wavefront_size32 1
		.amdhsa_uses_dynamic_stack 0
		.amdhsa_enable_private_segment 0
		.amdhsa_system_sgpr_workgroup_id_x 1
		.amdhsa_system_sgpr_workgroup_id_y 0
		.amdhsa_system_sgpr_workgroup_id_z 0
		.amdhsa_system_sgpr_workgroup_info 0
		.amdhsa_system_vgpr_workitem_id 0
		.amdhsa_next_free_vgpr 14
		.amdhsa_next_free_sgpr 16
		.amdhsa_reserve_vcc 1
		.amdhsa_float_round_mode_32 0
		.amdhsa_float_round_mode_16_64 0
		.amdhsa_float_denorm_mode_32 3
		.amdhsa_float_denorm_mode_16_64 3
		.amdhsa_dx10_clamp 1
		.amdhsa_ieee_mode 1
		.amdhsa_fp16_overflow 0
		.amdhsa_workgroup_processor_mode 1
		.amdhsa_memory_ordered 1
		.amdhsa_forward_progress 0
		.amdhsa_shared_vgpr_count 0
		.amdhsa_exception_fp_ieee_invalid_op 0
		.amdhsa_exception_fp_denorm_src 0
		.amdhsa_exception_fp_ieee_div_zero 0
		.amdhsa_exception_fp_ieee_overflow 0
		.amdhsa_exception_fp_ieee_underflow 0
		.amdhsa_exception_fp_ieee_inexact 0
		.amdhsa_exception_int_div_zero 0
	.end_amdhsa_kernel
	.section	.text._ZN7rocprim17ROCPRIM_304000_NS6detail45device_block_merge_mergepath_partition_kernelINS1_37wrapped_merge_sort_block_merge_configINS0_14default_configEaN2at4cuda3cub6detail10OpaqueTypeILi8EEEEEPajNS1_19radix_merge_compareILb1ELb1EaNS0_19identity_decomposerEEEEEvT0_T1_jPSH_T2_SH_,"axG",@progbits,_ZN7rocprim17ROCPRIM_304000_NS6detail45device_block_merge_mergepath_partition_kernelINS1_37wrapped_merge_sort_block_merge_configINS0_14default_configEaN2at4cuda3cub6detail10OpaqueTypeILi8EEEEEPajNS1_19radix_merge_compareILb1ELb1EaNS0_19identity_decomposerEEEEEvT0_T1_jPSH_T2_SH_,comdat
.Lfunc_end32:
	.size	_ZN7rocprim17ROCPRIM_304000_NS6detail45device_block_merge_mergepath_partition_kernelINS1_37wrapped_merge_sort_block_merge_configINS0_14default_configEaN2at4cuda3cub6detail10OpaqueTypeILi8EEEEEPajNS1_19radix_merge_compareILb1ELb1EaNS0_19identity_decomposerEEEEEvT0_T1_jPSH_T2_SH_, .Lfunc_end32-_ZN7rocprim17ROCPRIM_304000_NS6detail45device_block_merge_mergepath_partition_kernelINS1_37wrapped_merge_sort_block_merge_configINS0_14default_configEaN2at4cuda3cub6detail10OpaqueTypeILi8EEEEEPajNS1_19radix_merge_compareILb1ELb1EaNS0_19identity_decomposerEEEEEvT0_T1_jPSH_T2_SH_
                                        ; -- End function
	.section	.AMDGPU.csdata,"",@progbits
; Kernel info:
; codeLenInByte = 444
; NumSgprs: 18
; NumVgprs: 14
; ScratchSize: 0
; MemoryBound: 0
; FloatMode: 240
; IeeeMode: 1
; LDSByteSize: 0 bytes/workgroup (compile time only)
; SGPRBlocks: 2
; VGPRBlocks: 1
; NumSGPRsForWavesPerEU: 18
; NumVGPRsForWavesPerEU: 14
; Occupancy: 16
; WaveLimiterHint : 0
; COMPUTE_PGM_RSRC2:SCRATCH_EN: 0
; COMPUTE_PGM_RSRC2:USER_SGPR: 15
; COMPUTE_PGM_RSRC2:TRAP_HANDLER: 0
; COMPUTE_PGM_RSRC2:TGID_X_EN: 1
; COMPUTE_PGM_RSRC2:TGID_Y_EN: 0
; COMPUTE_PGM_RSRC2:TGID_Z_EN: 0
; COMPUTE_PGM_RSRC2:TIDIG_COMP_CNT: 0
	.section	.text._ZN7rocprim17ROCPRIM_304000_NS6detail35device_block_merge_mergepath_kernelINS1_37wrapped_merge_sort_block_merge_configINS0_14default_configEaN2at4cuda3cub6detail10OpaqueTypeILi8EEEEEPaSC_PSA_SD_jNS1_19radix_merge_compareILb1ELb1EaNS0_19identity_decomposerEEEEEvT0_T1_T2_T3_T4_SL_jT5_PKSL_NS1_7vsmem_tE,"axG",@progbits,_ZN7rocprim17ROCPRIM_304000_NS6detail35device_block_merge_mergepath_kernelINS1_37wrapped_merge_sort_block_merge_configINS0_14default_configEaN2at4cuda3cub6detail10OpaqueTypeILi8EEEEEPaSC_PSA_SD_jNS1_19radix_merge_compareILb1ELb1EaNS0_19identity_decomposerEEEEEvT0_T1_T2_T3_T4_SL_jT5_PKSL_NS1_7vsmem_tE,comdat
	.protected	_ZN7rocprim17ROCPRIM_304000_NS6detail35device_block_merge_mergepath_kernelINS1_37wrapped_merge_sort_block_merge_configINS0_14default_configEaN2at4cuda3cub6detail10OpaqueTypeILi8EEEEEPaSC_PSA_SD_jNS1_19radix_merge_compareILb1ELb1EaNS0_19identity_decomposerEEEEEvT0_T1_T2_T3_T4_SL_jT5_PKSL_NS1_7vsmem_tE ; -- Begin function _ZN7rocprim17ROCPRIM_304000_NS6detail35device_block_merge_mergepath_kernelINS1_37wrapped_merge_sort_block_merge_configINS0_14default_configEaN2at4cuda3cub6detail10OpaqueTypeILi8EEEEEPaSC_PSA_SD_jNS1_19radix_merge_compareILb1ELb1EaNS0_19identity_decomposerEEEEEvT0_T1_T2_T3_T4_SL_jT5_PKSL_NS1_7vsmem_tE
	.globl	_ZN7rocprim17ROCPRIM_304000_NS6detail35device_block_merge_mergepath_kernelINS1_37wrapped_merge_sort_block_merge_configINS0_14default_configEaN2at4cuda3cub6detail10OpaqueTypeILi8EEEEEPaSC_PSA_SD_jNS1_19radix_merge_compareILb1ELb1EaNS0_19identity_decomposerEEEEEvT0_T1_T2_T3_T4_SL_jT5_PKSL_NS1_7vsmem_tE
	.p2align	8
	.type	_ZN7rocprim17ROCPRIM_304000_NS6detail35device_block_merge_mergepath_kernelINS1_37wrapped_merge_sort_block_merge_configINS0_14default_configEaN2at4cuda3cub6detail10OpaqueTypeILi8EEEEEPaSC_PSA_SD_jNS1_19radix_merge_compareILb1ELb1EaNS0_19identity_decomposerEEEEEvT0_T1_T2_T3_T4_SL_jT5_PKSL_NS1_7vsmem_tE,@function
_ZN7rocprim17ROCPRIM_304000_NS6detail35device_block_merge_mergepath_kernelINS1_37wrapped_merge_sort_block_merge_configINS0_14default_configEaN2at4cuda3cub6detail10OpaqueTypeILi8EEEEEPaSC_PSA_SD_jNS1_19radix_merge_compareILb1ELb1EaNS0_19identity_decomposerEEEEEvT0_T1_T2_T3_T4_SL_jT5_PKSL_NS1_7vsmem_tE: ; @_ZN7rocprim17ROCPRIM_304000_NS6detail35device_block_merge_mergepath_kernelINS1_37wrapped_merge_sort_block_merge_configINS0_14default_configEaN2at4cuda3cub6detail10OpaqueTypeILi8EEEEEPaSC_PSA_SD_jNS1_19radix_merge_compareILb1ELb1EaNS0_19identity_decomposerEEEEEvT0_T1_T2_T3_T4_SL_jT5_PKSL_NS1_7vsmem_tE
; %bb.0:
	s_clause 0x1
	s_load_b64 s[22:23], s[0:1], 0x40
	s_load_b128 s[16:19], s[0:1], 0x20
	s_add_u32 s20, s0, 64
	s_addc_u32 s21, s1, 0
	s_waitcnt lgkmcnt(0)
	s_mul_i32 s2, s23, s15
	s_delay_alu instid0(SALU_CYCLE_1) | instskip(NEXT) | instid1(SALU_CYCLE_1)
	s_add_i32 s2, s2, s14
	s_mul_i32 s2, s2, s22
	s_delay_alu instid0(SALU_CYCLE_1) | instskip(NEXT) | instid1(SALU_CYCLE_1)
	s_add_i32 s2, s2, s13
	s_cmp_ge_u32 s2, s18
	s_cbranch_scc1 .LBB33_53
; %bb.1:
	v_mov_b32_e32 v1, 0
	s_load_b64 s[4:5], s[0:1], 0x30
	s_lshr_b32 s26, s16, 10
	s_mov_b32 s15, 0
	s_cmp_lg_u32 s2, s26
	global_load_b32 v2, v1, s[20:21] offset:14
	s_mov_b32 s3, s15
	s_cselect_b32 s18, -1, 0
	s_lshl_b64 s[6:7], s[2:3], 2
	s_waitcnt lgkmcnt(0)
	s_add_u32 s4, s4, s6
	s_addc_u32 s5, s5, s7
	s_lshr_b32 s3, s17, 9
	s_load_b64 s[24:25], s[4:5], 0x0
	s_and_b32 s3, s3, 0x7ffffe
	s_load_b256 s[4:11], s[0:1], 0x0
	s_sub_i32 s0, 0, s3
	s_lshl_b32 s3, s2, 10
	s_and_b32 s1, s2, s0
	s_or_b32 s0, s2, s0
	s_lshl_b32 s12, s1, 11
	s_lshl_b32 s1, s1, 10
	s_add_i32 s12, s12, s17
	s_sub_i32 s14, s3, s1
	s_sub_i32 s1, s12, s1
	s_add_i32 s12, s12, s14
	s_min_u32 s14, s16, s1
	s_add_i32 s1, s1, s17
	s_waitcnt lgkmcnt(0)
	s_sub_i32 s17, s12, s24
	s_sub_i32 s23, s12, s25
	s_min_u32 s12, s16, s17
	s_addk_i32 s23, 0x400
	s_cmp_eq_u32 s0, -1
	s_cselect_b32 s0, s1, s23
	s_cselect_b32 s1, s14, s25
	s_min_u32 s0, s0, s16
	s_sub_i32 s17, s1, s24
	s_sub_i32 s23, s0, s12
	s_add_u32 s1, s4, s24
	s_mov_b32 s14, s24
	s_addc_u32 s24, s5, 0
	s_add_u32 s25, s4, s12
	s_addc_u32 s5, s5, 0
	s_cmp_lt_u32 s13, s22
	v_cmp_gt_u32_e32 vcc_lo, s17, v0
	s_cselect_b32 s0, 12, 18
	s_mov_b32 s13, s15
	s_add_u32 s20, s20, s0
	s_addc_u32 s21, s21, 0
	s_mov_b32 s0, -1
	s_cmp_eq_u32 s2, s26
	s_waitcnt vmcnt(0)
	v_lshrrev_b32_e32 v3, 16, v2
	v_and_b32_e32 v2, 0xffff, v2
	global_load_u16 v1, v1, s[20:21]
	v_mul_lo_u32 v2, v2, v3
	s_waitcnt vmcnt(0)
	s_delay_alu instid0(VALU_DEP_1) | instskip(NEXT) | instid1(VALU_DEP_1)
	v_mul_lo_u32 v1, v2, v1
	v_add_nc_u32_e32 v1, v1, v0
	s_cbranch_scc1 .LBB33_3
; %bb.2:
	v_subrev_nc_u32_e32 v2, s17, v0
	v_add_co_u32 v4, s0, s1, v0
	s_delay_alu instid0(VALU_DEP_3) | instskip(SKIP_1) | instid1(VALU_DEP_4)
	v_subrev_nc_u32_e32 v6, s17, v1
	v_add_co_ci_u32_e64 v3, null, s24, 0, s0
	v_add_co_u32 v2, s0, s25, v2
	s_delay_alu instid0(VALU_DEP_1) | instskip(SKIP_1) | instid1(VALU_DEP_1)
	v_add_co_ci_u32_e64 v5, null, s5, 0, s0
	v_add_co_u32 v8, s0, s1, v1
	v_add_co_ci_u32_e64 v7, null, s24, 0, s0
	v_add_co_u32 v6, s0, s25, v6
	s_delay_alu instid0(VALU_DEP_1) | instskip(SKIP_3) | instid1(VALU_DEP_2)
	v_add_co_ci_u32_e64 v9, null, s5, 0, s0
	v_cmp_gt_u32_e64 s0, s17, v1
	v_dual_cndmask_b32 v3, v5, v3 :: v_dual_cndmask_b32 v2, v2, v4
	s_add_i32 s4, s23, s17
	v_cndmask_b32_e64 v7, v9, v7, s0
	v_cndmask_b32_e64 v6, v6, v8, s0
	global_load_u8 v5, v[2:3], off
	global_load_u8 v7, v[6:7], off
	s_mov_b32 s0, s15
	s_delay_alu instid0(SALU_CYCLE_1)
	s_and_not1_b32 vcc_lo, exec_lo, s0
	s_cbranch_vccz .LBB33_4
	s_branch .LBB33_9
.LBB33_3:
                                        ; implicit-def: $vgpr5
                                        ; implicit-def: $vgpr7
                                        ; implicit-def: $sgpr4
	s_and_not1_b32 vcc_lo, exec_lo, s0
	s_cbranch_vccnz .LBB33_9
.LBB33_4:
	s_add_i32 s4, s23, s17
	s_mov_b32 s0, exec_lo
                                        ; implicit-def: $vgpr5
	v_cmpx_gt_u32_e64 s4, v0
	s_cbranch_execz .LBB33_6
; %bb.5:
	v_subrev_nc_u32_e32 v2, s17, v0
	v_add_co_u32 v4, s2, s1, v0
	s_delay_alu instid0(VALU_DEP_1) | instskip(NEXT) | instid1(VALU_DEP_3)
	v_add_co_ci_u32_e64 v3, null, s24, 0, s2
	v_add_co_u32 v2, s2, s25, v2
	s_waitcnt vmcnt(1)
	v_add_co_ci_u32_e64 v5, null, s5, 0, s2
	v_cmp_gt_u32_e32 vcc_lo, s17, v0
	s_delay_alu instid0(VALU_DEP_2)
	v_dual_cndmask_b32 v3, v5, v3 :: v_dual_cndmask_b32 v2, v2, v4
	global_load_u8 v5, v[2:3], off
.LBB33_6:
	s_or_b32 exec_lo, exec_lo, s0
	s_delay_alu instid0(SALU_CYCLE_1)
	s_mov_b32 s0, exec_lo
                                        ; implicit-def: $vgpr7
	v_cmpx_gt_u32_e64 s4, v1
	s_cbranch_execz .LBB33_8
; %bb.7:
	v_subrev_nc_u32_e32 v2, s17, v1
	v_add_co_u32 v3, s1, s1, v1
	s_delay_alu instid0(VALU_DEP_1) | instskip(NEXT) | instid1(VALU_DEP_3)
	v_add_co_ci_u32_e64 v4, null, s24, 0, s1
	v_add_co_u32 v6, s1, s25, v2
	s_delay_alu instid0(VALU_DEP_1) | instskip(SKIP_1) | instid1(VALU_DEP_3)
	v_add_co_ci_u32_e64 v2, null, s5, 0, s1
	v_cmp_gt_u32_e32 vcc_lo, s17, v1
	v_cndmask_b32_e32 v1, v6, v3, vcc_lo
	s_delay_alu instid0(VALU_DEP_3)
	v_cndmask_b32_e32 v2, v2, v4, vcc_lo
	global_load_u8 v7, v[1:2], off
.LBB33_8:
	s_or_b32 exec_lo, exec_lo, s0
.LBB33_9:
	v_lshlrev_b32_e32 v6, 1, v0
	s_mov_b32 s0, exec_lo
	s_waitcnt vmcnt(0)
	ds_store_b8 v0, v5
	ds_store_b8 v0, v7 offset:512
	s_waitcnt lgkmcnt(0)
	s_barrier
	v_min_u32_e32 v2, s4, v6
	buffer_gl0_inv
	v_sub_nc_u32_e64 v1, v2, s23 clamp
	v_min_u32_e32 v3, s17, v2
	s_delay_alu instid0(VALU_DEP_1)
	v_cmpx_lt_u32_e64 v1, v3
	s_cbranch_execz .LBB33_13
; %bb.10:
	v_add_nc_u32_e32 v4, s17, v2
	s_mov_b32 s1, 0
	.p2align	6
.LBB33_11:                              ; =>This Inner Loop Header: Depth=1
	v_add_nc_u32_e32 v8, v3, v1
	s_delay_alu instid0(VALU_DEP_1) | instskip(NEXT) | instid1(VALU_DEP_1)
	v_lshrrev_b32_e32 v8, 1, v8
	v_xad_u32 v9, v8, -1, v4
	v_add_nc_u32_e32 v11, 1, v8
	ds_load_u8 v10, v8
	ds_load_u8 v9, v9
	s_waitcnt lgkmcnt(1)
	v_and_b32_e32 v10, s19, v10
	s_waitcnt lgkmcnt(0)
	v_and_b32_e32 v9, s19, v9
	s_delay_alu instid0(VALU_DEP_2) | instskip(NEXT) | instid1(VALU_DEP_2)
	v_bfe_i32 v10, v10, 0, 8
	v_bfe_i32 v9, v9, 0, 8
	s_delay_alu instid0(VALU_DEP_1) | instskip(SKIP_2) | instid1(VALU_DEP_1)
	v_cmp_gt_i16_e32 vcc_lo, v9, v10
	v_cndmask_b32_e32 v3, v3, v8, vcc_lo
	v_cndmask_b32_e32 v1, v11, v1, vcc_lo
	v_cmp_ge_u32_e32 vcc_lo, v1, v3
	s_or_b32 s1, vcc_lo, s1
	s_delay_alu instid0(SALU_CYCLE_1)
	s_and_not1_b32 exec_lo, exec_lo, s1
	s_cbranch_execnz .LBB33_11
; %bb.12:
	s_or_b32 exec_lo, exec_lo, s1
.LBB33_13:
	s_delay_alu instid0(SALU_CYCLE_1) | instskip(SKIP_2) | instid1(VALU_DEP_2)
	s_or_b32 exec_lo, exec_lo, s0
	v_sub_nc_u32_e32 v2, v2, v1
	v_cmp_ge_u32_e32 vcc_lo, s17, v1
                                        ; implicit-def: $vgpr9
                                        ; implicit-def: $vgpr10
	v_add_nc_u32_e32 v2, s17, v2
	s_delay_alu instid0(VALU_DEP_1) | instskip(NEXT) | instid1(VALU_DEP_1)
	v_cmp_ge_u32_e64 s0, s4, v2
	s_or_b32 s0, vcc_lo, s0
	s_delay_alu instid0(SALU_CYCLE_1)
	s_and_saveexec_b32 s5, s0
	s_cbranch_execz .LBB33_19
; %bb.14:
	v_cmp_gt_u32_e32 vcc_lo, s17, v1
                                        ; implicit-def: $vgpr3
	s_and_saveexec_b32 s0, vcc_lo
	s_cbranch_execz .LBB33_16
; %bb.15:
	ds_load_u8 v3, v1
.LBB33_16:
	s_or_b32 exec_lo, exec_lo, s0
	v_cmp_le_u32_e64 s0, s4, v2
	s_mov_b32 s2, exec_lo
                                        ; implicit-def: $vgpr4
	v_cmpx_gt_u32_e64 s4, v2
	s_cbranch_execz .LBB33_18
; %bb.17:
	ds_load_u8 v4, v2
.LBB33_18:
	s_or_b32 exec_lo, exec_lo, s2
	s_waitcnt lgkmcnt(0)
	v_and_b32_e32 v5, s19, v4
	v_and_b32_e32 v7, s19, v3
	s_delay_alu instid0(VALU_DEP_2) | instskip(NEXT) | instid1(VALU_DEP_2)
	v_bfe_i32 v5, v5, 0, 8
	v_bfe_i32 v7, v7, 0, 8
	s_delay_alu instid0(VALU_DEP_1) | instskip(NEXT) | instid1(VALU_DEP_1)
	v_cmp_le_i16_e64 s1, v5, v7
	s_and_b32 s1, vcc_lo, s1
	s_delay_alu instid0(SALU_CYCLE_1) | instskip(SKIP_1) | instid1(VALU_DEP_1)
	s_or_b32 vcc_lo, s0, s1
	v_cndmask_b32_e32 v10, v2, v1, vcc_lo
	v_add_nc_u32_e32 v7, 1, v10
	s_delay_alu instid0(VALU_DEP_1) | instskip(NEXT) | instid1(VALU_DEP_1)
	v_dual_mov_b32 v5, s17 :: v_dual_cndmask_b32 v2, v7, v2
	v_cndmask_b32_e32 v5, s4, v5, vcc_lo
	v_cndmask_b32_e32 v1, v1, v7, vcc_lo
	s_delay_alu instid0(VALU_DEP_3) | instskip(NEXT) | instid1(VALU_DEP_3)
	v_cmp_le_u32_e64 s2, s4, v2
	v_add_nc_u32_e32 v5, -1, v5
	s_delay_alu instid0(VALU_DEP_3) | instskip(NEXT) | instid1(VALU_DEP_2)
	v_cmp_gt_u32_e64 s0, s17, v1
	v_min_u32_e32 v5, v7, v5
	ds_load_u8 v5, v5
	s_waitcnt lgkmcnt(0)
	v_dual_cndmask_b32 v8, v5, v4 :: v_dual_cndmask_b32 v11, v3, v5
	s_delay_alu instid0(VALU_DEP_1) | instskip(NEXT) | instid1(VALU_DEP_2)
	v_and_b32_e32 v5, s19, v8
	v_and_b32_e32 v9, s19, v11
	s_delay_alu instid0(VALU_DEP_2) | instskip(NEXT) | instid1(VALU_DEP_2)
	v_bfe_i32 v5, v5, 0, 8
	v_bfe_i32 v9, v9, 0, 8
	s_delay_alu instid0(VALU_DEP_1) | instskip(SKIP_1) | instid1(VALU_DEP_2)
	v_cmp_le_i16_e64 s1, v5, v9
	v_cndmask_b32_e32 v5, v4, v3, vcc_lo
	s_and_b32 s0, s0, s1
	s_delay_alu instid0(SALU_CYCLE_1)
	s_or_b32 vcc_lo, s2, s0
	v_cndmask_b32_e32 v9, v2, v1, vcc_lo
	v_cndmask_b32_e32 v7, v8, v11, vcc_lo
.LBB33_19:
	s_or_b32 exec_lo, exec_lo, s5
	s_lshl_b64 s[0:1], s[14:15], 3
	v_or_b32_e32 v8, 0x200, v0
	s_add_u32 s2, s8, s0
	s_addc_u32 s5, s9, s1
	s_lshl_b64 s[12:13], s[12:13], 3
	v_cmp_gt_u32_e64 s1, s17, v0
	v_cmp_le_u32_e64 s0, s17, v0
	s_add_u32 s8, s8, s12
	s_mov_b32 s14, 0
	s_addc_u32 s9, s9, s13
	s_and_not1_b32 vcc_lo, exec_lo, s18
	s_barrier
	buffer_gl0_inv
	s_cbranch_vccnz .LBB33_21
; %bb.20:
	v_subrev_nc_u32_e32 v1, s17, v0
	v_dual_mov_b32 v2, 0 :: v_dual_lshlrev_b32 v13, 3, v0
	s_mov_b32 s14, -1
	s_delay_alu instid0(VALU_DEP_1) | instskip(NEXT) | instid1(VALU_DEP_2)
	v_lshlrev_b64 v[3:4], 3, v[1:2]
	v_add_co_u32 v14, s12, s2, v13
	s_delay_alu instid0(VALU_DEP_1) | instskip(NEXT) | instid1(VALU_DEP_3)
	v_add_co_ci_u32_e64 v15, null, s5, 0, s12
	v_add_co_u32 v1, vcc_lo, s8, v3
	s_delay_alu instid0(VALU_DEP_4) | instskip(NEXT) | instid1(VALU_DEP_1)
	v_add_co_ci_u32_e32 v3, vcc_lo, s9, v4, vcc_lo
	v_cndmask_b32_e64 v4, v3, v15, s1
	s_delay_alu instid0(VALU_DEP_3)
	v_cndmask_b32_e64 v3, v1, v14, s1
	v_subrev_nc_u32_e32 v1, s17, v8
	global_load_b64 v[11:12], v[3:4], off
	v_lshlrev_b64 v[1:2], 3, v[1:2]
	v_add_co_u32 v3, vcc_lo, 0x1000, v14
	v_add_co_ci_u32_e32 v4, vcc_lo, 0, v15, vcc_lo
	s_delay_alu instid0(VALU_DEP_3) | instskip(NEXT) | instid1(VALU_DEP_4)
	v_add_co_u32 v1, vcc_lo, s8, v1
	v_add_co_ci_u32_e32 v2, vcc_lo, s9, v2, vcc_lo
	v_cmp_gt_u32_e32 vcc_lo, s17, v8
	s_delay_alu instid0(VALU_DEP_2)
	v_dual_cndmask_b32 v2, v2, v4 :: v_dual_cndmask_b32 v1, v1, v3
	v_or_b32_e32 v4, 0x1000, v13
	s_waitcnt vmcnt(0)
	ds_store_b64 v13, v[11:12]
	s_cbranch_execz .LBB33_22
	s_branch .LBB33_33
.LBB33_21:
                                        ; implicit-def: $vgpr4
                                        ; implicit-def: $vgpr1_vgpr2
.LBB33_22:
	s_mov_b32 s1, 0
                                        ; implicit-def: $vgpr1_vgpr2
	s_and_saveexec_b32 s12, s0
	s_delay_alu instid0(SALU_CYCLE_1)
	s_xor_b32 s0, exec_lo, s12
	s_cbranch_execnz .LBB33_54
; %bb.23:
	s_and_not1_saveexec_b32 s0, s0
	s_cbranch_execnz .LBB33_57
.LBB33_24:
	s_or_b32 exec_lo, exec_lo, s0
	s_and_saveexec_b32 s0, s1
	s_cbranch_execz .LBB33_26
.LBB33_25:
	global_load_b64 v[1:2], v[1:2], off
	v_mad_u32_u24 v3, v0, 7, v0
	s_waitcnt vmcnt(0)
	ds_store_b64 v3, v[1:2]
.LBB33_26:
	s_or_b32 exec_lo, exec_lo, s0
	s_delay_alu instid0(SALU_CYCLE_1)
	s_mov_b32 s0, exec_lo
                                        ; implicit-def: $vgpr4
                                        ; implicit-def: $vgpr1_vgpr2
	v_cmpx_le_u32_e64 s17, v8
	s_xor_b32 s0, exec_lo, s0
	s_cbranch_execz .LBB33_30
; %bb.27:
	v_subrev_nc_u32_e32 v3, s17, v8
	s_mov_b32 s12, s14
	s_mov_b32 s1, exec_lo
                                        ; implicit-def: $vgpr4
                                        ; implicit-def: $vgpr1_vgpr2
	s_delay_alu instid0(VALU_DEP_1)
	v_cmpx_gt_u32_e64 s23, v3
; %bb.28:
	v_mov_b32_e32 v4, 0
	v_mul_u32_u24_e32 v11, 7, v0
	s_or_b32 s12, s14, exec_lo
	s_delay_alu instid0(VALU_DEP_2) | instskip(NEXT) | instid1(VALU_DEP_2)
	v_lshlrev_b64 v[1:2], 3, v[3:4]
	v_add3_u32 v4, v0, v11, 0x1000
	s_delay_alu instid0(VALU_DEP_2) | instskip(NEXT) | instid1(VALU_DEP_3)
	v_add_co_u32 v1, vcc_lo, s8, v1
	v_add_co_ci_u32_e32 v2, vcc_lo, s9, v2, vcc_lo
; %bb.29:
	s_or_b32 exec_lo, exec_lo, s1
	s_delay_alu instid0(SALU_CYCLE_1) | instskip(SKIP_1) | instid1(SALU_CYCLE_1)
	s_and_not1_b32 s1, s14, exec_lo
	s_and_b32 s8, s12, exec_lo
	s_or_b32 s14, s1, s8
.LBB33_30:
	s_and_not1_saveexec_b32 s0, s0
; %bb.31:
	v_lshlrev_b32_e32 v1, 3, v8
	v_mul_u32_u24_e32 v3, 7, v0
	s_or_b32 s14, s14, exec_lo
	s_delay_alu instid0(VALU_DEP_2) | instskip(NEXT) | instid1(VALU_DEP_1)
	v_add_co_u32 v1, s1, s2, v1
	v_add_co_ci_u32_e64 v2, null, s5, 0, s1
	s_delay_alu instid0(VALU_DEP_3)
	v_add3_u32 v4, v0, v3, 0x1000
; %bb.32:
	s_or_b32 exec_lo, exec_lo, s0
.LBB33_33:
	s_and_saveexec_b32 s0, s14
	s_cbranch_execz .LBB33_35
; %bb.34:
	global_load_b64 v[1:2], v[1:2], off
	s_waitcnt vmcnt(0)
	ds_store_b64 v4, v[1:2]
.LBB33_35:
	s_or_b32 exec_lo, exec_lo, s0
	v_add_nc_u32_e32 v1, s3, v6
	s_and_not1_b32 vcc_lo, exec_lo, s18
	s_waitcnt lgkmcnt(0)
	s_barrier
	buffer_gl0_inv
	s_cbranch_vccnz .LBB33_37
; %bb.36:
	v_lshlrev_b32_e32 v2, 3, v10
	s_mov_b32 s0, -1
	ds_load_b64 v[3:4], v2
	v_mov_b32_e32 v2, 0
	s_delay_alu instid0(VALU_DEP_1) | instskip(NEXT) | instid1(VALU_DEP_1)
	v_lshlrev_b64 v[11:12], 3, v[1:2]
	v_add_co_u32 v11, vcc_lo, s10, v11
	s_delay_alu instid0(VALU_DEP_2)
	v_add_co_ci_u32_e32 v12, vcc_lo, s11, v12, vcc_lo
	s_waitcnt lgkmcnt(0)
	global_store_b64 v[11:12], v[3:4], off
	s_cbranch_execz .LBB33_38
	s_branch .LBB33_43
.LBB33_37:
	s_mov_b32 s0, 0
.LBB33_38:
	s_mov_b32 s1, exec_lo
	v_cmpx_gt_u32_e64 s4, v6
	s_cbranch_execz .LBB33_40
; %bb.39:
	v_lshlrev_b32_e32 v2, 3, v10
	ds_load_b64 v[3:4], v2
	v_mov_b32_e32 v2, 0
	s_delay_alu instid0(VALU_DEP_1) | instskip(NEXT) | instid1(VALU_DEP_1)
	v_lshlrev_b64 v[10:11], 3, v[1:2]
	v_add_co_u32 v10, vcc_lo, s10, v10
	s_delay_alu instid0(VALU_DEP_2)
	v_add_co_ci_u32_e32 v11, vcc_lo, s11, v11, vcc_lo
	s_waitcnt lgkmcnt(0)
	global_store_b64 v[10:11], v[3:4], off
.LBB33_40:
	s_or_b32 exec_lo, exec_lo, s1
	v_or_b32_e32 v2, 1, v6
	s_mov_b32 s1, exec_lo
	s_delay_alu instid0(VALU_DEP_1)
	v_cmpx_gt_u32_e64 s4, v2
; %bb.41:
	v_mov_b32_e32 v2, 0
	s_or_b32 s0, s0, exec_lo
; %bb.42:
	s_or_b32 exec_lo, exec_lo, s1
.LBB33_43:
	s_and_saveexec_b32 s1, s0
	s_cbranch_execz .LBB33_45
; %bb.44:
	v_lshlrev_b32_e32 v3, 3, v9
	v_lshlrev_b64 v[1:2], 3, v[1:2]
	ds_load_b64 v[3:4], v3
	v_add_co_u32 v1, vcc_lo, s10, v1
	v_add_co_ci_u32_e32 v2, vcc_lo, s11, v2, vcc_lo
	s_waitcnt lgkmcnt(0)
	global_store_b64 v[1:2], v[3:4], off offset:8
.LBB33_45:
	s_or_b32 exec_lo, exec_lo, s1
	v_lshrrev_b32_e32 v1, 4, v0
	v_and_b32_e32 v2, 0xff, v5
	v_lshlrev_b16 v3, 8, v7
	v_lshrrev_b32_e32 v4, 5, v8
	s_add_u32 s1, s6, s3
	v_and_b32_e32 v1, 28, v1
	s_waitcnt_vscnt null, 0x0
	v_or_b32_e32 v2, v2, v3
	v_lshrrev_b32_e32 v3, 5, v0
	v_and_b32_e32 v4, 28, v4
	v_add_nc_u32_e32 v1, v1, v6
	s_barrier
	buffer_gl0_inv
	s_barrier
	buffer_gl0_inv
	s_addc_u32 s2, s7, 0
	ds_store_b16 v1, v2
	v_add_co_u32 v1, s1, s1, v0
	v_and_b32_e32 v3, 12, v3
	v_add_co_ci_u32_e64 v2, null, s2, 0, s1
	v_add_nc_u32_e32 v5, v0, v4
	s_mov_b32 s0, 0
	s_and_b32 vcc_lo, exec_lo, s18
	s_waitcnt lgkmcnt(0)
	s_cbranch_vccz .LBB33_47
; %bb.46:
	v_add_nc_u32_e32 v4, v0, v3
	s_barrier
	buffer_gl0_inv
	s_mov_b32 s0, -1
	ds_load_u8 v6, v4
	ds_load_u8 v4, v5 offset:512
	s_waitcnt lgkmcnt(1)
	global_store_b8 v[1:2], v6, off
	s_cbranch_execz .LBB33_48
	s_branch .LBB33_51
.LBB33_47:
                                        ; implicit-def: $vgpr4
.LBB33_48:
	s_waitcnt lgkmcnt(0)
	s_waitcnt_vscnt null, 0x0
	s_barrier
	buffer_gl0_inv
	ds_load_u8 v4, v5 offset:512
	s_sub_i32 s0, s16, s3
	s_mov_b32 s1, exec_lo
	v_cmpx_gt_u32_e64 s0, v0
	s_cbranch_execz .LBB33_50
; %bb.49:
	v_add_nc_u32_e32 v0, v0, v3
	ds_load_u8 v0, v0
	s_waitcnt lgkmcnt(0)
	global_store_b8 v[1:2], v0, off
.LBB33_50:
	s_or_b32 exec_lo, exec_lo, s1
	v_cmp_gt_u32_e64 s0, s0, v8
.LBB33_51:
	s_delay_alu instid0(VALU_DEP_1)
	s_and_saveexec_b32 s1, s0
	s_cbranch_execz .LBB33_53
; %bb.52:
	s_waitcnt lgkmcnt(0)
	global_store_b8 v[1:2], v4, off offset:512
.LBB33_53:
	s_nop 0
	s_sendmsg sendmsg(MSG_DEALLOC_VGPRS)
	s_endpgm
.LBB33_54:
	v_subrev_nc_u32_e32 v3, s17, v0
	s_mov_b32 s12, exec_lo
                                        ; implicit-def: $vgpr1_vgpr2
	s_delay_alu instid0(VALU_DEP_1)
	v_cmpx_gt_u32_e64 s23, v3
	s_xor_b32 s12, exec_lo, s12
; %bb.55:
	v_mov_b32_e32 v4, 0
	s_mov_b32 s1, exec_lo
	s_delay_alu instid0(VALU_DEP_1) | instskip(NEXT) | instid1(VALU_DEP_1)
	v_lshlrev_b64 v[1:2], 3, v[3:4]
	v_add_co_u32 v1, vcc_lo, s8, v1
	s_delay_alu instid0(VALU_DEP_2)
	v_add_co_ci_u32_e32 v2, vcc_lo, s9, v2, vcc_lo
; %bb.56:
	s_or_b32 exec_lo, exec_lo, s12
	s_delay_alu instid0(SALU_CYCLE_1)
	s_and_b32 s1, s1, exec_lo
	s_and_not1_saveexec_b32 s0, s0
	s_cbranch_execz .LBB33_24
.LBB33_57:
	v_lshlrev_b32_e32 v1, 3, v0
	s_or_b32 s1, s1, exec_lo
	s_delay_alu instid0(VALU_DEP_1) | instskip(NEXT) | instid1(VALU_DEP_1)
	v_add_co_u32 v1, s12, s2, v1
	v_add_co_ci_u32_e64 v2, null, s5, 0, s12
	s_or_b32 exec_lo, exec_lo, s0
	s_and_saveexec_b32 s0, s1
	s_cbranch_execnz .LBB33_25
	s_branch .LBB33_26
	.section	.rodata,"a",@progbits
	.p2align	6, 0x0
	.amdhsa_kernel _ZN7rocprim17ROCPRIM_304000_NS6detail35device_block_merge_mergepath_kernelINS1_37wrapped_merge_sort_block_merge_configINS0_14default_configEaN2at4cuda3cub6detail10OpaqueTypeILi8EEEEEPaSC_PSA_SD_jNS1_19radix_merge_compareILb1ELb1EaNS0_19identity_decomposerEEEEEvT0_T1_T2_T3_T4_SL_jT5_PKSL_NS1_7vsmem_tE
		.amdhsa_group_segment_fixed_size 8208
		.amdhsa_private_segment_fixed_size 0
		.amdhsa_kernarg_size 320
		.amdhsa_user_sgpr_count 13
		.amdhsa_user_sgpr_dispatch_ptr 0
		.amdhsa_user_sgpr_queue_ptr 0
		.amdhsa_user_sgpr_kernarg_segment_ptr 1
		.amdhsa_user_sgpr_dispatch_id 0
		.amdhsa_user_sgpr_private_segment_size 0
		.amdhsa_wavefront_size32 1
		.amdhsa_uses_dynamic_stack 0
		.amdhsa_enable_private_segment 0
		.amdhsa_system_sgpr_workgroup_id_x 1
		.amdhsa_system_sgpr_workgroup_id_y 1
		.amdhsa_system_sgpr_workgroup_id_z 1
		.amdhsa_system_sgpr_workgroup_info 0
		.amdhsa_system_vgpr_workitem_id 0
		.amdhsa_next_free_vgpr 16
		.amdhsa_next_free_sgpr 27
		.amdhsa_reserve_vcc 1
		.amdhsa_float_round_mode_32 0
		.amdhsa_float_round_mode_16_64 0
		.amdhsa_float_denorm_mode_32 3
		.amdhsa_float_denorm_mode_16_64 3
		.amdhsa_dx10_clamp 1
		.amdhsa_ieee_mode 1
		.amdhsa_fp16_overflow 0
		.amdhsa_workgroup_processor_mode 1
		.amdhsa_memory_ordered 1
		.amdhsa_forward_progress 0
		.amdhsa_shared_vgpr_count 0
		.amdhsa_exception_fp_ieee_invalid_op 0
		.amdhsa_exception_fp_denorm_src 0
		.amdhsa_exception_fp_ieee_div_zero 0
		.amdhsa_exception_fp_ieee_overflow 0
		.amdhsa_exception_fp_ieee_underflow 0
		.amdhsa_exception_fp_ieee_inexact 0
		.amdhsa_exception_int_div_zero 0
	.end_amdhsa_kernel
	.section	.text._ZN7rocprim17ROCPRIM_304000_NS6detail35device_block_merge_mergepath_kernelINS1_37wrapped_merge_sort_block_merge_configINS0_14default_configEaN2at4cuda3cub6detail10OpaqueTypeILi8EEEEEPaSC_PSA_SD_jNS1_19radix_merge_compareILb1ELb1EaNS0_19identity_decomposerEEEEEvT0_T1_T2_T3_T4_SL_jT5_PKSL_NS1_7vsmem_tE,"axG",@progbits,_ZN7rocprim17ROCPRIM_304000_NS6detail35device_block_merge_mergepath_kernelINS1_37wrapped_merge_sort_block_merge_configINS0_14default_configEaN2at4cuda3cub6detail10OpaqueTypeILi8EEEEEPaSC_PSA_SD_jNS1_19radix_merge_compareILb1ELb1EaNS0_19identity_decomposerEEEEEvT0_T1_T2_T3_T4_SL_jT5_PKSL_NS1_7vsmem_tE,comdat
.Lfunc_end33:
	.size	_ZN7rocprim17ROCPRIM_304000_NS6detail35device_block_merge_mergepath_kernelINS1_37wrapped_merge_sort_block_merge_configINS0_14default_configEaN2at4cuda3cub6detail10OpaqueTypeILi8EEEEEPaSC_PSA_SD_jNS1_19radix_merge_compareILb1ELb1EaNS0_19identity_decomposerEEEEEvT0_T1_T2_T3_T4_SL_jT5_PKSL_NS1_7vsmem_tE, .Lfunc_end33-_ZN7rocprim17ROCPRIM_304000_NS6detail35device_block_merge_mergepath_kernelINS1_37wrapped_merge_sort_block_merge_configINS0_14default_configEaN2at4cuda3cub6detail10OpaqueTypeILi8EEEEEPaSC_PSA_SD_jNS1_19radix_merge_compareILb1ELb1EaNS0_19identity_decomposerEEEEEvT0_T1_T2_T3_T4_SL_jT5_PKSL_NS1_7vsmem_tE
                                        ; -- End function
	.section	.AMDGPU.csdata,"",@progbits
; Kernel info:
; codeLenInByte = 2436
; NumSgprs: 29
; NumVgprs: 16
; ScratchSize: 0
; MemoryBound: 1
; FloatMode: 240
; IeeeMode: 1
; LDSByteSize: 8208 bytes/workgroup (compile time only)
; SGPRBlocks: 3
; VGPRBlocks: 1
; NumSGPRsForWavesPerEU: 29
; NumVGPRsForWavesPerEU: 16
; Occupancy: 16
; WaveLimiterHint : 1
; COMPUTE_PGM_RSRC2:SCRATCH_EN: 0
; COMPUTE_PGM_RSRC2:USER_SGPR: 13
; COMPUTE_PGM_RSRC2:TRAP_HANDLER: 0
; COMPUTE_PGM_RSRC2:TGID_X_EN: 1
; COMPUTE_PGM_RSRC2:TGID_Y_EN: 1
; COMPUTE_PGM_RSRC2:TGID_Z_EN: 1
; COMPUTE_PGM_RSRC2:TIDIG_COMP_CNT: 0
	.section	.text._ZN7rocprim17ROCPRIM_304000_NS6detail33device_block_merge_oddeven_kernelINS1_37wrapped_merge_sort_block_merge_configINS0_14default_configEaN2at4cuda3cub6detail10OpaqueTypeILi8EEEEEPaSC_PSA_SD_jNS1_19radix_merge_compareILb1ELb1EaNS0_19identity_decomposerEEEEEvT0_T1_T2_T3_T4_SL_T5_,"axG",@progbits,_ZN7rocprim17ROCPRIM_304000_NS6detail33device_block_merge_oddeven_kernelINS1_37wrapped_merge_sort_block_merge_configINS0_14default_configEaN2at4cuda3cub6detail10OpaqueTypeILi8EEEEEPaSC_PSA_SD_jNS1_19radix_merge_compareILb1ELb1EaNS0_19identity_decomposerEEEEEvT0_T1_T2_T3_T4_SL_T5_,comdat
	.protected	_ZN7rocprim17ROCPRIM_304000_NS6detail33device_block_merge_oddeven_kernelINS1_37wrapped_merge_sort_block_merge_configINS0_14default_configEaN2at4cuda3cub6detail10OpaqueTypeILi8EEEEEPaSC_PSA_SD_jNS1_19radix_merge_compareILb1ELb1EaNS0_19identity_decomposerEEEEEvT0_T1_T2_T3_T4_SL_T5_ ; -- Begin function _ZN7rocprim17ROCPRIM_304000_NS6detail33device_block_merge_oddeven_kernelINS1_37wrapped_merge_sort_block_merge_configINS0_14default_configEaN2at4cuda3cub6detail10OpaqueTypeILi8EEEEEPaSC_PSA_SD_jNS1_19radix_merge_compareILb1ELb1EaNS0_19identity_decomposerEEEEEvT0_T1_T2_T3_T4_SL_T5_
	.globl	_ZN7rocprim17ROCPRIM_304000_NS6detail33device_block_merge_oddeven_kernelINS1_37wrapped_merge_sort_block_merge_configINS0_14default_configEaN2at4cuda3cub6detail10OpaqueTypeILi8EEEEEPaSC_PSA_SD_jNS1_19radix_merge_compareILb1ELb1EaNS0_19identity_decomposerEEEEEvT0_T1_T2_T3_T4_SL_T5_
	.p2align	8
	.type	_ZN7rocprim17ROCPRIM_304000_NS6detail33device_block_merge_oddeven_kernelINS1_37wrapped_merge_sort_block_merge_configINS0_14default_configEaN2at4cuda3cub6detail10OpaqueTypeILi8EEEEEPaSC_PSA_SD_jNS1_19radix_merge_compareILb1ELb1EaNS0_19identity_decomposerEEEEEvT0_T1_T2_T3_T4_SL_T5_,@function
_ZN7rocprim17ROCPRIM_304000_NS6detail33device_block_merge_oddeven_kernelINS1_37wrapped_merge_sort_block_merge_configINS0_14default_configEaN2at4cuda3cub6detail10OpaqueTypeILi8EEEEEPaSC_PSA_SD_jNS1_19radix_merge_compareILb1ELb1EaNS0_19identity_decomposerEEEEEvT0_T1_T2_T3_T4_SL_T5_: ; @_ZN7rocprim17ROCPRIM_304000_NS6detail33device_block_merge_oddeven_kernelINS1_37wrapped_merge_sort_block_merge_configINS0_14default_configEaN2at4cuda3cub6detail10OpaqueTypeILi8EEEEEPaSC_PSA_SD_jNS1_19radix_merge_compareILb1ELb1EaNS0_19identity_decomposerEEEEEvT0_T1_T2_T3_T4_SL_T5_
; %bb.0:
	s_load_b128 s[16:19], s[0:1], 0x20
	s_waitcnt lgkmcnt(0)
	s_lshr_b32 s2, s16, 8
	s_delay_alu instid0(SALU_CYCLE_1) | instskip(SKIP_4) | instid1(SALU_CYCLE_1)
	s_cmp_lg_u32 s15, s2
	s_cselect_b32 s4, -1, 0
	s_cmp_eq_u32 s15, s2
	s_cselect_b32 s3, -1, 0
	s_lshl_b32 s12, s15, 8
	s_sub_i32 s2, s16, s12
	s_delay_alu instid0(SALU_CYCLE_1) | instskip(NEXT) | instid1(VALU_DEP_1)
	v_cmp_gt_u32_e64 s2, s2, v0
	s_or_b32 s4, s4, s2
	s_delay_alu instid0(SALU_CYCLE_1)
	s_and_saveexec_b32 s5, s4
	s_cbranch_execz .LBB34_26
; %bb.1:
	s_load_b256 s[4:11], s[0:1], 0x0
	s_mov_b32 s13, 0
	v_lshlrev_b32_e32 v1, 3, v0
	v_add_nc_u32_e32 v5, s12, v0
	s_waitcnt lgkmcnt(0)
	s_add_u32 s0, s4, s12
	s_addc_u32 s1, s5, 0
	s_lshl_b64 s[20:21], s[12:13], 3
	s_delay_alu instid0(SALU_CYCLE_1) | instskip(SKIP_4) | instid1(SALU_CYCLE_1)
	s_add_u32 s8, s8, s20
	s_addc_u32 s9, s9, s21
	global_load_b64 v[1:2], v1, s[8:9]
	global_load_u8 v7, v0, s[0:1]
	s_lshr_b32 s0, s17, 8
	s_sub_i32 s1, 0, s0
	s_delay_alu instid0(SALU_CYCLE_1) | instskip(NEXT) | instid1(SALU_CYCLE_1)
	s_and_b32 s1, s15, s1
	s_and_b32 s0, s1, s0
	s_lshl_b32 s9, s1, 8
	s_sub_i32 s1, 0, s17
	s_cmp_eq_u32 s0, 0
	s_cselect_b32 s0, -1, 0
	s_delay_alu instid0(SALU_CYCLE_1) | instskip(SKIP_1) | instid1(SALU_CYCLE_1)
	s_and_b32 s8, s0, exec_lo
	s_cselect_b32 s1, s17, s1
	s_add_i32 s1, s1, s9
	s_delay_alu instid0(SALU_CYCLE_1)
	s_cmp_lt_u32 s1, s16
	s_cbranch_scc1 .LBB34_6
; %bb.2:
	s_and_b32 vcc_lo, exec_lo, s3
	s_cbranch_vccz .LBB34_7
; %bb.3:
	s_mov_b32 s8, 0
	s_mov_b32 s12, exec_lo
                                        ; implicit-def: $vgpr3_vgpr4
	v_cmpx_gt_u32_e64 s16, v5
	s_cbranch_execz .LBB34_5
; %bb.4:
	v_mov_b32_e32 v6, 0
	s_mov_b32 s13, exec_lo
	s_waitcnt vmcnt(0)
	global_store_b8 v5, v7, s[6:7]
	v_lshlrev_b64 v[3:4], 3, v[5:6]
	s_delay_alu instid0(VALU_DEP_1) | instskip(NEXT) | instid1(VALU_DEP_2)
	v_add_co_u32 v3, vcc_lo, s10, v3
	v_add_co_ci_u32_e32 v4, vcc_lo, s11, v4, vcc_lo
.LBB34_5:
	s_or_b32 exec_lo, exec_lo, s12
	s_delay_alu instid0(SALU_CYCLE_1)
	s_and_b32 vcc_lo, exec_lo, s8
	s_cbranch_vccnz .LBB34_8
	s_branch .LBB34_9
.LBB34_6:
                                        ; implicit-def: $vgpr3_vgpr4
	s_cbranch_execnz .LBB34_10
	s_branch .LBB34_24
.LBB34_7:
                                        ; implicit-def: $vgpr3_vgpr4
	s_cbranch_execz .LBB34_9
.LBB34_8:
	v_mov_b32_e32 v6, 0
	s_or_b32 s13, s13, exec_lo
	s_waitcnt vmcnt(0)
	global_store_b8 v5, v7, s[6:7]
	v_lshlrev_b64 v[3:4], 3, v[5:6]
	s_delay_alu instid0(VALU_DEP_1) | instskip(NEXT) | instid1(VALU_DEP_2)
	v_add_co_u32 v3, vcc_lo, s10, v3
	v_add_co_ci_u32_e32 v4, vcc_lo, s11, v4, vcc_lo
.LBB34_9:
	s_branch .LBB34_24
.LBB34_10:
	s_min_u32 s8, s1, s16
	s_and_b32 vcc_lo, exec_lo, s3
	s_add_i32 s12, s9, s8
	s_min_u32 s9, s9, s8
	v_subrev_nc_u32_e32 v0, s12, v5
	s_add_i32 s12, s8, s17
	s_delay_alu instid0(SALU_CYCLE_1) | instskip(NEXT) | instid1(VALU_DEP_1)
	s_min_u32 s3, s12, s16
	v_add_nc_u32_e32 v0, s9, v0
	s_cbranch_vccz .LBB34_18
; %bb.11:
                                        ; implicit-def: $vgpr3_vgpr4
	s_and_saveexec_b32 s9, s2
	s_cbranch_execz .LBB34_17
; %bb.12:
	v_mov_b32_e32 v3, s8
	s_cmp_ge_u32 s1, s3
	s_cbranch_scc1 .LBB34_16
; %bb.13:
	s_waitcnt vmcnt(0)
	v_dual_mov_b32 v4, s3 :: v_dual_and_b32 v3, s18, v7
	s_mov_b32 s2, 0
	s_delay_alu instid0(VALU_DEP_1)
	v_bfe_i32 v5, v3, 0, 8
	v_mov_b32_e32 v3, s8
	.p2align	6
.LBB34_14:                              ; =>This Inner Loop Header: Depth=1
	s_delay_alu instid0(VALU_DEP_1) | instskip(NEXT) | instid1(VALU_DEP_1)
	v_add_nc_u32_e32 v6, v3, v4
	v_lshrrev_b32_e32 v6, 1, v6
	global_load_u8 v8, v6, s[4:5]
	s_waitcnt vmcnt(0)
	v_and_b32_e32 v8, s18, v8
	s_delay_alu instid0(VALU_DEP_1) | instskip(NEXT) | instid1(VALU_DEP_1)
	v_bfe_i32 v8, v8, 0, 8
	v_cmp_gt_i16_e32 vcc_lo, v8, v5
	v_cndmask_b32_e64 v9, 0, 1, vcc_lo
	v_cmp_le_i16_e32 vcc_lo, v5, v8
	v_cndmask_b32_e64 v8, 0, 1, vcc_lo
	s_delay_alu instid0(VALU_DEP_1) | instskip(NEXT) | instid1(VALU_DEP_1)
	v_cndmask_b32_e64 v8, v8, v9, s0
	v_and_b32_e32 v8, 1, v8
	s_delay_alu instid0(VALU_DEP_1) | instskip(SKIP_1) | instid1(VALU_DEP_1)
	v_cmp_eq_u32_e32 vcc_lo, 1, v8
	v_dual_cndmask_b32 v4, v6, v4 :: v_dual_add_nc_u32 v9, 1, v6
	v_cndmask_b32_e32 v3, v3, v9, vcc_lo
	s_delay_alu instid0(VALU_DEP_1) | instskip(SKIP_1) | instid1(SALU_CYCLE_1)
	v_cmp_ge_u32_e32 vcc_lo, v3, v4
	s_or_b32 s2, vcc_lo, s2
	s_and_not1_b32 exec_lo, exec_lo, s2
	s_cbranch_execnz .LBB34_14
; %bb.15:
	s_or_b32 exec_lo, exec_lo, s2
.LBB34_16:
	s_delay_alu instid0(VALU_DEP_1) | instskip(SKIP_4) | instid1(VALU_DEP_1)
	v_dual_mov_b32 v6, 0 :: v_dual_add_nc_u32 v5, v3, v0
	s_or_b32 s13, s13, exec_lo
	s_waitcnt vmcnt(0)
	global_store_b8 v5, v7, s[6:7]
	v_lshlrev_b64 v[3:4], 3, v[5:6]
	v_add_co_u32 v3, vcc_lo, s10, v3
	s_delay_alu instid0(VALU_DEP_2)
	v_add_co_ci_u32_e32 v4, vcc_lo, s11, v4, vcc_lo
.LBB34_17:
	s_or_b32 exec_lo, exec_lo, s9
	s_branch .LBB34_24
.LBB34_18:
                                        ; implicit-def: $vgpr3_vgpr4
	s_cbranch_execz .LBB34_24
; %bb.19:
	v_mov_b32_e32 v3, s8
	s_cmp_ge_u32 s1, s3
	s_cbranch_scc1 .LBB34_23
; %bb.20:
	s_waitcnt vmcnt(0)
	v_dual_mov_b32 v4, s3 :: v_dual_and_b32 v3, s18, v7
	s_mov_b32 s1, 0
	s_delay_alu instid0(VALU_DEP_1)
	v_bfe_i32 v5, v3, 0, 8
	v_mov_b32_e32 v3, s8
	.p2align	6
.LBB34_21:                              ; =>This Inner Loop Header: Depth=1
	s_delay_alu instid0(VALU_DEP_1) | instskip(NEXT) | instid1(VALU_DEP_1)
	v_add_nc_u32_e32 v6, v3, v4
	v_lshrrev_b32_e32 v6, 1, v6
	global_load_u8 v8, v6, s[4:5]
	s_waitcnt vmcnt(0)
	v_and_b32_e32 v8, s18, v8
	s_delay_alu instid0(VALU_DEP_1) | instskip(NEXT) | instid1(VALU_DEP_1)
	v_bfe_i32 v8, v8, 0, 8
	v_cmp_gt_i16_e32 vcc_lo, v8, v5
	v_cndmask_b32_e64 v9, 0, 1, vcc_lo
	v_cmp_le_i16_e32 vcc_lo, v5, v8
	v_cndmask_b32_e64 v8, 0, 1, vcc_lo
	s_delay_alu instid0(VALU_DEP_1) | instskip(NEXT) | instid1(VALU_DEP_1)
	v_cndmask_b32_e64 v8, v8, v9, s0
	v_and_b32_e32 v8, 1, v8
	s_delay_alu instid0(VALU_DEP_1) | instskip(SKIP_1) | instid1(VALU_DEP_1)
	v_cmp_eq_u32_e32 vcc_lo, 1, v8
	v_dual_cndmask_b32 v4, v6, v4 :: v_dual_add_nc_u32 v9, 1, v6
	v_cndmask_b32_e32 v3, v3, v9, vcc_lo
	s_delay_alu instid0(VALU_DEP_1) | instskip(SKIP_1) | instid1(SALU_CYCLE_1)
	v_cmp_ge_u32_e32 vcc_lo, v3, v4
	s_or_b32 s1, vcc_lo, s1
	s_and_not1_b32 exec_lo, exec_lo, s1
	s_cbranch_execnz .LBB34_21
; %bb.22:
	s_or_b32 exec_lo, exec_lo, s1
.LBB34_23:
	s_delay_alu instid0(VALU_DEP_1) | instskip(SKIP_4) | instid1(VALU_DEP_1)
	v_dual_mov_b32 v6, 0 :: v_dual_add_nc_u32 v5, v3, v0
	s_mov_b32 s13, -1
	s_waitcnt vmcnt(0)
	global_store_b8 v5, v7, s[6:7]
	v_lshlrev_b64 v[3:4], 3, v[5:6]
	v_add_co_u32 v3, vcc_lo, s10, v3
	s_delay_alu instid0(VALU_DEP_2)
	v_add_co_ci_u32_e32 v4, vcc_lo, s11, v4, vcc_lo
.LBB34_24:
	s_and_b32 exec_lo, exec_lo, s13
	s_cbranch_execz .LBB34_26
; %bb.25:
	s_waitcnt vmcnt(1)
	global_store_b64 v[3:4], v[1:2], off
.LBB34_26:
	s_nop 0
	s_sendmsg sendmsg(MSG_DEALLOC_VGPRS)
	s_endpgm
	.section	.rodata,"a",@progbits
	.p2align	6, 0x0
	.amdhsa_kernel _ZN7rocprim17ROCPRIM_304000_NS6detail33device_block_merge_oddeven_kernelINS1_37wrapped_merge_sort_block_merge_configINS0_14default_configEaN2at4cuda3cub6detail10OpaqueTypeILi8EEEEEPaSC_PSA_SD_jNS1_19radix_merge_compareILb1ELb1EaNS0_19identity_decomposerEEEEEvT0_T1_T2_T3_T4_SL_T5_
		.amdhsa_group_segment_fixed_size 0
		.amdhsa_private_segment_fixed_size 0
		.amdhsa_kernarg_size 44
		.amdhsa_user_sgpr_count 15
		.amdhsa_user_sgpr_dispatch_ptr 0
		.amdhsa_user_sgpr_queue_ptr 0
		.amdhsa_user_sgpr_kernarg_segment_ptr 1
		.amdhsa_user_sgpr_dispatch_id 0
		.amdhsa_user_sgpr_private_segment_size 0
		.amdhsa_wavefront_size32 1
		.amdhsa_uses_dynamic_stack 0
		.amdhsa_enable_private_segment 0
		.amdhsa_system_sgpr_workgroup_id_x 1
		.amdhsa_system_sgpr_workgroup_id_y 0
		.amdhsa_system_sgpr_workgroup_id_z 0
		.amdhsa_system_sgpr_workgroup_info 0
		.amdhsa_system_vgpr_workitem_id 0
		.amdhsa_next_free_vgpr 10
		.amdhsa_next_free_sgpr 22
		.amdhsa_reserve_vcc 1
		.amdhsa_float_round_mode_32 0
		.amdhsa_float_round_mode_16_64 0
		.amdhsa_float_denorm_mode_32 3
		.amdhsa_float_denorm_mode_16_64 3
		.amdhsa_dx10_clamp 1
		.amdhsa_ieee_mode 1
		.amdhsa_fp16_overflow 0
		.amdhsa_workgroup_processor_mode 1
		.amdhsa_memory_ordered 1
		.amdhsa_forward_progress 0
		.amdhsa_shared_vgpr_count 0
		.amdhsa_exception_fp_ieee_invalid_op 0
		.amdhsa_exception_fp_denorm_src 0
		.amdhsa_exception_fp_ieee_div_zero 0
		.amdhsa_exception_fp_ieee_overflow 0
		.amdhsa_exception_fp_ieee_underflow 0
		.amdhsa_exception_fp_ieee_inexact 0
		.amdhsa_exception_int_div_zero 0
	.end_amdhsa_kernel
	.section	.text._ZN7rocprim17ROCPRIM_304000_NS6detail33device_block_merge_oddeven_kernelINS1_37wrapped_merge_sort_block_merge_configINS0_14default_configEaN2at4cuda3cub6detail10OpaqueTypeILi8EEEEEPaSC_PSA_SD_jNS1_19radix_merge_compareILb1ELb1EaNS0_19identity_decomposerEEEEEvT0_T1_T2_T3_T4_SL_T5_,"axG",@progbits,_ZN7rocprim17ROCPRIM_304000_NS6detail33device_block_merge_oddeven_kernelINS1_37wrapped_merge_sort_block_merge_configINS0_14default_configEaN2at4cuda3cub6detail10OpaqueTypeILi8EEEEEPaSC_PSA_SD_jNS1_19radix_merge_compareILb1ELb1EaNS0_19identity_decomposerEEEEEvT0_T1_T2_T3_T4_SL_T5_,comdat
.Lfunc_end34:
	.size	_ZN7rocprim17ROCPRIM_304000_NS6detail33device_block_merge_oddeven_kernelINS1_37wrapped_merge_sort_block_merge_configINS0_14default_configEaN2at4cuda3cub6detail10OpaqueTypeILi8EEEEEPaSC_PSA_SD_jNS1_19radix_merge_compareILb1ELb1EaNS0_19identity_decomposerEEEEEvT0_T1_T2_T3_T4_SL_T5_, .Lfunc_end34-_ZN7rocprim17ROCPRIM_304000_NS6detail33device_block_merge_oddeven_kernelINS1_37wrapped_merge_sort_block_merge_configINS0_14default_configEaN2at4cuda3cub6detail10OpaqueTypeILi8EEEEEPaSC_PSA_SD_jNS1_19radix_merge_compareILb1ELb1EaNS0_19identity_decomposerEEEEEvT0_T1_T2_T3_T4_SL_T5_
                                        ; -- End function
	.section	.AMDGPU.csdata,"",@progbits
; Kernel info:
; codeLenInByte = 884
; NumSgprs: 24
; NumVgprs: 10
; ScratchSize: 0
; MemoryBound: 0
; FloatMode: 240
; IeeeMode: 1
; LDSByteSize: 0 bytes/workgroup (compile time only)
; SGPRBlocks: 2
; VGPRBlocks: 1
; NumSGPRsForWavesPerEU: 24
; NumVGPRsForWavesPerEU: 10
; Occupancy: 16
; WaveLimiterHint : 0
; COMPUTE_PGM_RSRC2:SCRATCH_EN: 0
; COMPUTE_PGM_RSRC2:USER_SGPR: 15
; COMPUTE_PGM_RSRC2:TRAP_HANDLER: 0
; COMPUTE_PGM_RSRC2:TGID_X_EN: 1
; COMPUTE_PGM_RSRC2:TGID_Y_EN: 0
; COMPUTE_PGM_RSRC2:TGID_Z_EN: 0
; COMPUTE_PGM_RSRC2:TIDIG_COMP_CNT: 0
	.section	.text._ZN7rocprim17ROCPRIM_304000_NS6detail26onesweep_histograms_kernelINS1_34wrapped_radix_sort_onesweep_configINS0_14default_configEaN2at4cuda3cub6detail10OpaqueTypeILi8EEEEELb1EPKamNS0_19identity_decomposerEEEvT1_PT2_SG_SG_T3_jj,"axG",@progbits,_ZN7rocprim17ROCPRIM_304000_NS6detail26onesweep_histograms_kernelINS1_34wrapped_radix_sort_onesweep_configINS0_14default_configEaN2at4cuda3cub6detail10OpaqueTypeILi8EEEEELb1EPKamNS0_19identity_decomposerEEEvT1_PT2_SG_SG_T3_jj,comdat
	.protected	_ZN7rocprim17ROCPRIM_304000_NS6detail26onesweep_histograms_kernelINS1_34wrapped_radix_sort_onesweep_configINS0_14default_configEaN2at4cuda3cub6detail10OpaqueTypeILi8EEEEELb1EPKamNS0_19identity_decomposerEEEvT1_PT2_SG_SG_T3_jj ; -- Begin function _ZN7rocprim17ROCPRIM_304000_NS6detail26onesweep_histograms_kernelINS1_34wrapped_radix_sort_onesweep_configINS0_14default_configEaN2at4cuda3cub6detail10OpaqueTypeILi8EEEEELb1EPKamNS0_19identity_decomposerEEEvT1_PT2_SG_SG_T3_jj
	.globl	_ZN7rocprim17ROCPRIM_304000_NS6detail26onesweep_histograms_kernelINS1_34wrapped_radix_sort_onesweep_configINS0_14default_configEaN2at4cuda3cub6detail10OpaqueTypeILi8EEEEELb1EPKamNS0_19identity_decomposerEEEvT1_PT2_SG_SG_T3_jj
	.p2align	8
	.type	_ZN7rocprim17ROCPRIM_304000_NS6detail26onesweep_histograms_kernelINS1_34wrapped_radix_sort_onesweep_configINS0_14default_configEaN2at4cuda3cub6detail10OpaqueTypeILi8EEEEELb1EPKamNS0_19identity_decomposerEEEvT1_PT2_SG_SG_T3_jj,@function
_ZN7rocprim17ROCPRIM_304000_NS6detail26onesweep_histograms_kernelINS1_34wrapped_radix_sort_onesweep_configINS0_14default_configEaN2at4cuda3cub6detail10OpaqueTypeILi8EEEEELb1EPKamNS0_19identity_decomposerEEEvT1_PT2_SG_SG_T3_jj: ; @_ZN7rocprim17ROCPRIM_304000_NS6detail26onesweep_histograms_kernelINS1_34wrapped_radix_sort_onesweep_configINS0_14default_configEaN2at4cuda3cub6detail10OpaqueTypeILi8EEEEELb1EPKamNS0_19identity_decomposerEEEvT1_PT2_SG_SG_T3_jj
; %bb.0:
	s_clause 0x1
	s_load_b256 s[20:27], s[0:1], 0x0
	s_load_b64 s[28:29], s[0:1], 0x24
	s_mov_b32 s2, s15
	s_mov_b32 s3, 0
	s_mul_i32 s1, s15, 0x1600
	s_waitcnt lgkmcnt(0)
	v_cmp_ge_u64_e64 s0, s[2:3], s[26:27]
	s_mul_hi_u32 s2, s15, 0x1600
	s_add_u32 s30, s20, s1
	s_addc_u32 s31, s21, s2
	s_delay_alu instid0(VALU_DEP_1)
	s_and_b32 vcc_lo, exec_lo, s0
	s_mov_b32 s0, -1
	s_cbranch_vccz .LBB35_142
; %bb.1:
	s_mul_i32 s21, s26, 0xffffea00
	v_add_co_u32 v1, s0, s30, v0
	s_add_i32 s21, s21, s24
	v_add_co_ci_u32_e64 v2, null, s31, 0, s0
	v_cmp_gt_u32_e64 s20, s21, v0
                                        ; implicit-def: $vgpr24
	s_delay_alu instid0(VALU_DEP_1)
	s_and_saveexec_b32 s0, s20
	s_cbranch_execz .LBB35_3
; %bb.2:
	global_load_u8 v24, v[1:2], off
.LBB35_3:
	s_or_b32 exec_lo, exec_lo, s0
	v_or_b32_e32 v3, 0x100, v0
                                        ; implicit-def: $vgpr23
	s_delay_alu instid0(VALU_DEP_1) | instskip(NEXT) | instid1(VALU_DEP_1)
	v_cmp_gt_u32_e64 s19, s21, v3
	s_and_saveexec_b32 s0, s19
	s_cbranch_execz .LBB35_5
; %bb.4:
	global_load_u8 v23, v[1:2], off offset:256
.LBB35_5:
	s_or_b32 exec_lo, exec_lo, s0
	v_or_b32_e32 v3, 0x200, v0
                                        ; implicit-def: $vgpr22
	s_delay_alu instid0(VALU_DEP_1) | instskip(NEXT) | instid1(VALU_DEP_1)
	v_cmp_gt_u32_e64 s18, s21, v3
	s_and_saveexec_b32 s0, s18
	s_cbranch_execz .LBB35_7
; %bb.6:
	global_load_u8 v22, v[1:2], off offset:512
.LBB35_7:
	s_or_b32 exec_lo, exec_lo, s0
	v_or_b32_e32 v3, 0x300, v0
                                        ; implicit-def: $vgpr21
	s_delay_alu instid0(VALU_DEP_1) | instskip(NEXT) | instid1(VALU_DEP_1)
	v_cmp_gt_u32_e64 s17, s21, v3
	s_and_saveexec_b32 s0, s17
	s_cbranch_execz .LBB35_9
; %bb.8:
	global_load_u8 v21, v[1:2], off offset:768
.LBB35_9:
	s_or_b32 exec_lo, exec_lo, s0
	v_or_b32_e32 v3, 0x400, v0
                                        ; implicit-def: $vgpr20
	s_delay_alu instid0(VALU_DEP_1) | instskip(NEXT) | instid1(VALU_DEP_1)
	v_cmp_gt_u32_e64 s16, s21, v3
	s_and_saveexec_b32 s0, s16
	s_cbranch_execz .LBB35_11
; %bb.10:
	global_load_u8 v20, v[1:2], off offset:1024
.LBB35_11:
	s_or_b32 exec_lo, exec_lo, s0
	v_or_b32_e32 v3, 0x500, v0
                                        ; implicit-def: $vgpr19
	s_delay_alu instid0(VALU_DEP_1) | instskip(NEXT) | instid1(VALU_DEP_1)
	v_cmp_gt_u32_e64 s15, s21, v3
	s_and_saveexec_b32 s0, s15
	s_cbranch_execz .LBB35_13
; %bb.12:
	global_load_u8 v19, v[1:2], off offset:1280
.LBB35_13:
	s_or_b32 exec_lo, exec_lo, s0
	v_or_b32_e32 v3, 0x600, v0
                                        ; implicit-def: $vgpr18
	s_delay_alu instid0(VALU_DEP_1) | instskip(NEXT) | instid1(VALU_DEP_1)
	v_cmp_gt_u32_e64 s14, s21, v3
	s_and_saveexec_b32 s0, s14
	s_cbranch_execz .LBB35_15
; %bb.14:
	global_load_u8 v18, v[1:2], off offset:1536
.LBB35_15:
	s_or_b32 exec_lo, exec_lo, s0
	v_or_b32_e32 v3, 0x700, v0
                                        ; implicit-def: $vgpr17
	s_delay_alu instid0(VALU_DEP_1) | instskip(NEXT) | instid1(VALU_DEP_1)
	v_cmp_gt_u32_e64 s13, s21, v3
	s_and_saveexec_b32 s0, s13
	s_cbranch_execz .LBB35_17
; %bb.16:
	global_load_u8 v17, v[1:2], off offset:1792
.LBB35_17:
	s_or_b32 exec_lo, exec_lo, s0
	v_or_b32_e32 v3, 0x800, v0
                                        ; implicit-def: $vgpr16
	s_delay_alu instid0(VALU_DEP_1) | instskip(NEXT) | instid1(VALU_DEP_1)
	v_cmp_gt_u32_e64 s12, s21, v3
	s_and_saveexec_b32 s0, s12
	s_cbranch_execz .LBB35_19
; %bb.18:
	global_load_u8 v16, v[1:2], off offset:2048
.LBB35_19:
	s_or_b32 exec_lo, exec_lo, s0
	v_or_b32_e32 v3, 0x900, v0
                                        ; implicit-def: $vgpr15
	s_delay_alu instid0(VALU_DEP_1) | instskip(NEXT) | instid1(VALU_DEP_1)
	v_cmp_gt_u32_e64 s11, s21, v3
	s_and_saveexec_b32 s0, s11
	s_cbranch_execz .LBB35_21
; %bb.20:
	global_load_u8 v15, v[1:2], off offset:2304
.LBB35_21:
	s_or_b32 exec_lo, exec_lo, s0
	v_or_b32_e32 v3, 0xa00, v0
                                        ; implicit-def: $vgpr14
	s_delay_alu instid0(VALU_DEP_1) | instskip(NEXT) | instid1(VALU_DEP_1)
	v_cmp_gt_u32_e64 s10, s21, v3
	s_and_saveexec_b32 s0, s10
	s_cbranch_execz .LBB35_23
; %bb.22:
	global_load_u8 v14, v[1:2], off offset:2560
.LBB35_23:
	s_or_b32 exec_lo, exec_lo, s0
	v_or_b32_e32 v3, 0xb00, v0
                                        ; implicit-def: $vgpr13
	s_delay_alu instid0(VALU_DEP_1) | instskip(NEXT) | instid1(VALU_DEP_1)
	v_cmp_gt_u32_e64 s9, s21, v3
	s_and_saveexec_b32 s0, s9
	s_cbranch_execz .LBB35_25
; %bb.24:
	global_load_u8 v13, v[1:2], off offset:2816
.LBB35_25:
	s_or_b32 exec_lo, exec_lo, s0
	v_or_b32_e32 v3, 0xc00, v0
                                        ; implicit-def: $vgpr12
	s_delay_alu instid0(VALU_DEP_1) | instskip(NEXT) | instid1(VALU_DEP_1)
	v_cmp_gt_u32_e64 s8, s21, v3
	s_and_saveexec_b32 s0, s8
	s_cbranch_execz .LBB35_27
; %bb.26:
	global_load_u8 v12, v[1:2], off offset:3072
.LBB35_27:
	s_or_b32 exec_lo, exec_lo, s0
	v_or_b32_e32 v3, 0xd00, v0
                                        ; implicit-def: $vgpr11
	s_delay_alu instid0(VALU_DEP_1) | instskip(NEXT) | instid1(VALU_DEP_1)
	v_cmp_gt_u32_e64 s7, s21, v3
	s_and_saveexec_b32 s0, s7
	s_cbranch_execz .LBB35_29
; %bb.28:
	global_load_u8 v11, v[1:2], off offset:3328
.LBB35_29:
	s_or_b32 exec_lo, exec_lo, s0
	v_or_b32_e32 v3, 0xe00, v0
                                        ; implicit-def: $vgpr10
	s_delay_alu instid0(VALU_DEP_1) | instskip(NEXT) | instid1(VALU_DEP_1)
	v_cmp_gt_u32_e64 s6, s21, v3
	s_and_saveexec_b32 s0, s6
	s_cbranch_execz .LBB35_31
; %bb.30:
	global_load_u8 v10, v[1:2], off offset:3584
.LBB35_31:
	s_or_b32 exec_lo, exec_lo, s0
	v_or_b32_e32 v3, 0xf00, v0
                                        ; implicit-def: $vgpr9
	s_delay_alu instid0(VALU_DEP_1) | instskip(NEXT) | instid1(VALU_DEP_1)
	v_cmp_gt_u32_e64 s5, s21, v3
	s_and_saveexec_b32 s0, s5
	s_cbranch_execz .LBB35_33
; %bb.32:
	global_load_u8 v9, v[1:2], off offset:3840
.LBB35_33:
	s_or_b32 exec_lo, exec_lo, s0
	v_or_b32_e32 v3, 0x1000, v0
                                        ; implicit-def: $vgpr8
	s_delay_alu instid0(VALU_DEP_1) | instskip(NEXT) | instid1(VALU_DEP_1)
	v_cmp_gt_u32_e64 s4, s21, v3
	s_and_saveexec_b32 s0, s4
	s_cbranch_execz .LBB35_35
; %bb.34:
	v_add_co_u32 v3, vcc_lo, 0x1000, v1
	v_add_co_ci_u32_e32 v4, vcc_lo, 0, v2, vcc_lo
	global_load_u8 v8, v[3:4], off
.LBB35_35:
	s_or_b32 exec_lo, exec_lo, s0
	v_or_b32_e32 v3, 0x1100, v0
                                        ; implicit-def: $vgpr7
	s_delay_alu instid0(VALU_DEP_1) | instskip(NEXT) | instid1(VALU_DEP_1)
	v_cmp_gt_u32_e64 s3, s21, v3
	s_and_saveexec_b32 s0, s3
	s_cbranch_execz .LBB35_37
; %bb.36:
	v_add_co_u32 v3, vcc_lo, 0x1000, v1
	v_add_co_ci_u32_e32 v4, vcc_lo, 0, v2, vcc_lo
	global_load_u8 v7, v[3:4], off offset:256
.LBB35_37:
	s_or_b32 exec_lo, exec_lo, s0
	v_or_b32_e32 v3, 0x1200, v0
                                        ; implicit-def: $vgpr6
	s_delay_alu instid0(VALU_DEP_1) | instskip(NEXT) | instid1(VALU_DEP_1)
	v_cmp_gt_u32_e64 s2, s21, v3
	s_and_saveexec_b32 s0, s2
	s_cbranch_execz .LBB35_39
; %bb.38:
	v_add_co_u32 v3, vcc_lo, 0x1000, v1
	v_add_co_ci_u32_e32 v4, vcc_lo, 0, v2, vcc_lo
	global_load_u8 v6, v[3:4], off offset:512
.LBB35_39:
	s_or_b32 exec_lo, exec_lo, s0
	v_or_b32_e32 v3, 0x1300, v0
                                        ; implicit-def: $vgpr5
	s_delay_alu instid0(VALU_DEP_1) | instskip(NEXT) | instid1(VALU_DEP_1)
	v_cmp_gt_u32_e64 s1, s21, v3
	s_and_saveexec_b32 s0, s1
	s_cbranch_execz .LBB35_41
; %bb.40:
	v_add_co_u32 v3, vcc_lo, 0x1000, v1
	v_add_co_ci_u32_e32 v4, vcc_lo, 0, v2, vcc_lo
	global_load_u8 v5, v[3:4], off offset:768
.LBB35_41:
	s_or_b32 exec_lo, exec_lo, s0
	v_or_b32_e32 v3, 0x1400, v0
                                        ; implicit-def: $vgpr4
	s_delay_alu instid0(VALU_DEP_1) | instskip(NEXT) | instid1(VALU_DEP_1)
	v_cmp_gt_u32_e64 s0, s21, v3
	s_and_saveexec_b32 s24, s0
	s_cbranch_execz .LBB35_43
; %bb.42:
	v_add_co_u32 v3, vcc_lo, 0x1000, v1
	v_add_co_ci_u32_e32 v4, vcc_lo, 0, v2, vcc_lo
	global_load_u8 v4, v[3:4], off offset:1024
.LBB35_43:
	s_or_b32 exec_lo, exec_lo, s24
	v_or_b32_e32 v3, 0x1500, v0
	s_delay_alu instid0(VALU_DEP_1)
	v_cmp_gt_u32_e32 vcc_lo, s21, v3
                                        ; implicit-def: $vgpr3
	s_and_saveexec_b32 s24, vcc_lo
	s_cbranch_execz .LBB35_45
; %bb.44:
	v_add_co_u32 v1, s21, 0x1000, v1
	s_delay_alu instid0(VALU_DEP_1)
	v_add_co_ci_u32_e64 v2, s21, 0, v2, s21
	global_load_u8 v3, v[1:2], off offset:1280
.LBB35_45:
	s_or_b32 exec_lo, exec_lo, s24
	v_or_b32_e32 v1, 0xffffff00, v0
	v_dual_mov_b32 v25, 0 :: v_dual_lshlrev_b32 v2, 2, v0
	s_mov_b32 s24, 0
.LBB35_46:                              ; =>This Inner Loop Header: Depth=1
	s_delay_alu instid0(VALU_DEP_2) | instskip(SKIP_3) | instid1(VALU_DEP_1)
	v_add_nc_u32_e32 v1, 0x100, v1
	ds_store_b32 v2, v25
	v_add_nc_u32_e32 v2, 0x400, v2
	v_cmp_lt_u32_e64 s21, 0x2ff, v1
	s_or_b32 s24, s21, s24
	s_delay_alu instid0(SALU_CYCLE_1)
	s_and_not1_b32 exec_lo, exec_lo, s24
	s_cbranch_execnz .LBB35_46
; %bb.47:
	s_or_b32 exec_lo, exec_lo, s24
	s_cmp_gt_u32 s29, s28
	s_waitcnt vmcnt(0) lgkmcnt(0)
	s_cselect_b32 s21, -1, 0
	s_cmp_le_u32 s29, s28
	s_barrier
	buffer_gl0_inv
	s_cbranch_scc1 .LBB35_136
; %bb.48:
	v_and_b32_e32 v1, 3, v0
	v_xor_b32_e32 v2, 0x7f, v24
	v_mov_b32_e32 v24, 1
	s_sub_i32 s24, s29, s28
	s_mov_b32 s26, s28
	v_lshlrev_b32_e32 v1, 2, v1
	v_and_b32_e32 v2, 0xff, v2
	s_mov_b32 s25, s24
	s_delay_alu instid0(VALU_DEP_2)
	v_mov_b32_e32 v25, v1
	s_branch .LBB35_50
	.p2align	6
.LBB35_49:                              ;   in Loop: Header=BB35_50 Depth=1
	s_or_b32 exec_lo, exec_lo, s27
	v_add_nc_u32_e32 v25, 0x1000, v25
	s_add_i32 s26, s26, 8
	s_add_i32 s25, s25, -8
	s_cmp_ge_u32 s26, s29
	s_cbranch_scc1 .LBB35_52
.LBB35_50:                              ; =>This Inner Loop Header: Depth=1
	s_and_saveexec_b32 s27, s20
	s_cbranch_execz .LBB35_49
; %bb.51:                               ;   in Loop: Header=BB35_50 Depth=1
	v_lshrrev_b32_e32 v26, s26, v2
	s_min_u32 s33, s25, 8
	s_delay_alu instid0(VALU_DEP_1) | instid1(SALU_CYCLE_1)
	v_bfe_u32 v26, v26, 0, s33
	s_delay_alu instid0(VALU_DEP_1)
	v_lshl_add_u32 v26, v26, 4, v25
	ds_add_u32 v26, v24
	s_branch .LBB35_49
.LBB35_52:
	v_xor_b32_e32 v23, 0x7f, v23
	v_mov_b32_e32 v2, 1
	v_mov_b32_e32 v24, v1
	s_mov_b32 s20, s24
	s_mov_b32 s25, s28
	v_and_b32_e32 v23, 0xff, v23
	s_branch .LBB35_54
	.p2align	6
.LBB35_53:                              ;   in Loop: Header=BB35_54 Depth=1
	s_or_b32 exec_lo, exec_lo, s26
	v_add_nc_u32_e32 v24, 0x1000, v24
	s_add_i32 s25, s25, 8
	s_add_i32 s20, s20, -8
	s_cmp_lt_u32 s25, s29
	s_cbranch_scc0 .LBB35_56
.LBB35_54:                              ; =>This Inner Loop Header: Depth=1
	s_and_saveexec_b32 s26, s19
	s_cbranch_execz .LBB35_53
; %bb.55:                               ;   in Loop: Header=BB35_54 Depth=1
	s_delay_alu instid0(VALU_DEP_1)
	v_lshrrev_b32_e32 v25, s25, v23
	s_min_u32 s27, s20, 8
	s_delay_alu instid0(VALU_DEP_1) | instid1(SALU_CYCLE_1)
	v_bfe_u32 v25, v25, 0, s27
	s_delay_alu instid0(VALU_DEP_1)
	v_lshl_add_u32 v25, v25, 4, v24
	ds_add_u32 v25, v2
	s_branch .LBB35_53
.LBB35_56:
	v_xor_b32_e32 v22, 0x7f, v22
	v_dual_mov_b32 v2, 1 :: v_dual_mov_b32 v23, v1
	s_mov_b32 s19, s24
	s_mov_b32 s20, s28
	s_delay_alu instid0(VALU_DEP_2)
	v_and_b32_e32 v22, 0xff, v22
	s_branch .LBB35_58
	.p2align	6
.LBB35_57:                              ;   in Loop: Header=BB35_58 Depth=1
	s_or_b32 exec_lo, exec_lo, s25
	v_add_nc_u32_e32 v23, 0x1000, v23
	s_add_i32 s20, s20, 8
	s_add_i32 s19, s19, -8
	s_cmp_lt_u32 s20, s29
	s_cbranch_scc0 .LBB35_60
.LBB35_58:                              ; =>This Inner Loop Header: Depth=1
	s_and_saveexec_b32 s25, s18
	s_cbranch_execz .LBB35_57
; %bb.59:                               ;   in Loop: Header=BB35_58 Depth=1
	s_delay_alu instid0(VALU_DEP_1)
	v_lshrrev_b32_e32 v24, s20, v22
	s_min_u32 s26, s19, 8
	s_delay_alu instid0(VALU_DEP_1) | instid1(SALU_CYCLE_1)
	v_bfe_u32 v24, v24, 0, s26
	s_delay_alu instid0(VALU_DEP_1)
	v_lshl_add_u32 v24, v24, 4, v23
	ds_add_u32 v24, v2
	s_branch .LBB35_57
.LBB35_60:
	v_xor_b32_e32 v21, 0x7f, v21
	v_mov_b32_e32 v2, 1
	v_mov_b32_e32 v22, v1
	s_mov_b32 s18, s24
	s_mov_b32 s19, s28
	v_and_b32_e32 v21, 0xff, v21
	s_branch .LBB35_62
	.p2align	6
.LBB35_61:                              ;   in Loop: Header=BB35_62 Depth=1
	s_or_b32 exec_lo, exec_lo, s20
	v_add_nc_u32_e32 v22, 0x1000, v22
	s_add_i32 s19, s19, 8
	s_add_i32 s18, s18, -8
	s_cmp_lt_u32 s19, s29
	s_cbranch_scc0 .LBB35_64
.LBB35_62:                              ; =>This Inner Loop Header: Depth=1
	s_and_saveexec_b32 s20, s17
	s_cbranch_execz .LBB35_61
; %bb.63:                               ;   in Loop: Header=BB35_62 Depth=1
	s_delay_alu instid0(VALU_DEP_1)
	v_lshrrev_b32_e32 v23, s19, v21
	s_min_u32 s25, s18, 8
	s_delay_alu instid0(VALU_DEP_1) | instid1(SALU_CYCLE_1)
	v_bfe_u32 v23, v23, 0, s25
	s_delay_alu instid0(VALU_DEP_1)
	v_lshl_add_u32 v23, v23, 4, v22
	ds_add_u32 v23, v2
	s_branch .LBB35_61
.LBB35_64:
	v_xor_b32_e32 v20, 0x7f, v20
	v_dual_mov_b32 v2, 1 :: v_dual_mov_b32 v21, v1
	s_mov_b32 s17, s24
	s_mov_b32 s18, s28
	s_delay_alu instid0(VALU_DEP_2)
	v_and_b32_e32 v20, 0xff, v20
	s_branch .LBB35_66
	.p2align	6
.LBB35_65:                              ;   in Loop: Header=BB35_66 Depth=1
	s_or_b32 exec_lo, exec_lo, s19
	v_add_nc_u32_e32 v21, 0x1000, v21
	s_add_i32 s18, s18, 8
	s_add_i32 s17, s17, -8
	s_cmp_lt_u32 s18, s29
	s_cbranch_scc0 .LBB35_68
.LBB35_66:                              ; =>This Inner Loop Header: Depth=1
	s_and_saveexec_b32 s19, s16
	s_cbranch_execz .LBB35_65
; %bb.67:                               ;   in Loop: Header=BB35_66 Depth=1
	s_delay_alu instid0(VALU_DEP_1)
	v_lshrrev_b32_e32 v22, s18, v20
	s_min_u32 s20, s17, 8
	s_delay_alu instid0(VALU_DEP_1) | instid1(SALU_CYCLE_1)
	v_bfe_u32 v22, v22, 0, s20
	s_delay_alu instid0(VALU_DEP_1)
	v_lshl_add_u32 v22, v22, 4, v21
	ds_add_u32 v22, v2
	s_branch .LBB35_65
.LBB35_68:
	v_xor_b32_e32 v19, 0x7f, v19
	v_mov_b32_e32 v2, 1
	v_mov_b32_e32 v20, v1
	s_mov_b32 s16, s24
	s_mov_b32 s17, s28
	v_and_b32_e32 v19, 0xff, v19
	s_branch .LBB35_70
	.p2align	6
.LBB35_69:                              ;   in Loop: Header=BB35_70 Depth=1
	s_or_b32 exec_lo, exec_lo, s18
	v_add_nc_u32_e32 v20, 0x1000, v20
	s_add_i32 s17, s17, 8
	s_add_i32 s16, s16, -8
	s_cmp_lt_u32 s17, s29
	s_cbranch_scc0 .LBB35_72
.LBB35_70:                              ; =>This Inner Loop Header: Depth=1
	s_and_saveexec_b32 s18, s15
	s_cbranch_execz .LBB35_69
; %bb.71:                               ;   in Loop: Header=BB35_70 Depth=1
	s_delay_alu instid0(VALU_DEP_1)
	v_lshrrev_b32_e32 v21, s17, v19
	s_min_u32 s19, s16, 8
	s_delay_alu instid0(VALU_DEP_1) | instid1(SALU_CYCLE_1)
	v_bfe_u32 v21, v21, 0, s19
	s_delay_alu instid0(VALU_DEP_1)
	v_lshl_add_u32 v21, v21, 4, v20
	ds_add_u32 v21, v2
	s_branch .LBB35_69
.LBB35_72:
	v_xor_b32_e32 v18, 0x7f, v18
	v_dual_mov_b32 v2, 1 :: v_dual_mov_b32 v19, v1
	s_mov_b32 s15, s24
	s_mov_b32 s16, s28
	s_delay_alu instid0(VALU_DEP_2)
	v_and_b32_e32 v18, 0xff, v18
	s_branch .LBB35_74
	.p2align	6
.LBB35_73:                              ;   in Loop: Header=BB35_74 Depth=1
	s_or_b32 exec_lo, exec_lo, s17
	v_add_nc_u32_e32 v19, 0x1000, v19
	s_add_i32 s16, s16, 8
	s_add_i32 s15, s15, -8
	s_cmp_lt_u32 s16, s29
	s_cbranch_scc0 .LBB35_76
.LBB35_74:                              ; =>This Inner Loop Header: Depth=1
	s_and_saveexec_b32 s17, s14
	s_cbranch_execz .LBB35_73
; %bb.75:                               ;   in Loop: Header=BB35_74 Depth=1
	s_delay_alu instid0(VALU_DEP_1)
	v_lshrrev_b32_e32 v20, s16, v18
	s_min_u32 s18, s15, 8
	s_delay_alu instid0(VALU_DEP_1) | instid1(SALU_CYCLE_1)
	v_bfe_u32 v20, v20, 0, s18
	s_delay_alu instid0(VALU_DEP_1)
	v_lshl_add_u32 v20, v20, 4, v19
	ds_add_u32 v20, v2
	s_branch .LBB35_73
.LBB35_76:
	v_xor_b32_e32 v17, 0x7f, v17
	v_mov_b32_e32 v2, 1
	v_mov_b32_e32 v18, v1
	s_mov_b32 s14, s24
	s_mov_b32 s15, s28
	v_and_b32_e32 v17, 0xff, v17
	s_branch .LBB35_78
	.p2align	6
.LBB35_77:                              ;   in Loop: Header=BB35_78 Depth=1
	s_or_b32 exec_lo, exec_lo, s16
	v_add_nc_u32_e32 v18, 0x1000, v18
	s_add_i32 s15, s15, 8
	s_add_i32 s14, s14, -8
	s_cmp_lt_u32 s15, s29
	s_cbranch_scc0 .LBB35_80
.LBB35_78:                              ; =>This Inner Loop Header: Depth=1
	s_and_saveexec_b32 s16, s13
	s_cbranch_execz .LBB35_77
; %bb.79:                               ;   in Loop: Header=BB35_78 Depth=1
	s_delay_alu instid0(VALU_DEP_1)
	v_lshrrev_b32_e32 v19, s15, v17
	s_min_u32 s17, s14, 8
	s_delay_alu instid0(VALU_DEP_1) | instid1(SALU_CYCLE_1)
	v_bfe_u32 v19, v19, 0, s17
	s_delay_alu instid0(VALU_DEP_1)
	v_lshl_add_u32 v19, v19, 4, v18
	ds_add_u32 v19, v2
	s_branch .LBB35_77
.LBB35_80:
	v_xor_b32_e32 v16, 0x7f, v16
	v_dual_mov_b32 v2, 1 :: v_dual_mov_b32 v17, v1
	s_mov_b32 s13, s24
	s_mov_b32 s14, s28
	s_delay_alu instid0(VALU_DEP_2)
	v_and_b32_e32 v16, 0xff, v16
	s_branch .LBB35_82
	.p2align	6
.LBB35_81:                              ;   in Loop: Header=BB35_82 Depth=1
	s_or_b32 exec_lo, exec_lo, s15
	v_add_nc_u32_e32 v17, 0x1000, v17
	s_add_i32 s14, s14, 8
	s_add_i32 s13, s13, -8
	s_cmp_lt_u32 s14, s29
	s_cbranch_scc0 .LBB35_84
.LBB35_82:                              ; =>This Inner Loop Header: Depth=1
	s_and_saveexec_b32 s15, s12
	s_cbranch_execz .LBB35_81
; %bb.83:                               ;   in Loop: Header=BB35_82 Depth=1
	s_delay_alu instid0(VALU_DEP_1)
	v_lshrrev_b32_e32 v18, s14, v16
	s_min_u32 s16, s13, 8
	s_delay_alu instid0(VALU_DEP_1) | instid1(SALU_CYCLE_1)
	v_bfe_u32 v18, v18, 0, s16
	s_delay_alu instid0(VALU_DEP_1)
	v_lshl_add_u32 v18, v18, 4, v17
	ds_add_u32 v18, v2
	s_branch .LBB35_81
.LBB35_84:
	v_xor_b32_e32 v15, 0x7f, v15
	v_mov_b32_e32 v2, 1
	v_mov_b32_e32 v16, v1
	s_mov_b32 s12, s24
	s_mov_b32 s13, s28
	v_and_b32_e32 v15, 0xff, v15
	s_branch .LBB35_86
	.p2align	6
.LBB35_85:                              ;   in Loop: Header=BB35_86 Depth=1
	s_or_b32 exec_lo, exec_lo, s14
	v_add_nc_u32_e32 v16, 0x1000, v16
	s_add_i32 s13, s13, 8
	s_add_i32 s12, s12, -8
	s_cmp_lt_u32 s13, s29
	s_cbranch_scc0 .LBB35_88
.LBB35_86:                              ; =>This Inner Loop Header: Depth=1
	s_and_saveexec_b32 s14, s11
	s_cbranch_execz .LBB35_85
; %bb.87:                               ;   in Loop: Header=BB35_86 Depth=1
	s_delay_alu instid0(VALU_DEP_1)
	v_lshrrev_b32_e32 v17, s13, v15
	s_min_u32 s15, s12, 8
	s_delay_alu instid0(VALU_DEP_1) | instid1(SALU_CYCLE_1)
	v_bfe_u32 v17, v17, 0, s15
	s_delay_alu instid0(VALU_DEP_1)
	v_lshl_add_u32 v17, v17, 4, v16
	ds_add_u32 v17, v2
	s_branch .LBB35_85
.LBB35_88:
	v_xor_b32_e32 v14, 0x7f, v14
	v_dual_mov_b32 v2, 1 :: v_dual_mov_b32 v15, v1
	s_mov_b32 s11, s24
	s_mov_b32 s12, s28
	s_delay_alu instid0(VALU_DEP_2)
	v_and_b32_e32 v14, 0xff, v14
	s_branch .LBB35_90
	.p2align	6
.LBB35_89:                              ;   in Loop: Header=BB35_90 Depth=1
	s_or_b32 exec_lo, exec_lo, s13
	v_add_nc_u32_e32 v15, 0x1000, v15
	s_add_i32 s12, s12, 8
	s_add_i32 s11, s11, -8
	s_cmp_lt_u32 s12, s29
	s_cbranch_scc0 .LBB35_92
.LBB35_90:                              ; =>This Inner Loop Header: Depth=1
	s_and_saveexec_b32 s13, s10
	s_cbranch_execz .LBB35_89
; %bb.91:                               ;   in Loop: Header=BB35_90 Depth=1
	s_delay_alu instid0(VALU_DEP_1)
	v_lshrrev_b32_e32 v16, s12, v14
	s_min_u32 s14, s11, 8
	s_delay_alu instid0(VALU_DEP_1) | instid1(SALU_CYCLE_1)
	v_bfe_u32 v16, v16, 0, s14
	s_delay_alu instid0(VALU_DEP_1)
	v_lshl_add_u32 v16, v16, 4, v15
	ds_add_u32 v16, v2
	s_branch .LBB35_89
.LBB35_92:
	v_xor_b32_e32 v13, 0x7f, v13
	v_mov_b32_e32 v2, 1
	v_mov_b32_e32 v14, v1
	s_mov_b32 s10, s24
	s_mov_b32 s11, s28
	v_and_b32_e32 v13, 0xff, v13
	s_branch .LBB35_94
	.p2align	6
.LBB35_93:                              ;   in Loop: Header=BB35_94 Depth=1
	s_or_b32 exec_lo, exec_lo, s12
	v_add_nc_u32_e32 v14, 0x1000, v14
	s_add_i32 s11, s11, 8
	s_add_i32 s10, s10, -8
	s_cmp_lt_u32 s11, s29
	s_cbranch_scc0 .LBB35_96
.LBB35_94:                              ; =>This Inner Loop Header: Depth=1
	s_and_saveexec_b32 s12, s9
	s_cbranch_execz .LBB35_93
; %bb.95:                               ;   in Loop: Header=BB35_94 Depth=1
	s_delay_alu instid0(VALU_DEP_1)
	v_lshrrev_b32_e32 v15, s11, v13
	s_min_u32 s13, s10, 8
	s_delay_alu instid0(VALU_DEP_1) | instid1(SALU_CYCLE_1)
	v_bfe_u32 v15, v15, 0, s13
	s_delay_alu instid0(VALU_DEP_1)
	v_lshl_add_u32 v15, v15, 4, v14
	ds_add_u32 v15, v2
	s_branch .LBB35_93
.LBB35_96:
	v_xor_b32_e32 v12, 0x7f, v12
	v_dual_mov_b32 v2, 1 :: v_dual_mov_b32 v13, v1
	s_mov_b32 s9, s24
	s_mov_b32 s10, s28
	s_delay_alu instid0(VALU_DEP_2)
	v_and_b32_e32 v12, 0xff, v12
	s_branch .LBB35_98
	.p2align	6
.LBB35_97:                              ;   in Loop: Header=BB35_98 Depth=1
	s_or_b32 exec_lo, exec_lo, s11
	v_add_nc_u32_e32 v13, 0x1000, v13
	s_add_i32 s10, s10, 8
	s_add_i32 s9, s9, -8
	s_cmp_lt_u32 s10, s29
	s_cbranch_scc0 .LBB35_100
.LBB35_98:                              ; =>This Inner Loop Header: Depth=1
	s_and_saveexec_b32 s11, s8
	s_cbranch_execz .LBB35_97
; %bb.99:                               ;   in Loop: Header=BB35_98 Depth=1
	s_delay_alu instid0(VALU_DEP_1)
	v_lshrrev_b32_e32 v14, s10, v12
	s_min_u32 s12, s9, 8
	s_delay_alu instid0(VALU_DEP_1) | instid1(SALU_CYCLE_1)
	v_bfe_u32 v14, v14, 0, s12
	s_delay_alu instid0(VALU_DEP_1)
	v_lshl_add_u32 v14, v14, 4, v13
	ds_add_u32 v14, v2
	s_branch .LBB35_97
.LBB35_100:
	v_xor_b32_e32 v11, 0x7f, v11
	v_mov_b32_e32 v2, 1
	v_mov_b32_e32 v12, v1
	s_mov_b32 s8, s24
	s_mov_b32 s9, s28
	v_and_b32_e32 v11, 0xff, v11
	s_branch .LBB35_102
	.p2align	6
.LBB35_101:                             ;   in Loop: Header=BB35_102 Depth=1
	s_or_b32 exec_lo, exec_lo, s10
	v_add_nc_u32_e32 v12, 0x1000, v12
	s_add_i32 s9, s9, 8
	s_add_i32 s8, s8, -8
	s_cmp_lt_u32 s9, s29
	s_cbranch_scc0 .LBB35_104
.LBB35_102:                             ; =>This Inner Loop Header: Depth=1
	s_and_saveexec_b32 s10, s7
	s_cbranch_execz .LBB35_101
; %bb.103:                              ;   in Loop: Header=BB35_102 Depth=1
	s_delay_alu instid0(VALU_DEP_1)
	v_lshrrev_b32_e32 v13, s9, v11
	s_min_u32 s11, s8, 8
	s_delay_alu instid0(VALU_DEP_1) | instid1(SALU_CYCLE_1)
	v_bfe_u32 v13, v13, 0, s11
	s_delay_alu instid0(VALU_DEP_1)
	v_lshl_add_u32 v13, v13, 4, v12
	ds_add_u32 v13, v2
	s_branch .LBB35_101
.LBB35_104:
	v_xor_b32_e32 v10, 0x7f, v10
	v_dual_mov_b32 v2, 1 :: v_dual_mov_b32 v11, v1
	s_mov_b32 s7, s24
	s_mov_b32 s8, s28
	s_delay_alu instid0(VALU_DEP_2)
	v_and_b32_e32 v10, 0xff, v10
	s_branch .LBB35_106
	.p2align	6
.LBB35_105:                             ;   in Loop: Header=BB35_106 Depth=1
	s_or_b32 exec_lo, exec_lo, s9
	v_add_nc_u32_e32 v11, 0x1000, v11
	s_add_i32 s8, s8, 8
	s_add_i32 s7, s7, -8
	s_cmp_lt_u32 s8, s29
	s_cbranch_scc0 .LBB35_108
.LBB35_106:                             ; =>This Inner Loop Header: Depth=1
	s_and_saveexec_b32 s9, s6
	s_cbranch_execz .LBB35_105
; %bb.107:                              ;   in Loop: Header=BB35_106 Depth=1
	s_delay_alu instid0(VALU_DEP_1)
	v_lshrrev_b32_e32 v12, s8, v10
	s_min_u32 s10, s7, 8
	s_delay_alu instid0(VALU_DEP_1) | instid1(SALU_CYCLE_1)
	v_bfe_u32 v12, v12, 0, s10
	s_delay_alu instid0(VALU_DEP_1)
	v_lshl_add_u32 v12, v12, 4, v11
	ds_add_u32 v12, v2
	s_branch .LBB35_105
.LBB35_108:
	v_xor_b32_e32 v9, 0x7f, v9
	v_mov_b32_e32 v2, 1
	v_mov_b32_e32 v10, v1
	s_mov_b32 s6, s24
	s_mov_b32 s7, s28
	v_and_b32_e32 v9, 0xff, v9
	s_branch .LBB35_110
	.p2align	6
.LBB35_109:                             ;   in Loop: Header=BB35_110 Depth=1
	s_or_b32 exec_lo, exec_lo, s8
	v_add_nc_u32_e32 v10, 0x1000, v10
	s_add_i32 s7, s7, 8
	s_add_i32 s6, s6, -8
	s_cmp_lt_u32 s7, s29
	s_cbranch_scc0 .LBB35_112
.LBB35_110:                             ; =>This Inner Loop Header: Depth=1
	s_and_saveexec_b32 s8, s5
	s_cbranch_execz .LBB35_109
; %bb.111:                              ;   in Loop: Header=BB35_110 Depth=1
	s_delay_alu instid0(VALU_DEP_1)
	v_lshrrev_b32_e32 v11, s7, v9
	s_min_u32 s9, s6, 8
	s_delay_alu instid0(VALU_DEP_1) | instid1(SALU_CYCLE_1)
	v_bfe_u32 v11, v11, 0, s9
	s_delay_alu instid0(VALU_DEP_1)
	v_lshl_add_u32 v11, v11, 4, v10
	ds_add_u32 v11, v2
	s_branch .LBB35_109
.LBB35_112:
	v_xor_b32_e32 v8, 0x7f, v8
	v_dual_mov_b32 v2, 1 :: v_dual_mov_b32 v9, v1
	s_mov_b32 s5, s24
	s_mov_b32 s6, s28
	s_delay_alu instid0(VALU_DEP_2)
	v_and_b32_e32 v8, 0xff, v8
	s_branch .LBB35_114
	.p2align	6
.LBB35_113:                             ;   in Loop: Header=BB35_114 Depth=1
	s_or_b32 exec_lo, exec_lo, s7
	v_add_nc_u32_e32 v9, 0x1000, v9
	s_add_i32 s6, s6, 8
	s_add_i32 s5, s5, -8
	s_cmp_lt_u32 s6, s29
	s_cbranch_scc0 .LBB35_116
.LBB35_114:                             ; =>This Inner Loop Header: Depth=1
	s_and_saveexec_b32 s7, s4
	s_cbranch_execz .LBB35_113
; %bb.115:                              ;   in Loop: Header=BB35_114 Depth=1
	s_delay_alu instid0(VALU_DEP_1)
	v_lshrrev_b32_e32 v10, s6, v8
	s_min_u32 s8, s5, 8
	s_delay_alu instid0(VALU_DEP_1) | instid1(SALU_CYCLE_1)
	v_bfe_u32 v10, v10, 0, s8
	s_delay_alu instid0(VALU_DEP_1)
	v_lshl_add_u32 v10, v10, 4, v9
	ds_add_u32 v10, v2
	s_branch .LBB35_113
.LBB35_116:
	v_xor_b32_e32 v7, 0x7f, v7
	v_mov_b32_e32 v2, 1
	v_mov_b32_e32 v8, v1
	s_mov_b32 s4, s24
	s_mov_b32 s5, s28
	v_and_b32_e32 v7, 0xff, v7
	s_branch .LBB35_118
	.p2align	6
.LBB35_117:                             ;   in Loop: Header=BB35_118 Depth=1
	s_or_b32 exec_lo, exec_lo, s6
	v_add_nc_u32_e32 v8, 0x1000, v8
	s_add_i32 s5, s5, 8
	s_add_i32 s4, s4, -8
	s_cmp_lt_u32 s5, s29
	s_cbranch_scc0 .LBB35_120
.LBB35_118:                             ; =>This Inner Loop Header: Depth=1
	s_and_saveexec_b32 s6, s3
	s_cbranch_execz .LBB35_117
; %bb.119:                              ;   in Loop: Header=BB35_118 Depth=1
	s_delay_alu instid0(VALU_DEP_1)
	v_lshrrev_b32_e32 v9, s5, v7
	s_min_u32 s7, s4, 8
	s_delay_alu instid0(VALU_DEP_1) | instid1(SALU_CYCLE_1)
	v_bfe_u32 v9, v9, 0, s7
	s_delay_alu instid0(VALU_DEP_1)
	v_lshl_add_u32 v9, v9, 4, v8
	ds_add_u32 v9, v2
	s_branch .LBB35_117
.LBB35_120:
	v_xor_b32_e32 v6, 0x7f, v6
	v_dual_mov_b32 v2, 1 :: v_dual_mov_b32 v7, v1
	s_mov_b32 s3, s24
	s_mov_b32 s4, s28
	s_delay_alu instid0(VALU_DEP_2)
	v_and_b32_e32 v6, 0xff, v6
	s_branch .LBB35_122
	.p2align	6
.LBB35_121:                             ;   in Loop: Header=BB35_122 Depth=1
	s_or_b32 exec_lo, exec_lo, s5
	v_add_nc_u32_e32 v7, 0x1000, v7
	s_add_i32 s4, s4, 8
	s_add_i32 s3, s3, -8
	s_cmp_lt_u32 s4, s29
	s_cbranch_scc0 .LBB35_124
.LBB35_122:                             ; =>This Inner Loop Header: Depth=1
	s_and_saveexec_b32 s5, s2
	s_cbranch_execz .LBB35_121
; %bb.123:                              ;   in Loop: Header=BB35_122 Depth=1
	s_delay_alu instid0(VALU_DEP_1)
	v_lshrrev_b32_e32 v8, s4, v6
	s_min_u32 s6, s3, 8
	s_delay_alu instid0(VALU_DEP_1) | instid1(SALU_CYCLE_1)
	v_bfe_u32 v8, v8, 0, s6
	s_delay_alu instid0(VALU_DEP_1)
	v_lshl_add_u32 v8, v8, 4, v7
	ds_add_u32 v8, v2
	s_branch .LBB35_121
.LBB35_124:
	v_xor_b32_e32 v5, 0x7f, v5
	v_mov_b32_e32 v2, 1
	v_mov_b32_e32 v6, v1
	s_mov_b32 s2, s24
	s_mov_b32 s3, s28
	v_and_b32_e32 v5, 0xff, v5
	s_branch .LBB35_126
	.p2align	6
.LBB35_125:                             ;   in Loop: Header=BB35_126 Depth=1
	s_or_b32 exec_lo, exec_lo, s4
	v_add_nc_u32_e32 v6, 0x1000, v6
	s_add_i32 s3, s3, 8
	s_add_i32 s2, s2, -8
	s_cmp_lt_u32 s3, s29
	s_cbranch_scc0 .LBB35_128
.LBB35_126:                             ; =>This Inner Loop Header: Depth=1
	s_and_saveexec_b32 s4, s1
	s_cbranch_execz .LBB35_125
; %bb.127:                              ;   in Loop: Header=BB35_126 Depth=1
	s_delay_alu instid0(VALU_DEP_1)
	v_lshrrev_b32_e32 v7, s3, v5
	s_min_u32 s5, s2, 8
	s_delay_alu instid0(VALU_DEP_1) | instid1(SALU_CYCLE_1)
	v_bfe_u32 v7, v7, 0, s5
	s_delay_alu instid0(VALU_DEP_1)
	v_lshl_add_u32 v7, v7, 4, v6
	ds_add_u32 v7, v2
	s_branch .LBB35_125
.LBB35_128:
	v_xor_b32_e32 v4, 0x7f, v4
	v_dual_mov_b32 v2, 1 :: v_dual_mov_b32 v5, v1
	s_mov_b32 s1, s24
	s_mov_b32 s2, s28
	s_delay_alu instid0(VALU_DEP_2)
	v_and_b32_e32 v4, 0xff, v4
	s_branch .LBB35_130
	.p2align	6
.LBB35_129:                             ;   in Loop: Header=BB35_130 Depth=1
	s_or_b32 exec_lo, exec_lo, s3
	v_add_nc_u32_e32 v5, 0x1000, v5
	s_add_i32 s2, s2, 8
	s_add_i32 s1, s1, -8
	s_cmp_lt_u32 s2, s29
	s_cbranch_scc0 .LBB35_132
.LBB35_130:                             ; =>This Inner Loop Header: Depth=1
	s_and_saveexec_b32 s3, s0
	s_cbranch_execz .LBB35_129
; %bb.131:                              ;   in Loop: Header=BB35_130 Depth=1
	s_delay_alu instid0(VALU_DEP_1)
	v_lshrrev_b32_e32 v6, s2, v4
	s_min_u32 s4, s1, 8
	s_delay_alu instid0(VALU_DEP_1) | instid1(SALU_CYCLE_1)
	v_bfe_u32 v6, v6, 0, s4
	s_delay_alu instid0(VALU_DEP_1)
	v_lshl_add_u32 v6, v6, 4, v5
	ds_add_u32 v6, v2
	s_branch .LBB35_129
.LBB35_132:
	v_xor_b32_e32 v2, 0x7f, v3
	s_mov_b32 s0, s28
	s_delay_alu instid0(VALU_DEP_1)
	v_dual_mov_b32 v3, 1 :: v_dual_and_b32 v2, 0xff, v2
	s_branch .LBB35_134
	.p2align	6
.LBB35_133:                             ;   in Loop: Header=BB35_134 Depth=1
	s_or_b32 exec_lo, exec_lo, s1
	v_add_nc_u32_e32 v1, 0x1000, v1
	s_add_i32 s0, s0, 8
	s_add_i32 s24, s24, -8
	s_cmp_lt_u32 s0, s29
	s_cbranch_scc0 .LBB35_136
.LBB35_134:                             ; =>This Inner Loop Header: Depth=1
	s_and_saveexec_b32 s1, vcc_lo
	s_cbranch_execz .LBB35_133
; %bb.135:                              ;   in Loop: Header=BB35_134 Depth=1
	s_delay_alu instid0(VALU_DEP_1)
	v_lshrrev_b32_e32 v4, s0, v2
	s_min_u32 s2, s24, 8
	s_delay_alu instid0(VALU_DEP_1) | instid1(SALU_CYCLE_1)
	v_bfe_u32 v4, v4, 0, s2
	s_delay_alu instid0(VALU_DEP_1)
	v_lshl_add_u32 v4, v4, 4, v1
	ds_add_u32 v4, v3
	s_branch .LBB35_133
.LBB35_136:
	s_and_b32 vcc_lo, exec_lo, s21
	s_waitcnt lgkmcnt(0)
	s_barrier
	buffer_gl0_inv
	s_cbranch_vccz .LBB35_141
; %bb.137:
	v_cmp_gt_u32_e32 vcc_lo, 0x100, v0
	v_dual_mov_b32 v2, 0 :: v_dual_lshlrev_b32 v3, 4, v0
	v_mov_b32_e32 v1, v0
	s_mov_b32 s1, s28
	s_set_inst_prefetch_distance 0x1
	s_branch .LBB35_139
	.p2align	6
.LBB35_138:                             ;   in Loop: Header=BB35_139 Depth=1
	s_or_b32 exec_lo, exec_lo, s2
	v_add_nc_u32_e32 v1, 0x100, v1
	v_add_nc_u32_e32 v3, 0x1000, v3
	s_add_i32 s1, s1, 8
	s_delay_alu instid0(SALU_CYCLE_1)
	s_cmp_lt_u32 s1, s29
	s_cbranch_scc0 .LBB35_141
.LBB35_139:                             ; =>This Inner Loop Header: Depth=1
	s_and_saveexec_b32 s2, vcc_lo
	s_cbranch_execz .LBB35_138
; %bb.140:                              ;   in Loop: Header=BB35_139 Depth=1
	ds_load_2addr_b32 v[4:5], v3 offset1:1
	ds_load_2addr_b32 v[6:7], v3 offset0:2 offset1:3
	v_lshlrev_b64 v[8:9], 3, v[1:2]
	s_waitcnt lgkmcnt(1)
	v_add_nc_u32_e32 v10, v5, v4
	s_delay_alu instid0(VALU_DEP_2) | instskip(NEXT) | instid1(VALU_DEP_1)
	v_add_co_u32 v4, s0, s22, v8
	v_add_co_ci_u32_e64 v5, s0, s23, v9, s0
	s_waitcnt lgkmcnt(0)
	s_delay_alu instid0(VALU_DEP_3)
	v_add3_u32 v6, v10, v6, v7
	v_mov_b32_e32 v7, v2
	global_atomic_add_u64 v[4:5], v[6:7], off
	s_branch .LBB35_138
.LBB35_141:
	s_set_inst_prefetch_distance 0x2
	s_mov_b32 s0, 0
.LBB35_142:
	s_delay_alu instid0(SALU_CYCLE_1)
	s_and_b32 vcc_lo, exec_lo, s0
	s_cbranch_vccz .LBB35_202
; %bb.143:
	v_add_co_u32 v1, s0, s30, v0
	s_delay_alu instid0(VALU_DEP_1)
	v_add_co_ci_u32_e64 v2, null, s31, 0, s0
	s_clause 0x8
	global_load_u8 v13, v0, s[30:31] offset:256
	global_load_u8 v14, v0, s[30:31] offset:512
	;; [unrolled: 1-line block ×9, first 2 shown]
	v_add_co_u32 v1, vcc_lo, 0x1000, v1
	v_add_co_ci_u32_e32 v2, vcc_lo, 0, v2, vcc_lo
	s_clause 0xc
	global_load_u8 v22, v0, s[30:31] offset:2560
	global_load_u8 v23, v0, s[30:31] offset:2816
	;; [unrolled: 1-line block ×6, first 2 shown]
	global_load_u8 v12, v[1:2], off
	global_load_u8 v7, v[1:2], off offset:256
	global_load_u8 v8, v[1:2], off offset:512
	;; [unrolled: 1-line block ×4, first 2 shown]
	global_load_u8 v25, v0, s[30:31]
	global_load_u8 v6, v[1:2], off offset:1280
	s_cmp_eq_u32 s28, 0
	v_mov_b32_e32 v1, 0
	s_cselect_b32 s1, -1, 0
	s_cmp_eq_u32 s29, 8
	v_or_b32_e32 v26, 0xffffff00, v0
	s_cselect_b32 s2, -1, 0
	v_lshlrev_b32_e32 v3, 2, v0
	s_and_b32 s1, s1, s2
	s_mov_b32 s0, 0
	s_and_b32 vcc_lo, exec_lo, s1
	s_mov_b32 s1, -1
	s_cbranch_vccnz .LBB35_197
; %bb.144:
	v_or_b32_e32 v2, 0xffffff00, v0
	v_lshlrev_b32_e32 v27, 2, v0
.LBB35_145:                             ; =>This Inner Loop Header: Depth=1
	s_delay_alu instid0(VALU_DEP_2) | instskip(SKIP_4) | instid1(SALU_CYCLE_1)
	v_add_nc_u32_e32 v2, 0x100, v2
	ds_store_b32 v27, v1
	v_add_nc_u32_e32 v27, 0x400, v27
	v_cmp_lt_u32_e32 vcc_lo, 0x2ff, v2
	s_or_b32 s0, vcc_lo, s0
	s_and_not1_b32 exec_lo, exec_lo, s0
	s_cbranch_execnz .LBB35_145
; %bb.146:
	s_or_b32 exec_lo, exec_lo, s0
	s_cmp_gt_u32 s29, s28
	s_waitcnt vmcnt(0) lgkmcnt(0)
	s_waitcnt_vscnt null, 0x0
	s_cselect_b32 s0, -1, 0
	s_cmp_le_u32 s29, s28
	s_barrier
	buffer_gl0_inv
	s_cbranch_scc1 .LBB35_191
; %bb.147:
	v_and_b32_e32 v1, 3, v0
	v_xor_b32_e32 v2, 0x7f, v25
	s_sub_i32 s1, s29, s28
	s_mov_b32 s3, s28
	s_mov_b32 s2, s1
	v_lshlrev_b32_e32 v1, 2, v1
	v_dual_mov_b32 v27, 1 :: v_dual_and_b32 v2, 0xff, v2
	s_delay_alu instid0(VALU_DEP_2)
	v_mov_b32_e32 v28, v1
.LBB35_148:                             ; =>This Inner Loop Header: Depth=1
	s_delay_alu instid0(VALU_DEP_2)
	v_lshrrev_b32_e32 v29, s3, v2
	s_min_u32 s4, s2, 8
	s_add_i32 s3, s3, 8
	s_add_i32 s2, s2, -8
	s_cmp_ge_u32 s3, s29
	v_bfe_u32 v29, v29, 0, s4
	s_delay_alu instid0(VALU_DEP_1)
	v_lshl_add_u32 v29, v29, 4, v28
	v_add_nc_u32_e32 v28, 0x1000, v28
	ds_add_u32 v29, v27
	s_cbranch_scc0 .LBB35_148
; %bb.149:
	v_xor_b32_e32 v27, 0x7f, v13
	v_mov_b32_e32 v2, 1
	v_mov_b32_e32 v28, v1
	s_mov_b32 s2, s1
	s_mov_b32 s3, s28
	v_and_b32_e32 v27, 0xff, v27
.LBB35_150:                             ; =>This Inner Loop Header: Depth=1
	s_delay_alu instid0(VALU_DEP_1)
	v_lshrrev_b32_e32 v29, s3, v27
	s_min_u32 s4, s2, 8
	s_add_i32 s3, s3, 8
	s_add_i32 s2, s2, -8
	s_cmp_lt_u32 s3, s29
	v_bfe_u32 v29, v29, 0, s4
	s_delay_alu instid0(VALU_DEP_1)
	v_lshl_add_u32 v29, v29, 4, v28
	v_add_nc_u32_e32 v28, 0x1000, v28
	ds_add_u32 v29, v2
	s_cbranch_scc1 .LBB35_150
; %bb.151:
	v_xor_b32_e32 v27, 0x7f, v14
	v_mov_b32_e32 v2, 1
	v_mov_b32_e32 v28, v1
	s_mov_b32 s2, s1
	s_mov_b32 s3, s28
	v_and_b32_e32 v27, 0xff, v27
.LBB35_152:                             ; =>This Inner Loop Header: Depth=1
	s_delay_alu instid0(VALU_DEP_1)
	v_lshrrev_b32_e32 v29, s3, v27
	s_min_u32 s4, s2, 8
	s_add_i32 s3, s3, 8
	s_add_i32 s2, s2, -8
	s_cmp_lt_u32 s3, s29
	v_bfe_u32 v29, v29, 0, s4
	s_delay_alu instid0(VALU_DEP_1)
	v_lshl_add_u32 v29, v29, 4, v28
	v_add_nc_u32_e32 v28, 0x1000, v28
	ds_add_u32 v29, v2
	s_cbranch_scc1 .LBB35_152
	;; [unrolled: 20-line block ×20, first 2 shown]
; %bb.189:
	v_xor_b32_e32 v2, 0x7f, v6
	s_mov_b32 s2, s28
	s_delay_alu instid0(VALU_DEP_1)
	v_dual_mov_b32 v27, 1 :: v_dual_and_b32 v2, 0xff, v2
.LBB35_190:                             ; =>This Inner Loop Header: Depth=1
	s_delay_alu instid0(VALU_DEP_1)
	v_lshrrev_b32_e32 v28, s2, v2
	s_min_u32 s3, s1, 8
	s_add_i32 s2, s2, 8
	s_add_i32 s1, s1, -8
	s_cmp_lt_u32 s2, s29
	v_bfe_u32 v28, v28, 0, s3
	s_delay_alu instid0(VALU_DEP_1)
	v_lshl_add_u32 v28, v28, 4, v1
	v_add_nc_u32_e32 v1, 0x1000, v1
	ds_add_u32 v28, v27
	s_cbranch_scc1 .LBB35_190
.LBB35_191:
	s_and_b32 vcc_lo, exec_lo, s0
	s_waitcnt lgkmcnt(0)
	s_barrier
	buffer_gl0_inv
	s_cbranch_vccz .LBB35_196
; %bb.192:
	v_cmp_gt_u32_e32 vcc_lo, 0x100, v0
	v_dual_mov_b32 v2, 0 :: v_dual_lshlrev_b32 v27, 4, v0
	v_mov_b32_e32 v1, v0
	s_set_inst_prefetch_distance 0x1
	s_branch .LBB35_194
	.p2align	6
.LBB35_193:                             ;   in Loop: Header=BB35_194 Depth=1
	s_or_b32 exec_lo, exec_lo, s1
	v_add_nc_u32_e32 v1, 0x100, v1
	v_add_nc_u32_e32 v27, 0x1000, v27
	s_add_i32 s28, s28, 8
	s_delay_alu instid0(SALU_CYCLE_1)
	s_cmp_ge_u32 s28, s29
	s_cbranch_scc1 .LBB35_196
.LBB35_194:                             ; =>This Inner Loop Header: Depth=1
	s_and_saveexec_b32 s1, vcc_lo
	s_cbranch_execz .LBB35_193
; %bb.195:                              ;   in Loop: Header=BB35_194 Depth=1
	ds_load_2addr_b32 v[28:29], v27 offset1:1
	ds_load_2addr_b32 v[30:31], v27 offset0:2 offset1:3
	v_lshlrev_b64 v[32:33], 3, v[1:2]
	s_waitcnt lgkmcnt(1)
	v_add_nc_u32_e32 v34, v29, v28
	s_delay_alu instid0(VALU_DEP_2) | instskip(NEXT) | instid1(VALU_DEP_1)
	v_add_co_u32 v28, s0, s22, v32
	v_add_co_ci_u32_e64 v29, s0, s23, v33, s0
	s_waitcnt lgkmcnt(0)
	s_delay_alu instid0(VALU_DEP_3)
	v_add3_u32 v30, v34, v30, v31
	v_mov_b32_e32 v31, v2
	global_atomic_add_u64 v[28:29], v[30:31], off
	s_branch .LBB35_193
.LBB35_196:
	s_set_inst_prefetch_distance 0x2
	s_mov_b32 s1, 0
.LBB35_197:
	s_delay_alu instid0(SALU_CYCLE_1)
	s_and_b32 vcc_lo, exec_lo, s1
	s_cbranch_vccz .LBB35_202
; %bb.198:
	v_dual_mov_b32 v1, 0 :: v_dual_mov_b32 v2, v3
	s_mov_b32 s0, 0
.LBB35_199:                             ; =>This Inner Loop Header: Depth=1
	v_add_nc_u32_e32 v26, 0x100, v26
	ds_store_b32 v2, v1
	v_add_nc_u32_e32 v2, 0x400, v2
	v_cmp_lt_u32_e32 vcc_lo, 0x2ff, v26
	s_or_b32 s0, vcc_lo, s0
	s_delay_alu instid0(SALU_CYCLE_1)
	s_and_not1_b32 exec_lo, exec_lo, s0
	s_cbranch_execnz .LBB35_199
; %bb.200:
	s_or_b32 exec_lo, exec_lo, s0
	s_waitcnt vmcnt(1)
	v_xor_b32_e32 v1, 0x7f, v25
	v_xor_b32_e32 v2, 0x7f, v13
	v_xor_b32_e32 v13, 0x7f, v14
	v_xor_b32_e32 v14, 0x7f, v15
	v_xor_b32_e32 v15, 0x7f, v16
	v_xor_b32_e32 v16, 0x7f, v17
	v_xor_b32_e32 v17, 0x7f, v18
	v_xor_b32_e32 v18, 0x7f, v19
	v_xor_b32_e32 v19, 0x7f, v20
	v_xor_b32_e32 v20, 0x7f, v21
	v_xor_b32_e32 v21, 0x7f, v22
	v_xor_b32_e32 v22, 0x7f, v23
	v_xor_b32_e32 v23, 0x7f, v24
	v_dual_mov_b32 v25, 1 :: v_dual_and_b32 v24, 3, v0
	v_and_b32_e32 v1, 0xff, v1
	v_and_b32_e32 v2, 0xff, v2
	s_waitcnt vmcnt(0) lgkmcnt(0)
	s_waitcnt_vscnt null, 0x0
	v_lshlrev_b32_e32 v24, 2, v24
	s_barrier
	buffer_gl0_inv
	v_xor_b32_e32 v9, 0x7f, v9
	v_xor_b32_e32 v10, 0x7f, v10
	v_lshl_or_b32 v1, v1, 4, v24
	v_lshl_or_b32 v2, v2, 4, v24
	ds_add_u32 v1, v25
	ds_add_u32 v2, v25
	v_and_b32_e32 v1, 0xff, v13
	v_and_b32_e32 v2, 0xff, v14
	v_and_b32_e32 v13, 0xff, v15
	v_and_b32_e32 v14, 0xff, v16
	v_and_b32_e32 v15, 0xff, v17
	v_lshl_or_b32 v1, v1, 4, v24
	v_lshl_or_b32 v2, v2, 4, v24
	;; [unrolled: 1-line block ×5, first 2 shown]
	ds_add_u32 v1, v25
	ds_add_u32 v2, v25
	;; [unrolled: 1-line block ×5, first 2 shown]
	v_and_b32_e32 v1, 0xff, v18
	v_and_b32_e32 v2, 0xff, v19
	;; [unrolled: 1-line block ×5, first 2 shown]
	v_lshl_or_b32 v1, v1, 4, v24
	v_lshl_or_b32 v2, v2, 4, v24
	v_lshl_or_b32 v13, v13, 4, v24
	v_xor_b32_e32 v11, 0x7f, v11
	v_lshl_or_b32 v14, v14, 4, v24
	v_xor_b32_e32 v12, 0x7f, v12
	v_lshl_or_b32 v15, v15, 4, v24
	ds_add_u32 v1, v25
	ds_add_u32 v2, v25
	;; [unrolled: 1-line block ×5, first 2 shown]
	v_and_b32_e32 v1, 0xff, v23
	v_and_b32_e32 v2, 0xff, v9
	;; [unrolled: 1-line block ×5, first 2 shown]
	v_xor_b32_e32 v7, 0x7f, v7
	v_lshl_or_b32 v1, v1, 4, v24
	v_xor_b32_e32 v8, 0x7f, v8
	v_lshl_or_b32 v2, v2, 4, v24
	v_xor_b32_e32 v4, 0x7f, v4
	v_lshl_or_b32 v9, v9, 4, v24
	v_xor_b32_e32 v5, 0x7f, v5
	v_lshl_or_b32 v10, v10, 4, v24
	v_xor_b32_e32 v6, 0x7f, v6
	v_lshl_or_b32 v11, v11, 4, v24
	ds_add_u32 v1, v25
	ds_add_u32 v2, v25
	;; [unrolled: 1-line block ×5, first 2 shown]
	v_and_b32_e32 v1, 0xff, v7
	v_and_b32_e32 v2, 0xff, v8
	;; [unrolled: 1-line block ×5, first 2 shown]
	v_lshl_or_b32 v1, v1, 4, v24
	v_lshl_or_b32 v2, v2, 4, v24
	;; [unrolled: 1-line block ×5, first 2 shown]
	ds_add_u32 v1, v25
	ds_add_u32 v2, v25
	;; [unrolled: 1-line block ×5, first 2 shown]
	s_waitcnt lgkmcnt(0)
	s_barrier
	buffer_gl0_inv
	s_mov_b32 s0, exec_lo
	v_cmpx_gt_u32_e32 0x100, v0
	s_cbranch_execz .LBB35_202
; %bb.201:
	v_lshlrev_b32_e32 v3, 2, v3
	ds_load_2addr_b32 v[1:2], v3 offset1:1
	ds_load_2addr_b32 v[3:4], v3 offset0:2 offset1:3
	s_waitcnt lgkmcnt(1)
	v_add_nc_u32_e32 v1, v2, v1
	v_lshlrev_b32_e32 v2, 3, v0
	s_waitcnt lgkmcnt(0)
	s_delay_alu instid0(VALU_DEP_2)
	v_add3_u32 v0, v1, v3, v4
	v_mov_b32_e32 v1, 0
	global_atomic_add_u64 v2, v[0:1], s[22:23]
.LBB35_202:
	s_nop 0
	s_sendmsg sendmsg(MSG_DEALLOC_VGPRS)
	s_endpgm
	.section	.rodata,"a",@progbits
	.p2align	6, 0x0
	.amdhsa_kernel _ZN7rocprim17ROCPRIM_304000_NS6detail26onesweep_histograms_kernelINS1_34wrapped_radix_sort_onesweep_configINS0_14default_configEaN2at4cuda3cub6detail10OpaqueTypeILi8EEEEELb1EPKamNS0_19identity_decomposerEEEvT1_PT2_SG_SG_T3_jj
		.amdhsa_group_segment_fixed_size 4096
		.amdhsa_private_segment_fixed_size 0
		.amdhsa_kernarg_size 44
		.amdhsa_user_sgpr_count 15
		.amdhsa_user_sgpr_dispatch_ptr 0
		.amdhsa_user_sgpr_queue_ptr 0
		.amdhsa_user_sgpr_kernarg_segment_ptr 1
		.amdhsa_user_sgpr_dispatch_id 0
		.amdhsa_user_sgpr_private_segment_size 0
		.amdhsa_wavefront_size32 1
		.amdhsa_uses_dynamic_stack 0
		.amdhsa_enable_private_segment 0
		.amdhsa_system_sgpr_workgroup_id_x 1
		.amdhsa_system_sgpr_workgroup_id_y 0
		.amdhsa_system_sgpr_workgroup_id_z 0
		.amdhsa_system_sgpr_workgroup_info 0
		.amdhsa_system_vgpr_workitem_id 0
		.amdhsa_next_free_vgpr 35
		.amdhsa_next_free_sgpr 34
		.amdhsa_reserve_vcc 1
		.amdhsa_float_round_mode_32 0
		.amdhsa_float_round_mode_16_64 0
		.amdhsa_float_denorm_mode_32 3
		.amdhsa_float_denorm_mode_16_64 3
		.amdhsa_dx10_clamp 1
		.amdhsa_ieee_mode 1
		.amdhsa_fp16_overflow 0
		.amdhsa_workgroup_processor_mode 1
		.amdhsa_memory_ordered 1
		.amdhsa_forward_progress 0
		.amdhsa_shared_vgpr_count 0
		.amdhsa_exception_fp_ieee_invalid_op 0
		.amdhsa_exception_fp_denorm_src 0
		.amdhsa_exception_fp_ieee_div_zero 0
		.amdhsa_exception_fp_ieee_overflow 0
		.amdhsa_exception_fp_ieee_underflow 0
		.amdhsa_exception_fp_ieee_inexact 0
		.amdhsa_exception_int_div_zero 0
	.end_amdhsa_kernel
	.section	.text._ZN7rocprim17ROCPRIM_304000_NS6detail26onesweep_histograms_kernelINS1_34wrapped_radix_sort_onesweep_configINS0_14default_configEaN2at4cuda3cub6detail10OpaqueTypeILi8EEEEELb1EPKamNS0_19identity_decomposerEEEvT1_PT2_SG_SG_T3_jj,"axG",@progbits,_ZN7rocprim17ROCPRIM_304000_NS6detail26onesweep_histograms_kernelINS1_34wrapped_radix_sort_onesweep_configINS0_14default_configEaN2at4cuda3cub6detail10OpaqueTypeILi8EEEEELb1EPKamNS0_19identity_decomposerEEEvT1_PT2_SG_SG_T3_jj,comdat
.Lfunc_end35:
	.size	_ZN7rocprim17ROCPRIM_304000_NS6detail26onesweep_histograms_kernelINS1_34wrapped_radix_sort_onesweep_configINS0_14default_configEaN2at4cuda3cub6detail10OpaqueTypeILi8EEEEELb1EPKamNS0_19identity_decomposerEEEvT1_PT2_SG_SG_T3_jj, .Lfunc_end35-_ZN7rocprim17ROCPRIM_304000_NS6detail26onesweep_histograms_kernelINS1_34wrapped_radix_sort_onesweep_configINS0_14default_configEaN2at4cuda3cub6detail10OpaqueTypeILi8EEEEELb1EPKamNS0_19identity_decomposerEEEvT1_PT2_SG_SG_T3_jj
                                        ; -- End function
	.section	.AMDGPU.csdata,"",@progbits
; Kernel info:
; codeLenInByte = 7688
; NumSgprs: 36
; NumVgprs: 35
; ScratchSize: 0
; MemoryBound: 0
; FloatMode: 240
; IeeeMode: 1
; LDSByteSize: 4096 bytes/workgroup (compile time only)
; SGPRBlocks: 4
; VGPRBlocks: 4
; NumSGPRsForWavesPerEU: 36
; NumVGPRsForWavesPerEU: 35
; Occupancy: 16
; WaveLimiterHint : 1
; COMPUTE_PGM_RSRC2:SCRATCH_EN: 0
; COMPUTE_PGM_RSRC2:USER_SGPR: 15
; COMPUTE_PGM_RSRC2:TRAP_HANDLER: 0
; COMPUTE_PGM_RSRC2:TGID_X_EN: 1
; COMPUTE_PGM_RSRC2:TGID_Y_EN: 0
; COMPUTE_PGM_RSRC2:TGID_Z_EN: 0
; COMPUTE_PGM_RSRC2:TIDIG_COMP_CNT: 0
	.section	.text._ZN7rocprim17ROCPRIM_304000_NS6detail31onesweep_scan_histograms_kernelINS1_34wrapped_radix_sort_onesweep_configINS0_14default_configEaN2at4cuda3cub6detail10OpaqueTypeILi8EEEEEmEEvPT0_,"axG",@progbits,_ZN7rocprim17ROCPRIM_304000_NS6detail31onesweep_scan_histograms_kernelINS1_34wrapped_radix_sort_onesweep_configINS0_14default_configEaN2at4cuda3cub6detail10OpaqueTypeILi8EEEEEmEEvPT0_,comdat
	.protected	_ZN7rocprim17ROCPRIM_304000_NS6detail31onesweep_scan_histograms_kernelINS1_34wrapped_radix_sort_onesweep_configINS0_14default_configEaN2at4cuda3cub6detail10OpaqueTypeILi8EEEEEmEEvPT0_ ; -- Begin function _ZN7rocprim17ROCPRIM_304000_NS6detail31onesweep_scan_histograms_kernelINS1_34wrapped_radix_sort_onesweep_configINS0_14default_configEaN2at4cuda3cub6detail10OpaqueTypeILi8EEEEEmEEvPT0_
	.globl	_ZN7rocprim17ROCPRIM_304000_NS6detail31onesweep_scan_histograms_kernelINS1_34wrapped_radix_sort_onesweep_configINS0_14default_configEaN2at4cuda3cub6detail10OpaqueTypeILi8EEEEEmEEvPT0_
	.p2align	8
	.type	_ZN7rocprim17ROCPRIM_304000_NS6detail31onesweep_scan_histograms_kernelINS1_34wrapped_radix_sort_onesweep_configINS0_14default_configEaN2at4cuda3cub6detail10OpaqueTypeILi8EEEEEmEEvPT0_,@function
_ZN7rocprim17ROCPRIM_304000_NS6detail31onesweep_scan_histograms_kernelINS1_34wrapped_radix_sort_onesweep_configINS0_14default_configEaN2at4cuda3cub6detail10OpaqueTypeILi8EEEEEmEEvPT0_: ; @_ZN7rocprim17ROCPRIM_304000_NS6detail31onesweep_scan_histograms_kernelINS1_34wrapped_radix_sort_onesweep_configINS0_14default_configEaN2at4cuda3cub6detail10OpaqueTypeILi8EEEEEmEEvPT0_
; %bb.0:
	s_load_b64 s[0:1], s[0:1], 0x0
	s_lshl_b32 s2, s15, 8
	s_mov_b32 s3, 0
	v_cmp_gt_u32_e32 vcc_lo, 0x100, v0
	s_lshl_b64 s[2:3], s[2:3], 3
	v_lshlrev_b32_e32 v5, 3, v0
                                        ; implicit-def: $vgpr1_vgpr2
	s_waitcnt lgkmcnt(0)
	s_add_u32 s2, s0, s2
	s_addc_u32 s3, s1, s3
	s_and_saveexec_b32 s0, vcc_lo
	s_cbranch_execz .LBB36_2
; %bb.1:
	global_load_b64 v[1:2], v5, s[2:3]
.LBB36_2:
	s_or_b32 exec_lo, exec_lo, s0
	v_mbcnt_lo_u32_b32 v6, -1, 0
	s_waitcnt vmcnt(0)
	v_mov_b32_dpp v8, v1 row_shr:1 row_mask:0xf bank_mask:0xf
	v_mov_b32_dpp v7, v2 row_shr:1 row_mask:0xf bank_mask:0xf
	s_mov_b32 s1, exec_lo
	v_dual_mov_b32 v3, v1 :: v_dual_and_b32 v4, 15, v6
	s_delay_alu instid0(VALU_DEP_1)
	v_cmpx_ne_u32_e32 0, v4
; %bb.3:
	v_add_co_u32 v3, s0, v1, v8
	s_delay_alu instid0(VALU_DEP_1) | instskip(NEXT) | instid1(VALU_DEP_2)
	v_add_co_ci_u32_e64 v2, s0, 0, v2, s0
	v_add_co_u32 v1, s0, 0, v3
	s_delay_alu instid0(VALU_DEP_1)
	v_add_co_ci_u32_e64 v2, s0, v7, v2, s0
; %bb.4:
	s_or_b32 exec_lo, exec_lo, s1
	v_mov_b32_dpp v8, v3 row_shr:2 row_mask:0xf bank_mask:0xf
	s_delay_alu instid0(VALU_DEP_2)
	v_mov_b32_dpp v7, v2 row_shr:2 row_mask:0xf bank_mask:0xf
	s_mov_b32 s1, exec_lo
	v_cmpx_lt_u32_e32 1, v4
; %bb.5:
	s_delay_alu instid0(VALU_DEP_3) | instskip(NEXT) | instid1(VALU_DEP_1)
	v_add_co_u32 v3, s0, v1, v8
	v_add_co_ci_u32_e64 v2, s0, 0, v2, s0
	s_delay_alu instid0(VALU_DEP_2) | instskip(NEXT) | instid1(VALU_DEP_1)
	v_add_co_u32 v1, s0, 0, v3
	v_add_co_ci_u32_e64 v2, s0, v7, v2, s0
; %bb.6:
	s_or_b32 exec_lo, exec_lo, s1
	v_mov_b32_dpp v8, v3 row_shr:4 row_mask:0xf bank_mask:0xf
	s_delay_alu instid0(VALU_DEP_2)
	v_mov_b32_dpp v7, v2 row_shr:4 row_mask:0xf bank_mask:0xf
	s_mov_b32 s1, exec_lo
	v_cmpx_lt_u32_e32 3, v4
; %bb.7:
	s_delay_alu instid0(VALU_DEP_3) | instskip(NEXT) | instid1(VALU_DEP_1)
	v_add_co_u32 v3, s0, v1, v8
	v_add_co_ci_u32_e64 v2, s0, 0, v2, s0
	s_delay_alu instid0(VALU_DEP_2) | instskip(NEXT) | instid1(VALU_DEP_1)
	v_add_co_u32 v1, s0, 0, v3
	;; [unrolled: 14-line block ×3, first 2 shown]
	v_add_co_ci_u32_e64 v2, s0, v7, v2, s0
; %bb.10:
	s_or_b32 exec_lo, exec_lo, s1
	ds_swizzle_b32 v4, v3 offset:swizzle(BROADCAST,32,15)
	ds_swizzle_b32 v3, v2 offset:swizzle(BROADCAST,32,15)
	v_and_b32_e32 v7, 16, v6
	s_mov_b32 s1, exec_lo
	s_delay_alu instid0(VALU_DEP_1)
	v_cmpx_ne_u32_e32 0, v7
	s_cbranch_execz .LBB36_12
; %bb.11:
	s_waitcnt lgkmcnt(1)
	v_add_co_u32 v1, s0, v1, v4
	s_delay_alu instid0(VALU_DEP_1) | instskip(NEXT) | instid1(VALU_DEP_2)
	v_add_co_ci_u32_e64 v2, s0, 0, v2, s0
	v_add_co_u32 v1, s0, v1, 0
	s_waitcnt lgkmcnt(0)
	s_delay_alu instid0(VALU_DEP_2)
	v_add_co_ci_u32_e64 v2, s0, v2, v3, s0
.LBB36_12:
	s_or_b32 exec_lo, exec_lo, s1
	s_waitcnt lgkmcnt(0)
	v_or_b32_e32 v3, 31, v0
	v_lshrrev_b32_e32 v7, 5, v0
	s_mov_b32 s1, exec_lo
	s_delay_alu instid0(VALU_DEP_2)
	v_cmpx_eq_u32_e64 v3, v0
	s_cbranch_execz .LBB36_14
; %bb.13:
	s_delay_alu instid0(VALU_DEP_2)
	v_lshlrev_b32_e32 v3, 3, v7
	ds_store_b64 v3, v[1:2]
.LBB36_14:
	s_or_b32 exec_lo, exec_lo, s1
	s_delay_alu instid0(SALU_CYCLE_1)
	s_mov_b32 s1, exec_lo
	s_waitcnt lgkmcnt(0)
	s_barrier
	buffer_gl0_inv
	v_cmpx_gt_u32_e32 8, v0
	s_cbranch_execz .LBB36_22
; %bb.15:
	ds_load_b64 v[3:4], v5
	v_and_b32_e32 v8, 7, v6
	s_mov_b32 s4, exec_lo
	s_waitcnt lgkmcnt(0)
	v_mov_b32_e32 v9, v3
	v_mov_b32_dpp v11, v3 row_shr:1 row_mask:0xf bank_mask:0xf
	v_mov_b32_dpp v10, v4 row_shr:1 row_mask:0xf bank_mask:0xf
	v_cmpx_ne_u32_e32 0, v8
; %bb.16:
	s_delay_alu instid0(VALU_DEP_3) | instskip(NEXT) | instid1(VALU_DEP_1)
	v_add_co_u32 v9, s0, v3, v11
	v_add_co_ci_u32_e64 v4, s0, 0, v4, s0
	s_delay_alu instid0(VALU_DEP_2) | instskip(NEXT) | instid1(VALU_DEP_1)
	v_add_co_u32 v3, s0, 0, v9
	v_add_co_ci_u32_e64 v4, s0, v10, v4, s0
; %bb.17:
	s_or_b32 exec_lo, exec_lo, s4
	v_mov_b32_dpp v11, v9 row_shr:2 row_mask:0xf bank_mask:0xf
	s_delay_alu instid0(VALU_DEP_2)
	v_mov_b32_dpp v10, v4 row_shr:2 row_mask:0xf bank_mask:0xf
	s_mov_b32 s4, exec_lo
	v_cmpx_lt_u32_e32 1, v8
; %bb.18:
	s_delay_alu instid0(VALU_DEP_3) | instskip(NEXT) | instid1(VALU_DEP_1)
	v_add_co_u32 v9, s0, v3, v11
	v_add_co_ci_u32_e64 v4, s0, 0, v4, s0
	s_delay_alu instid0(VALU_DEP_2) | instskip(NEXT) | instid1(VALU_DEP_1)
	v_add_co_u32 v3, s0, 0, v9
	v_add_co_ci_u32_e64 v4, s0, v10, v4, s0
; %bb.19:
	s_or_b32 exec_lo, exec_lo, s4
	v_mov_b32_dpp v10, v9 row_shr:4 row_mask:0xf bank_mask:0xf
	s_delay_alu instid0(VALU_DEP_2)
	v_mov_b32_dpp v9, v4 row_shr:4 row_mask:0xf bank_mask:0xf
	s_mov_b32 s4, exec_lo
	v_cmpx_lt_u32_e32 3, v8
; %bb.20:
	s_delay_alu instid0(VALU_DEP_3) | instskip(NEXT) | instid1(VALU_DEP_1)
	v_add_co_u32 v3, s0, v3, v10
	v_add_co_ci_u32_e64 v4, s0, 0, v4, s0
	s_delay_alu instid0(VALU_DEP_2) | instskip(NEXT) | instid1(VALU_DEP_1)
	v_add_co_u32 v3, s0, v3, 0
	v_add_co_ci_u32_e64 v4, s0, v4, v9, s0
; %bb.21:
	s_or_b32 exec_lo, exec_lo, s4
	ds_store_b64 v5, v[3:4]
.LBB36_22:
	s_or_b32 exec_lo, exec_lo, s1
	v_mov_b32_e32 v3, 0
	v_mov_b32_e32 v4, 0
	s_mov_b32 s1, exec_lo
	s_waitcnt lgkmcnt(0)
	s_barrier
	buffer_gl0_inv
	v_cmpx_lt_u32_e32 31, v0
	s_cbranch_execz .LBB36_24
; %bb.23:
	v_lshl_add_u32 v0, v7, 3, -8
	ds_load_b64 v[3:4], v0
.LBB36_24:
	s_or_b32 exec_lo, exec_lo, s1
	v_add_nc_u32_e32 v0, -1, v6
	s_delay_alu instid0(VALU_DEP_1) | instskip(NEXT) | instid1(VALU_DEP_1)
	v_cmp_gt_i32_e64 s0, 0, v0
	v_cndmask_b32_e64 v0, v0, v6, s0
	s_delay_alu instid0(VALU_DEP_1) | instskip(SKIP_2) | instid1(VALU_DEP_1)
	v_lshlrev_b32_e32 v7, 2, v0
	s_waitcnt lgkmcnt(0)
	v_add_co_u32 v0, s0, v3, v1
	v_add_co_ci_u32_e64 v1, s0, v4, v2, s0
	ds_bpermute_b32 v0, v7, v0
	ds_bpermute_b32 v1, v7, v1
	s_and_saveexec_b32 s0, vcc_lo
	s_cbranch_execz .LBB36_26
; %bb.25:
	v_cmp_eq_u32_e32 vcc_lo, 0, v6
	s_waitcnt lgkmcnt(0)
	v_dual_cndmask_b32 v1, v1, v4 :: v_dual_cndmask_b32 v0, v0, v3
	global_store_b64 v5, v[0:1], s[2:3]
.LBB36_26:
	s_nop 0
	s_sendmsg sendmsg(MSG_DEALLOC_VGPRS)
	s_endpgm
	.section	.rodata,"a",@progbits
	.p2align	6, 0x0
	.amdhsa_kernel _ZN7rocprim17ROCPRIM_304000_NS6detail31onesweep_scan_histograms_kernelINS1_34wrapped_radix_sort_onesweep_configINS0_14default_configEaN2at4cuda3cub6detail10OpaqueTypeILi8EEEEEmEEvPT0_
		.amdhsa_group_segment_fixed_size 64
		.amdhsa_private_segment_fixed_size 0
		.amdhsa_kernarg_size 8
		.amdhsa_user_sgpr_count 15
		.amdhsa_user_sgpr_dispatch_ptr 0
		.amdhsa_user_sgpr_queue_ptr 0
		.amdhsa_user_sgpr_kernarg_segment_ptr 1
		.amdhsa_user_sgpr_dispatch_id 0
		.amdhsa_user_sgpr_private_segment_size 0
		.amdhsa_wavefront_size32 1
		.amdhsa_uses_dynamic_stack 0
		.amdhsa_enable_private_segment 0
		.amdhsa_system_sgpr_workgroup_id_x 1
		.amdhsa_system_sgpr_workgroup_id_y 0
		.amdhsa_system_sgpr_workgroup_id_z 0
		.amdhsa_system_sgpr_workgroup_info 0
		.amdhsa_system_vgpr_workitem_id 0
		.amdhsa_next_free_vgpr 12
		.amdhsa_next_free_sgpr 16
		.amdhsa_reserve_vcc 1
		.amdhsa_float_round_mode_32 0
		.amdhsa_float_round_mode_16_64 0
		.amdhsa_float_denorm_mode_32 3
		.amdhsa_float_denorm_mode_16_64 3
		.amdhsa_dx10_clamp 1
		.amdhsa_ieee_mode 1
		.amdhsa_fp16_overflow 0
		.amdhsa_workgroup_processor_mode 1
		.amdhsa_memory_ordered 1
		.amdhsa_forward_progress 0
		.amdhsa_shared_vgpr_count 0
		.amdhsa_exception_fp_ieee_invalid_op 0
		.amdhsa_exception_fp_denorm_src 0
		.amdhsa_exception_fp_ieee_div_zero 0
		.amdhsa_exception_fp_ieee_overflow 0
		.amdhsa_exception_fp_ieee_underflow 0
		.amdhsa_exception_fp_ieee_inexact 0
		.amdhsa_exception_int_div_zero 0
	.end_amdhsa_kernel
	.section	.text._ZN7rocprim17ROCPRIM_304000_NS6detail31onesweep_scan_histograms_kernelINS1_34wrapped_radix_sort_onesweep_configINS0_14default_configEaN2at4cuda3cub6detail10OpaqueTypeILi8EEEEEmEEvPT0_,"axG",@progbits,_ZN7rocprim17ROCPRIM_304000_NS6detail31onesweep_scan_histograms_kernelINS1_34wrapped_radix_sort_onesweep_configINS0_14default_configEaN2at4cuda3cub6detail10OpaqueTypeILi8EEEEEmEEvPT0_,comdat
.Lfunc_end36:
	.size	_ZN7rocprim17ROCPRIM_304000_NS6detail31onesweep_scan_histograms_kernelINS1_34wrapped_radix_sort_onesweep_configINS0_14default_configEaN2at4cuda3cub6detail10OpaqueTypeILi8EEEEEmEEvPT0_, .Lfunc_end36-_ZN7rocprim17ROCPRIM_304000_NS6detail31onesweep_scan_histograms_kernelINS1_34wrapped_radix_sort_onesweep_configINS0_14default_configEaN2at4cuda3cub6detail10OpaqueTypeILi8EEEEEmEEvPT0_
                                        ; -- End function
	.section	.AMDGPU.csdata,"",@progbits
; Kernel info:
; codeLenInByte = 956
; NumSgprs: 18
; NumVgprs: 12
; ScratchSize: 0
; MemoryBound: 0
; FloatMode: 240
; IeeeMode: 1
; LDSByteSize: 64 bytes/workgroup (compile time only)
; SGPRBlocks: 2
; VGPRBlocks: 1
; NumSGPRsForWavesPerEU: 18
; NumVGPRsForWavesPerEU: 12
; Occupancy: 16
; WaveLimiterHint : 0
; COMPUTE_PGM_RSRC2:SCRATCH_EN: 0
; COMPUTE_PGM_RSRC2:USER_SGPR: 15
; COMPUTE_PGM_RSRC2:TRAP_HANDLER: 0
; COMPUTE_PGM_RSRC2:TGID_X_EN: 1
; COMPUTE_PGM_RSRC2:TGID_Y_EN: 0
; COMPUTE_PGM_RSRC2:TGID_Z_EN: 0
; COMPUTE_PGM_RSRC2:TIDIG_COMP_CNT: 0
	.section	.text._ZN7rocprim17ROCPRIM_304000_NS6detail16transform_kernelINS1_24wrapped_transform_configINS0_14default_configEaEEaPKaPaNS0_8identityIaEEEEvT1_mT2_T3_,"axG",@progbits,_ZN7rocprim17ROCPRIM_304000_NS6detail16transform_kernelINS1_24wrapped_transform_configINS0_14default_configEaEEaPKaPaNS0_8identityIaEEEEvT1_mT2_T3_,comdat
	.protected	_ZN7rocprim17ROCPRIM_304000_NS6detail16transform_kernelINS1_24wrapped_transform_configINS0_14default_configEaEEaPKaPaNS0_8identityIaEEEEvT1_mT2_T3_ ; -- Begin function _ZN7rocprim17ROCPRIM_304000_NS6detail16transform_kernelINS1_24wrapped_transform_configINS0_14default_configEaEEaPKaPaNS0_8identityIaEEEEvT1_mT2_T3_
	.globl	_ZN7rocprim17ROCPRIM_304000_NS6detail16transform_kernelINS1_24wrapped_transform_configINS0_14default_configEaEEaPKaPaNS0_8identityIaEEEEvT1_mT2_T3_
	.p2align	8
	.type	_ZN7rocprim17ROCPRIM_304000_NS6detail16transform_kernelINS1_24wrapped_transform_configINS0_14default_configEaEEaPKaPaNS0_8identityIaEEEEvT1_mT2_T3_,@function
_ZN7rocprim17ROCPRIM_304000_NS6detail16transform_kernelINS1_24wrapped_transform_configINS0_14default_configEaEEaPKaPaNS0_8identityIaEEEEvT1_mT2_T3_: ; @_ZN7rocprim17ROCPRIM_304000_NS6detail16transform_kernelINS1_24wrapped_transform_configINS0_14default_configEaEEaPKaPaNS0_8identityIaEEEEvT1_mT2_T3_
; %bb.0:
	s_clause 0x2
	s_load_b32 s2, s[0:1], 0x20
	s_load_b128 s[4:7], s[0:1], 0x0
	s_load_b64 s[8:9], s[0:1], 0x10
	s_lshl_b32 s3, s15, 12
	s_waitcnt lgkmcnt(0)
	s_add_i32 s2, s2, -1
	s_add_u32 s0, s4, s3
	s_addc_u32 s1, s5, 0
	v_add_co_u32 v1, s0, s0, v0
	s_delay_alu instid0(VALU_DEP_1)
	v_add_co_ci_u32_e64 v2, null, s1, 0, s0
	s_mov_b32 s4, 0
	s_cmp_lg_u32 s15, s2
	s_mov_b32 s0, -1
	s_cbranch_scc0 .LBB37_2
; %bb.1:
	s_clause 0x3
	global_load_u8 v6, v[1:2], off
	global_load_u8 v7, v[1:2], off offset:1024
	global_load_u8 v8, v[1:2], off offset:2048
	;; [unrolled: 1-line block ×3, first 2 shown]
	s_add_u32 s0, s8, s3
	s_addc_u32 s1, s9, 0
	v_add_co_u32 v4, s0, s0, v0
	s_delay_alu instid0(VALU_DEP_1)
	v_add_co_ci_u32_e64 v5, null, s1, 0, s0
	s_mov_b32 s4, -1
	s_waitcnt vmcnt(3)
	global_store_b8 v[4:5], v6, off
	s_waitcnt vmcnt(2)
	global_store_b8 v[4:5], v7, off offset:1024
	s_waitcnt vmcnt(1)
	global_store_b8 v[4:5], v8, off offset:2048
	s_cbranch_execz .LBB37_3
	s_branch .LBB37_17
.LBB37_2:
                                        ; implicit-def: $vgpr3
	s_and_not1_b32 vcc_lo, exec_lo, s0
	s_cbranch_vccnz .LBB37_17
.LBB37_3:
	s_sub_i32 s2, s6, s3
                                        ; implicit-def: $vgpr4
	s_delay_alu instid0(SALU_CYCLE_1)
	v_cmp_gt_u32_e32 vcc_lo, s2, v0
	s_and_saveexec_b32 s0, vcc_lo
	s_cbranch_execz .LBB37_5
; %bb.4:
	global_load_u8 v4, v[1:2], off
.LBB37_5:
	s_or_b32 exec_lo, exec_lo, s0
	s_waitcnt vmcnt(0)
	v_or_b32_e32 v3, 0x400, v0
                                        ; implicit-def: $vgpr6
	s_delay_alu instid0(VALU_DEP_1) | instskip(NEXT) | instid1(VALU_DEP_1)
	v_cmp_gt_u32_e64 s0, s2, v3
	s_and_saveexec_b32 s1, s0
	s_cbranch_execz .LBB37_7
; %bb.6:
	global_load_u8 v6, v[1:2], off offset:1024
.LBB37_7:
	s_or_b32 exec_lo, exec_lo, s1
	v_or_b32_e32 v3, 0x800, v0
	s_delay_alu instid0(VALU_DEP_1) | instskip(NEXT) | instid1(VALU_DEP_1)
	v_cmp_gt_u32_e64 s1, s2, v3
                                        ; implicit-def: $vgpr3
	s_and_saveexec_b32 s5, s1
	s_cbranch_execz .LBB37_9
; %bb.8:
	global_load_u8 v3, v[1:2], off offset:2048
.LBB37_9:
	s_or_b32 exec_lo, exec_lo, s5
	v_or_b32_e32 v5, 0xc00, v0
	s_delay_alu instid0(VALU_DEP_1) | instskip(NEXT) | instid1(VALU_DEP_1)
	v_cmp_gt_u32_e64 s2, s2, v5
                                        ; implicit-def: $vgpr5
	s_and_saveexec_b32 s5, s2
	s_cbranch_execz .LBB37_11
; %bb.10:
	global_load_u8 v5, v[1:2], off offset:3072
.LBB37_11:
	s_or_b32 exec_lo, exec_lo, s5
	v_and_b32_e32 v1, 0xff, v4
	s_waitcnt vmcnt(0)
	v_lshlrev_b16 v2, 8, v6
	v_and_b32_e32 v4, 0xff, v3
	v_lshlrev_b16 v6, 8, v5
	s_add_u32 s5, s8, s3
	s_addc_u32 s6, s9, 0
	v_or_b32_e32 v1, v1, v2
	s_delay_alu instid0(VALU_DEP_2) | instskip(NEXT) | instid1(VALU_DEP_2)
	v_or_b32_e32 v2, v4, v6
	v_and_b32_e32 v1, 0xffff, v1
	s_delay_alu instid0(VALU_DEP_2) | instskip(NEXT) | instid1(VALU_DEP_1)
	v_lshlrev_b32_e32 v2, 16, v2
	v_or_b32_e32 v4, v1, v2
	v_add_co_u32 v1, s5, s5, v0
	s_delay_alu instid0(VALU_DEP_1)
	v_add_co_ci_u32_e64 v2, null, s6, 0, s5
	s_and_saveexec_b32 s5, vcc_lo
	s_cbranch_execnz .LBB37_20
; %bb.12:
	s_or_b32 exec_lo, exec_lo, s5
	s_and_saveexec_b32 s5, s0
	s_cbranch_execnz .LBB37_21
.LBB37_13:
	s_or_b32 exec_lo, exec_lo, s5
	v_perm_b32 v4, v4, v4, 0x7060104
	s_and_saveexec_b32 s0, s1
	s_cbranch_execnz .LBB37_22
.LBB37_14:
	s_or_b32 exec_lo, exec_lo, s0
                                        ; implicit-def: $vgpr3
	s_and_saveexec_b32 s0, s2
.LBB37_15:
	v_lshlrev_b32_e32 v1, 24, v5
	s_or_b32 s4, s4, exec_lo
	s_delay_alu instid0(VALU_DEP_1) | instskip(NEXT) | instid1(VALU_DEP_1)
	v_cndmask_b32_e64 v1, v4, v1, s2
	v_lshrrev_b32_e32 v3, 24, v1
.LBB37_16:
	s_or_b32 exec_lo, exec_lo, s0
.LBB37_17:
	s_and_saveexec_b32 s0, s4
	s_cbranch_execnz .LBB37_19
; %bb.18:
	s_nop 0
	s_sendmsg sendmsg(MSG_DEALLOC_VGPRS)
	s_endpgm
.LBB37_19:
	s_add_u32 s0, s8, s3
	s_addc_u32 s1, s9, 0
	v_add_co_u32 v0, s0, s0, v0
	s_delay_alu instid0(VALU_DEP_1)
	v_add_co_ci_u32_e64 v1, null, s1, 0, s0
	s_waitcnt vmcnt(0)
	global_store_b8 v[0:1], v3, off offset:3072
	s_nop 0
	s_sendmsg sendmsg(MSG_DEALLOC_VGPRS)
	s_endpgm
.LBB37_20:
	global_store_b8 v[1:2], v4, off
	s_or_b32 exec_lo, exec_lo, s5
	s_and_saveexec_b32 s5, s0
	s_cbranch_execz .LBB37_13
.LBB37_21:
	v_lshrrev_b32_e32 v6, 8, v4
	global_store_b8 v[1:2], v6, off offset:1024
	s_or_b32 exec_lo, exec_lo, s5
	v_perm_b32 v4, v4, v4, 0x7060104
	s_and_saveexec_b32 s0, s1
	s_cbranch_execz .LBB37_14
.LBB37_22:
	v_lshlrev_b32_e32 v3, 16, v3
	s_delay_alu instid0(VALU_DEP_1)
	v_cndmask_b32_e64 v3, v4, v3, s1
	global_store_d16_hi_b8 v[1:2], v3, off offset:2048
	s_or_b32 exec_lo, exec_lo, s0
                                        ; implicit-def: $vgpr3
	s_and_saveexec_b32 s0, s2
	s_cbranch_execnz .LBB37_15
	s_branch .LBB37_16
	.section	.rodata,"a",@progbits
	.p2align	6, 0x0
	.amdhsa_kernel _ZN7rocprim17ROCPRIM_304000_NS6detail16transform_kernelINS1_24wrapped_transform_configINS0_14default_configEaEEaPKaPaNS0_8identityIaEEEEvT1_mT2_T3_
		.amdhsa_group_segment_fixed_size 0
		.amdhsa_private_segment_fixed_size 0
		.amdhsa_kernarg_size 288
		.amdhsa_user_sgpr_count 15
		.amdhsa_user_sgpr_dispatch_ptr 0
		.amdhsa_user_sgpr_queue_ptr 0
		.amdhsa_user_sgpr_kernarg_segment_ptr 1
		.amdhsa_user_sgpr_dispatch_id 0
		.amdhsa_user_sgpr_private_segment_size 0
		.amdhsa_wavefront_size32 1
		.amdhsa_uses_dynamic_stack 0
		.amdhsa_enable_private_segment 0
		.amdhsa_system_sgpr_workgroup_id_x 1
		.amdhsa_system_sgpr_workgroup_id_y 0
		.amdhsa_system_sgpr_workgroup_id_z 0
		.amdhsa_system_sgpr_workgroup_info 0
		.amdhsa_system_vgpr_workitem_id 0
		.amdhsa_next_free_vgpr 9
		.amdhsa_next_free_sgpr 16
		.amdhsa_reserve_vcc 1
		.amdhsa_float_round_mode_32 0
		.amdhsa_float_round_mode_16_64 0
		.amdhsa_float_denorm_mode_32 3
		.amdhsa_float_denorm_mode_16_64 3
		.amdhsa_dx10_clamp 1
		.amdhsa_ieee_mode 1
		.amdhsa_fp16_overflow 0
		.amdhsa_workgroup_processor_mode 1
		.amdhsa_memory_ordered 1
		.amdhsa_forward_progress 0
		.amdhsa_shared_vgpr_count 0
		.amdhsa_exception_fp_ieee_invalid_op 0
		.amdhsa_exception_fp_denorm_src 0
		.amdhsa_exception_fp_ieee_div_zero 0
		.amdhsa_exception_fp_ieee_overflow 0
		.amdhsa_exception_fp_ieee_underflow 0
		.amdhsa_exception_fp_ieee_inexact 0
		.amdhsa_exception_int_div_zero 0
	.end_amdhsa_kernel
	.section	.text._ZN7rocprim17ROCPRIM_304000_NS6detail16transform_kernelINS1_24wrapped_transform_configINS0_14default_configEaEEaPKaPaNS0_8identityIaEEEEvT1_mT2_T3_,"axG",@progbits,_ZN7rocprim17ROCPRIM_304000_NS6detail16transform_kernelINS1_24wrapped_transform_configINS0_14default_configEaEEaPKaPaNS0_8identityIaEEEEvT1_mT2_T3_,comdat
.Lfunc_end37:
	.size	_ZN7rocprim17ROCPRIM_304000_NS6detail16transform_kernelINS1_24wrapped_transform_configINS0_14default_configEaEEaPKaPaNS0_8identityIaEEEEvT1_mT2_T3_, .Lfunc_end37-_ZN7rocprim17ROCPRIM_304000_NS6detail16transform_kernelINS1_24wrapped_transform_configINS0_14default_configEaEEaPKaPaNS0_8identityIaEEEEvT1_mT2_T3_
                                        ; -- End function
	.section	.AMDGPU.csdata,"",@progbits
; Kernel info:
; codeLenInByte = 704
; NumSgprs: 18
; NumVgprs: 9
; ScratchSize: 0
; MemoryBound: 0
; FloatMode: 240
; IeeeMode: 1
; LDSByteSize: 0 bytes/workgroup (compile time only)
; SGPRBlocks: 2
; VGPRBlocks: 1
; NumSGPRsForWavesPerEU: 18
; NumVGPRsForWavesPerEU: 9
; Occupancy: 16
; WaveLimiterHint : 1
; COMPUTE_PGM_RSRC2:SCRATCH_EN: 0
; COMPUTE_PGM_RSRC2:USER_SGPR: 15
; COMPUTE_PGM_RSRC2:TRAP_HANDLER: 0
; COMPUTE_PGM_RSRC2:TGID_X_EN: 1
; COMPUTE_PGM_RSRC2:TGID_Y_EN: 0
; COMPUTE_PGM_RSRC2:TGID_Z_EN: 0
; COMPUTE_PGM_RSRC2:TIDIG_COMP_CNT: 0
	.section	.text._ZN7rocprim17ROCPRIM_304000_NS6detail25onesweep_iteration_kernelINS1_34wrapped_radix_sort_onesweep_configINS0_14default_configEaN2at4cuda3cub6detail10OpaqueTypeILi8EEEEELb1EPKaPaPKSA_PSA_mNS0_19identity_decomposerEEEvT1_T2_T3_T4_jPT5_SO_PNS1_23onesweep_lookback_stateET6_jjj,"axG",@progbits,_ZN7rocprim17ROCPRIM_304000_NS6detail25onesweep_iteration_kernelINS1_34wrapped_radix_sort_onesweep_configINS0_14default_configEaN2at4cuda3cub6detail10OpaqueTypeILi8EEEEELb1EPKaPaPKSA_PSA_mNS0_19identity_decomposerEEEvT1_T2_T3_T4_jPT5_SO_PNS1_23onesweep_lookback_stateET6_jjj,comdat
	.protected	_ZN7rocprim17ROCPRIM_304000_NS6detail25onesweep_iteration_kernelINS1_34wrapped_radix_sort_onesweep_configINS0_14default_configEaN2at4cuda3cub6detail10OpaqueTypeILi8EEEEELb1EPKaPaPKSA_PSA_mNS0_19identity_decomposerEEEvT1_T2_T3_T4_jPT5_SO_PNS1_23onesweep_lookback_stateET6_jjj ; -- Begin function _ZN7rocprim17ROCPRIM_304000_NS6detail25onesweep_iteration_kernelINS1_34wrapped_radix_sort_onesweep_configINS0_14default_configEaN2at4cuda3cub6detail10OpaqueTypeILi8EEEEELb1EPKaPaPKSA_PSA_mNS0_19identity_decomposerEEEvT1_T2_T3_T4_jPT5_SO_PNS1_23onesweep_lookback_stateET6_jjj
	.globl	_ZN7rocprim17ROCPRIM_304000_NS6detail25onesweep_iteration_kernelINS1_34wrapped_radix_sort_onesweep_configINS0_14default_configEaN2at4cuda3cub6detail10OpaqueTypeILi8EEEEELb1EPKaPaPKSA_PSA_mNS0_19identity_decomposerEEEvT1_T2_T3_T4_jPT5_SO_PNS1_23onesweep_lookback_stateET6_jjj
	.p2align	8
	.type	_ZN7rocprim17ROCPRIM_304000_NS6detail25onesweep_iteration_kernelINS1_34wrapped_radix_sort_onesweep_configINS0_14default_configEaN2at4cuda3cub6detail10OpaqueTypeILi8EEEEELb1EPKaPaPKSA_PSA_mNS0_19identity_decomposerEEEvT1_T2_T3_T4_jPT5_SO_PNS1_23onesweep_lookback_stateET6_jjj,@function
_ZN7rocprim17ROCPRIM_304000_NS6detail25onesweep_iteration_kernelINS1_34wrapped_radix_sort_onesweep_configINS0_14default_configEaN2at4cuda3cub6detail10OpaqueTypeILi8EEEEELb1EPKaPaPKSA_PSA_mNS0_19identity_decomposerEEEvT1_T2_T3_T4_jPT5_SO_PNS1_23onesweep_lookback_stateET6_jjj: ; @_ZN7rocprim17ROCPRIM_304000_NS6detail25onesweep_iteration_kernelINS1_34wrapped_radix_sort_onesweep_configINS0_14default_configEaN2at4cuda3cub6detail10OpaqueTypeILi8EEEEELb1EPKaPaPKSA_PSA_mNS0_19identity_decomposerEEEvT1_T2_T3_T4_jPT5_SO_PNS1_23onesweep_lookback_stateET6_jjj
; %bb.0:
	s_clause 0x3
	s_load_b128 s[60:63], s[0:1], 0x44
	s_load_b256 s[48:55], s[0:1], 0x0
	s_load_b128 s[56:59], s[0:1], 0x28
	s_load_b64 s[66:67], s[0:1], 0x38
	v_and_b32_e32 v1, 0x3ff, v0
	v_mbcnt_lo_u32_b32 v51, -1, 0
	s_waitcnt lgkmcnt(0)
	s_mov_b32 s63, s15
	s_mul_i32 s64, s15, 0x1600
	s_cmp_ge_u32 s15, s62
	s_cbranch_scc0 .LBB38_218
; %bb.1:
	s_load_b32 s2, s[0:1], 0x20
	v_and_b32_e32 v11, 0xe0, v1
	s_mul_i32 s47, s62, 0xffffea00
	v_dual_mov_b32 v13, 0x80 :: v_dual_mov_b32 v12, 0x80
	s_mov_b32 s65, 0
	s_delay_alu instid0(VALU_DEP_2) | instskip(NEXT) | instid1(VALU_DEP_1)
	v_mul_u32_u24_e32 v10, 22, v11
	v_or_b32_e32 v14, v51, v10
	s_waitcnt lgkmcnt(0)
	s_add_i32 s47, s47, s2
	s_add_u32 s2, s48, s64
	s_addc_u32 s3, s49, 0
	v_add_co_u32 v2, s2, s2, v51
	s_delay_alu instid0(VALU_DEP_1) | instskip(SKIP_1) | instid1(VALU_DEP_3)
	v_add_co_ci_u32_e64 v3, null, s3, 0, s2
	v_cmp_gt_u32_e32 vcc_lo, s47, v14
	v_add_co_u32 v2, s2, v2, v10
	s_delay_alu instid0(VALU_DEP_1)
	v_add_co_ci_u32_e64 v3, s2, 0, v3, s2
	s_and_saveexec_b32 s2, vcc_lo
	s_cbranch_execz .LBB38_3
; %bb.2:
	global_load_u8 v12, v[2:3], off
.LBB38_3:
	s_or_b32 exec_lo, exec_lo, s2
	v_add_nc_u32_e32 v4, 32, v14
	s_delay_alu instid0(VALU_DEP_1) | instskip(NEXT) | instid1(VALU_DEP_1)
	v_cmp_gt_u32_e64 s2, s47, v4
	s_and_saveexec_b32 s3, s2
	s_cbranch_execz .LBB38_5
; %bb.4:
	global_load_u8 v13, v[2:3], off offset:32
.LBB38_5:
	s_or_b32 exec_lo, exec_lo, s3
	v_dual_mov_b32 v21, 0x80 :: v_dual_add_nc_u32 v4, 64, v14
	v_mov_b32_e32 v17, 0x80
	s_delay_alu instid0(VALU_DEP_2) | instskip(NEXT) | instid1(VALU_DEP_1)
	v_cmp_gt_u32_e64 s3, s47, v4
	s_and_saveexec_b32 s4, s3
	s_cbranch_execz .LBB38_7
; %bb.6:
	global_load_u8 v17, v[2:3], off offset:64
.LBB38_7:
	s_or_b32 exec_lo, exec_lo, s4
	v_add_nc_u32_e32 v4, 0x60, v14
	s_delay_alu instid0(VALU_DEP_1) | instskip(NEXT) | instid1(VALU_DEP_1)
	v_cmp_gt_u32_e64 s4, s47, v4
	s_and_saveexec_b32 s5, s4
	s_cbranch_execz .LBB38_9
; %bb.8:
	global_load_u8 v21, v[2:3], off offset:96
.LBB38_9:
	s_or_b32 exec_lo, exec_lo, s5
	v_dual_mov_b32 v29, 0x80 :: v_dual_add_nc_u32 v4, 0x80, v14
	v_mov_b32_e32 v25, 0x80
	s_delay_alu instid0(VALU_DEP_2) | instskip(NEXT) | instid1(VALU_DEP_1)
	v_cmp_gt_u32_e64 s5, s47, v4
	s_and_saveexec_b32 s6, s5
	s_cbranch_execz .LBB38_11
; %bb.10:
	global_load_u8 v25, v[2:3], off offset:128
.LBB38_11:
	s_or_b32 exec_lo, exec_lo, s6
	v_add_nc_u32_e32 v4, 0xa0, v14
	s_delay_alu instid0(VALU_DEP_1) | instskip(NEXT) | instid1(VALU_DEP_1)
	v_cmp_gt_u32_e64 s6, s47, v4
	s_and_saveexec_b32 s7, s6
	s_cbranch_execz .LBB38_13
; %bb.12:
	global_load_u8 v29, v[2:3], off offset:160
.LBB38_13:
	s_or_b32 exec_lo, exec_lo, s7
	v_add_nc_u32_e32 v4, 0xc0, v14
	v_mov_b32_e32 v37, 0x80
	v_mov_b32_e32 v33, 0x80
	s_delay_alu instid0(VALU_DEP_3) | instskip(NEXT) | instid1(VALU_DEP_1)
	v_cmp_gt_u32_e64 s7, s47, v4
	s_and_saveexec_b32 s8, s7
	s_cbranch_execz .LBB38_15
; %bb.14:
	global_load_u8 v33, v[2:3], off offset:192
.LBB38_15:
	s_or_b32 exec_lo, exec_lo, s8
	v_add_nc_u32_e32 v4, 0xe0, v14
	s_delay_alu instid0(VALU_DEP_1) | instskip(NEXT) | instid1(VALU_DEP_1)
	v_cmp_gt_u32_e64 s8, s47, v4
	s_and_saveexec_b32 s9, s8
	s_cbranch_execz .LBB38_17
; %bb.16:
	global_load_u8 v37, v[2:3], off offset:224
.LBB38_17:
	s_or_b32 exec_lo, exec_lo, s9
	v_add_nc_u32_e32 v4, 0x100, v14
	v_dual_mov_b32 v47, 0x80 :: v_dual_mov_b32 v42, 0x80
	s_delay_alu instid0(VALU_DEP_2) | instskip(NEXT) | instid1(VALU_DEP_1)
	v_cmp_gt_u32_e64 s9, s47, v4
	s_and_saveexec_b32 s10, s9
	s_cbranch_execz .LBB38_19
; %bb.18:
	global_load_u8 v42, v[2:3], off offset:256
.LBB38_19:
	s_or_b32 exec_lo, exec_lo, s10
	v_add_nc_u32_e32 v4, 0x120, v14
	s_delay_alu instid0(VALU_DEP_1) | instskip(NEXT) | instid1(VALU_DEP_1)
	v_cmp_gt_u32_e64 s10, s47, v4
	s_and_saveexec_b32 s11, s10
	s_cbranch_execz .LBB38_21
; %bb.20:
	global_load_u8 v47, v[2:3], off offset:288
.LBB38_21:
	s_or_b32 exec_lo, exec_lo, s11
	v_add_nc_u32_e32 v4, 0x140, v14
	v_dual_mov_b32 v58, 0x80 :: v_dual_mov_b32 v53, 0x80
	s_delay_alu instid0(VALU_DEP_2) | instskip(NEXT) | instid1(VALU_DEP_1)
	v_cmp_gt_u32_e64 s11, s47, v4
	s_and_saveexec_b32 s12, s11
	s_cbranch_execz .LBB38_23
; %bb.22:
	global_load_u8 v53, v[2:3], off offset:320
.LBB38_23:
	s_or_b32 exec_lo, exec_lo, s12
	v_add_nc_u32_e32 v4, 0x160, v14
	s_delay_alu instid0(VALU_DEP_1) | instskip(NEXT) | instid1(VALU_DEP_1)
	v_cmp_gt_u32_e64 s12, s47, v4
	s_and_saveexec_b32 s13, s12
	s_cbranch_execz .LBB38_25
; %bb.24:
	global_load_u8 v58, v[2:3], off offset:352
.LBB38_25:
	s_or_b32 exec_lo, exec_lo, s13
	v_add_nc_u32_e32 v4, 0x180, v14
	v_mov_b32_e32 v50, 0x80
	v_mov_b32_e32 v56, 0x80
	s_delay_alu instid0(VALU_DEP_3) | instskip(NEXT) | instid1(VALU_DEP_1)
	v_cmp_gt_u32_e64 s13, s47, v4
	s_and_saveexec_b32 s14, s13
	s_cbranch_execz .LBB38_27
; %bb.26:
	global_load_u8 v56, v[2:3], off offset:384
.LBB38_27:
	s_or_b32 exec_lo, exec_lo, s14
	v_add_nc_u32_e32 v4, 0x1a0, v14
	s_delay_alu instid0(VALU_DEP_1) | instskip(NEXT) | instid1(VALU_DEP_1)
	v_cmp_gt_u32_e64 s14, s47, v4
	s_and_saveexec_b32 s16, s14
	s_cbranch_execz .LBB38_29
; %bb.28:
	global_load_u8 v50, v[2:3], off offset:416
.LBB38_29:
	s_or_b32 exec_lo, exec_lo, s16
	v_add_nc_u32_e32 v4, 0x1c0, v14
	v_dual_mov_b32 v41, 0x80 :: v_dual_mov_b32 v46, 0x80
	s_delay_alu instid0(VALU_DEP_2) | instskip(NEXT) | instid1(VALU_DEP_1)
	v_cmp_gt_u32_e64 s16, s47, v4
	s_and_saveexec_b32 s17, s16
	s_cbranch_execz .LBB38_31
; %bb.30:
	global_load_u8 v46, v[2:3], off offset:448
.LBB38_31:
	s_or_b32 exec_lo, exec_lo, s17
	v_add_nc_u32_e32 v4, 0x1e0, v14
	s_delay_alu instid0(VALU_DEP_1) | instskip(NEXT) | instid1(VALU_DEP_1)
	v_cmp_gt_u32_e64 s18, s47, v4
	s_and_saveexec_b32 s17, s18
	s_cbranch_execz .LBB38_33
; %bb.32:
	global_load_u8 v41, v[2:3], off offset:480
.LBB38_33:
	s_or_b32 exec_lo, exec_lo, s17
	v_add_nc_u32_e32 v4, 0x200, v14
	v_dual_mov_b32 v8, 0x80 :: v_dual_mov_b32 v9, 0x80
	s_delay_alu instid0(VALU_DEP_2) | instskip(NEXT) | instid1(VALU_DEP_1)
	;; [unrolled: 19-line block ×3, first 2 shown]
	v_cmp_gt_u32_e64 s22, s47, v4
	s_and_saveexec_b32 s17, s22
	s_cbranch_execz .LBB38_39
; %bb.38:
	global_load_u8 v7, v[2:3], off offset:576
.LBB38_39:
	s_or_b32 exec_lo, exec_lo, s17
	v_add_nc_u32_e32 v4, 0x260, v14
	s_delay_alu instid0(VALU_DEP_1) | instskip(NEXT) | instid1(VALU_DEP_1)
	v_cmp_gt_u32_e64 s19, s47, v4
	s_and_saveexec_b32 s17, s19
	s_cbranch_execz .LBB38_41
; %bb.40:
	global_load_u8 v6, v[2:3], off offset:608
.LBB38_41:
	s_or_b32 exec_lo, exec_lo, s17
	v_add_nc_u32_e32 v5, 0x280, v14
	v_mov_b32_e32 v4, 0x80
	s_delay_alu instid0(VALU_DEP_2) | instskip(SKIP_1) | instid1(VALU_DEP_2)
	v_cmp_gt_u32_e64 s20, s47, v5
	v_mov_b32_e32 v5, 0x80
	s_and_saveexec_b32 s17, s20
	s_cbranch_execz .LBB38_43
; %bb.42:
	global_load_u8 v5, v[2:3], off offset:640
.LBB38_43:
	s_or_b32 exec_lo, exec_lo, s17
	v_add_nc_u32_e32 v14, 0x2a0, v14
	s_delay_alu instid0(VALU_DEP_1) | instskip(NEXT) | instid1(VALU_DEP_1)
	v_cmp_gt_u32_e64 s17, s47, v14
	s_and_saveexec_b32 s24, s17
	s_cbranch_execz .LBB38_45
; %bb.44:
	global_load_u8 v4, v[2:3], off offset:672
.LBB38_45:
	s_or_b32 exec_lo, exec_lo, s24
	s_clause 0x1
	s_load_b32 s24, s[0:1], 0x5c
	s_load_b32 s62, s[0:1], 0x50
	s_add_u32 s25, s0, 0x50
	s_addc_u32 s26, s1, 0
	v_mov_b32_e32 v16, 0
	s_waitcnt vmcnt(0)
	v_xor_b32_e32 v12, 0x7f, v12
	s_delay_alu instid0(VALU_DEP_1) | instskip(NEXT) | instid1(VALU_DEP_1)
	v_and_b32_e32 v2, 0xff, v12
	v_lshrrev_b32_e32 v2, s60, v2
	s_waitcnt lgkmcnt(0)
	s_lshr_b32 s27, s24, 16
	s_cmp_lt_u32 s15, s62
	s_cselect_b32 s24, 12, 18
	s_delay_alu instid0(SALU_CYCLE_1) | instskip(SKIP_3) | instid1(SALU_CYCLE_1)
	s_add_u32 s24, s25, s24
	s_addc_u32 s25, s26, 0
	global_load_u16 v14, v16, s[24:25]
	s_lshl_b32 s24, -1, s61
	s_not_b32 s68, s24
	s_delay_alu instid0(SALU_CYCLE_1) | instskip(SKIP_1) | instid1(VALU_DEP_2)
	v_and_b32_e32 v18, s68, v2
	v_bfe_u32 v2, v0, 10, 10
	v_and_b32_e32 v3, 1, v18
	v_lshlrev_b32_e32 v15, 30, v18
	v_lshlrev_b32_e32 v19, 29, v18
	;; [unrolled: 1-line block ×4, first 2 shown]
	v_add_co_u32 v3, s24, v3, -1
	s_delay_alu instid0(VALU_DEP_1)
	v_cndmask_b32_e64 v22, 0, 1, s24
	v_not_b32_e32 v27, v15
	v_cmp_gt_i32_e64 s25, 0, v15
	v_not_b32_e32 v15, v19
	v_lshlrev_b32_e32 v24, 26, v18
	v_cmp_ne_u32_e64 s24, 0, v22
	v_ashrrev_i32_e32 v27, 31, v27
	v_lshlrev_b32_e32 v26, 25, v18
	v_ashrrev_i32_e32 v15, 31, v15
	v_lshlrev_b32_e32 v22, 24, v18
	v_xor_b32_e32 v3, s24, v3
	v_cmp_gt_i32_e64 s24, 0, v19
	v_not_b32_e32 v19, v20
	v_xor_b32_e32 v27, s25, v27
	v_cmp_gt_i32_e64 s25, 0, v20
	v_and_b32_e32 v3, exec_lo, v3
	v_not_b32_e32 v20, v23
	v_ashrrev_i32_e32 v19, 31, v19
	v_xor_b32_e32 v15, s24, v15
	v_cmp_gt_i32_e64 s24, 0, v23
	v_and_b32_e32 v3, v3, v27
	v_not_b32_e32 v23, v24
	v_ashrrev_i32_e32 v20, 31, v20
	v_xor_b32_e32 v19, s25, v19
	v_cmp_gt_i32_e64 s25, 0, v24
	v_and_b32_e32 v3, v3, v15
	;; [unrolled: 5-line block ×4, first 2 shown]
	v_bfe_u32 v20, v0, 20, 10
	v_ashrrev_i32_e32 v19, 31, v19
	v_xor_b32_e32 v15, s24, v15
	v_mul_u32_u24_e32 v22, 9, v1
	v_and_b32_e32 v3, v3, v23
	v_mad_u32_u24 v20, v20, s27, v2
	v_xor_b32_e32 v19, s25, v19
	s_delay_alu instid0(VALU_DEP_3)
	v_and_b32_e32 v23, v3, v15
	v_lshlrev_b32_e32 v15, 2, v22
	ds_store_2addr_b32 v15, v16, v16 offset0:8 offset1:9
	ds_store_2addr_b32 v15, v16, v16 offset0:10 offset1:11
	;; [unrolled: 1-line block ×4, first 2 shown]
	ds_store_b32 v15, v16 offset:64
	v_mul_u32_u24_e32 v16, 9, v18
	s_waitcnt vmcnt(0) lgkmcnt(0)
	s_barrier
	buffer_gl0_inv
	; wave barrier
	v_mad_u64_u32 v[2:3], null, v20, v14, v[1:2]
	v_and_b32_e32 v3, v23, v19
	s_delay_alu instid0(VALU_DEP_1) | instskip(NEXT) | instid1(VALU_DEP_3)
	v_mbcnt_lo_u32_b32 v14, v3, 0
	v_lshrrev_b32_e32 v2, 5, v2
	v_cmp_ne_u32_e64 s25, 0, v3
	s_delay_alu instid0(VALU_DEP_3) | instskip(NEXT) | instid1(VALU_DEP_3)
	v_cmp_eq_u32_e64 s24, 0, v14
	v_add_lshl_u32 v16, v2, v16, 2
	s_delay_alu instid0(VALU_DEP_2) | instskip(NEXT) | instid1(SALU_CYCLE_1)
	s_and_b32 s25, s25, s24
	s_and_saveexec_b32 s24, s25
	s_cbranch_execz .LBB38_47
; %bb.46:
	v_bcnt_u32_b32 v3, v3, 0
	ds_store_b32 v16, v3 offset:32
.LBB38_47:
	s_or_b32 exec_lo, exec_lo, s24
	v_xor_b32_e32 v13, 0x7f, v13
	; wave barrier
	s_delay_alu instid0(VALU_DEP_1) | instskip(NEXT) | instid1(VALU_DEP_1)
	v_and_b32_e32 v3, 0xff, v13
	v_lshrrev_b32_e32 v3, s60, v3
	s_delay_alu instid0(VALU_DEP_1) | instskip(NEXT) | instid1(VALU_DEP_1)
	v_and_b32_e32 v3, s68, v3
	v_and_b32_e32 v18, 1, v3
	v_lshlrev_b32_e32 v19, 30, v3
	v_lshlrev_b32_e32 v20, 29, v3
	;; [unrolled: 1-line block ×4, first 2 shown]
	v_add_co_u32 v18, s24, v18, -1
	s_delay_alu instid0(VALU_DEP_1)
	v_cndmask_b32_e64 v23, 0, 1, s24
	v_not_b32_e32 v28, v19
	v_cmp_gt_i32_e64 s25, 0, v19
	v_not_b32_e32 v19, v20
	v_lshlrev_b32_e32 v26, 26, v3
	v_cmp_ne_u32_e64 s24, 0, v23
	v_ashrrev_i32_e32 v28, 31, v28
	v_lshlrev_b32_e32 v27, 25, v3
	v_ashrrev_i32_e32 v19, 31, v19
	v_lshlrev_b32_e32 v23, 24, v3
	v_xor_b32_e32 v18, s24, v18
	v_cmp_gt_i32_e64 s24, 0, v20
	v_not_b32_e32 v20, v22
	v_xor_b32_e32 v28, s25, v28
	v_cmp_gt_i32_e64 s25, 0, v22
	v_and_b32_e32 v18, exec_lo, v18
	v_not_b32_e32 v22, v24
	v_ashrrev_i32_e32 v20, 31, v20
	v_xor_b32_e32 v19, s24, v19
	v_cmp_gt_i32_e64 s24, 0, v24
	v_and_b32_e32 v18, v18, v28
	v_not_b32_e32 v24, v26
	v_ashrrev_i32_e32 v22, 31, v22
	v_xor_b32_e32 v20, s25, v20
	v_cmp_gt_i32_e64 s25, 0, v26
	v_and_b32_e32 v18, v18, v19
	v_not_b32_e32 v19, v27
	v_ashrrev_i32_e32 v24, 31, v24
	v_xor_b32_e32 v22, s24, v22
	v_cmp_gt_i32_e64 s24, 0, v27
	v_and_b32_e32 v18, v18, v20
	v_not_b32_e32 v20, v23
	v_ashrrev_i32_e32 v19, 31, v19
	v_xor_b32_e32 v24, s25, v24
	v_mul_u32_u24_e32 v3, 9, v3
	v_and_b32_e32 v18, v18, v22
	v_cmp_gt_i32_e64 s25, 0, v23
	v_ashrrev_i32_e32 v22, 31, v20
	v_xor_b32_e32 v19, s24, v19
	v_add_lshl_u32 v20, v2, v3, 2
	v_and_b32_e32 v18, v18, v24
	s_delay_alu instid0(VALU_DEP_4) | instskip(NEXT) | instid1(VALU_DEP_2)
	v_xor_b32_e32 v3, s25, v22
	v_and_b32_e32 v19, v18, v19
	ds_load_b32 v18, v20 offset:32
	; wave barrier
	v_and_b32_e32 v3, v19, v3
	s_delay_alu instid0(VALU_DEP_1) | instskip(SKIP_1) | instid1(VALU_DEP_2)
	v_mbcnt_lo_u32_b32 v19, v3, 0
	v_cmp_ne_u32_e64 s25, 0, v3
	v_cmp_eq_u32_e64 s24, 0, v19
	s_delay_alu instid0(VALU_DEP_1) | instskip(NEXT) | instid1(SALU_CYCLE_1)
	s_and_b32 s25, s25, s24
	s_and_saveexec_b32 s24, s25
	s_cbranch_execz .LBB38_49
; %bb.48:
	s_waitcnt lgkmcnt(0)
	v_bcnt_u32_b32 v3, v3, v18
	ds_store_b32 v20, v3 offset:32
.LBB38_49:
	s_or_b32 exec_lo, exec_lo, s24
	v_xor_b32_e32 v17, 0x7f, v17
	; wave barrier
	s_delay_alu instid0(VALU_DEP_1) | instskip(NEXT) | instid1(VALU_DEP_1)
	v_and_b32_e32 v3, 0xff, v17
	v_lshrrev_b32_e32 v3, s60, v3
	s_delay_alu instid0(VALU_DEP_1) | instskip(NEXT) | instid1(VALU_DEP_1)
	v_and_b32_e32 v3, s68, v3
	v_and_b32_e32 v22, 1, v3
	v_lshlrev_b32_e32 v23, 30, v3
	v_lshlrev_b32_e32 v24, 29, v3
	;; [unrolled: 1-line block ×4, first 2 shown]
	v_add_co_u32 v22, s24, v22, -1
	s_delay_alu instid0(VALU_DEP_1)
	v_cndmask_b32_e64 v27, 0, 1, s24
	v_not_b32_e32 v32, v23
	v_cmp_gt_i32_e64 s25, 0, v23
	v_not_b32_e32 v23, v24
	v_lshlrev_b32_e32 v30, 26, v3
	v_cmp_ne_u32_e64 s24, 0, v27
	v_ashrrev_i32_e32 v32, 31, v32
	v_lshlrev_b32_e32 v31, 25, v3
	v_ashrrev_i32_e32 v23, 31, v23
	v_lshlrev_b32_e32 v27, 24, v3
	v_xor_b32_e32 v22, s24, v22
	v_cmp_gt_i32_e64 s24, 0, v24
	v_not_b32_e32 v24, v26
	v_xor_b32_e32 v32, s25, v32
	v_cmp_gt_i32_e64 s25, 0, v26
	v_and_b32_e32 v22, exec_lo, v22
	v_not_b32_e32 v26, v28
	v_ashrrev_i32_e32 v24, 31, v24
	v_xor_b32_e32 v23, s24, v23
	v_cmp_gt_i32_e64 s24, 0, v28
	v_and_b32_e32 v22, v22, v32
	v_not_b32_e32 v28, v30
	v_ashrrev_i32_e32 v26, 31, v26
	v_xor_b32_e32 v24, s25, v24
	v_cmp_gt_i32_e64 s25, 0, v30
	v_and_b32_e32 v22, v22, v23
	;; [unrolled: 5-line block ×3, first 2 shown]
	v_not_b32_e32 v24, v27
	v_ashrrev_i32_e32 v23, 31, v23
	v_xor_b32_e32 v28, s25, v28
	v_mul_u32_u24_e32 v3, 9, v3
	v_and_b32_e32 v22, v22, v26
	v_cmp_gt_i32_e64 s25, 0, v27
	v_ashrrev_i32_e32 v26, 31, v24
	v_xor_b32_e32 v23, s24, v23
	v_add_lshl_u32 v24, v2, v3, 2
	v_and_b32_e32 v22, v22, v28
	s_delay_alu instid0(VALU_DEP_4) | instskip(NEXT) | instid1(VALU_DEP_2)
	v_xor_b32_e32 v3, s25, v26
	v_and_b32_e32 v23, v22, v23
	ds_load_b32 v22, v24 offset:32
	; wave barrier
	v_and_b32_e32 v3, v23, v3
	s_delay_alu instid0(VALU_DEP_1) | instskip(SKIP_1) | instid1(VALU_DEP_2)
	v_mbcnt_lo_u32_b32 v23, v3, 0
	v_cmp_ne_u32_e64 s25, 0, v3
	v_cmp_eq_u32_e64 s24, 0, v23
	s_delay_alu instid0(VALU_DEP_1) | instskip(NEXT) | instid1(SALU_CYCLE_1)
	s_and_b32 s25, s25, s24
	s_and_saveexec_b32 s24, s25
	s_cbranch_execz .LBB38_51
; %bb.50:
	s_waitcnt lgkmcnt(0)
	v_bcnt_u32_b32 v3, v3, v22
	ds_store_b32 v24, v3 offset:32
.LBB38_51:
	s_or_b32 exec_lo, exec_lo, s24
	v_xor_b32_e32 v21, 0x7f, v21
	; wave barrier
	s_delay_alu instid0(VALU_DEP_1) | instskip(NEXT) | instid1(VALU_DEP_1)
	v_and_b32_e32 v3, 0xff, v21
	v_lshrrev_b32_e32 v3, s60, v3
	s_delay_alu instid0(VALU_DEP_1) | instskip(NEXT) | instid1(VALU_DEP_1)
	v_and_b32_e32 v3, s68, v3
	v_and_b32_e32 v26, 1, v3
	v_lshlrev_b32_e32 v27, 30, v3
	v_lshlrev_b32_e32 v28, 29, v3
	;; [unrolled: 1-line block ×4, first 2 shown]
	v_add_co_u32 v26, s24, v26, -1
	s_delay_alu instid0(VALU_DEP_1)
	v_cndmask_b32_e64 v31, 0, 1, s24
	v_not_b32_e32 v36, v27
	v_cmp_gt_i32_e64 s25, 0, v27
	v_not_b32_e32 v27, v28
	v_lshlrev_b32_e32 v34, 26, v3
	v_cmp_ne_u32_e64 s24, 0, v31
	v_ashrrev_i32_e32 v36, 31, v36
	v_lshlrev_b32_e32 v35, 25, v3
	v_ashrrev_i32_e32 v27, 31, v27
	v_lshlrev_b32_e32 v31, 24, v3
	v_xor_b32_e32 v26, s24, v26
	v_cmp_gt_i32_e64 s24, 0, v28
	v_not_b32_e32 v28, v30
	v_xor_b32_e32 v36, s25, v36
	v_cmp_gt_i32_e64 s25, 0, v30
	v_and_b32_e32 v26, exec_lo, v26
	v_not_b32_e32 v30, v32
	v_ashrrev_i32_e32 v28, 31, v28
	v_xor_b32_e32 v27, s24, v27
	v_cmp_gt_i32_e64 s24, 0, v32
	v_and_b32_e32 v26, v26, v36
	v_not_b32_e32 v32, v34
	v_ashrrev_i32_e32 v30, 31, v30
	v_xor_b32_e32 v28, s25, v28
	v_cmp_gt_i32_e64 s25, 0, v34
	v_and_b32_e32 v26, v26, v27
	;; [unrolled: 5-line block ×3, first 2 shown]
	v_not_b32_e32 v28, v31
	v_ashrrev_i32_e32 v27, 31, v27
	v_xor_b32_e32 v32, s25, v32
	v_mul_u32_u24_e32 v3, 9, v3
	v_and_b32_e32 v26, v26, v30
	v_cmp_gt_i32_e64 s25, 0, v31
	v_ashrrev_i32_e32 v30, 31, v28
	v_xor_b32_e32 v27, s24, v27
	v_add_lshl_u32 v28, v2, v3, 2
	v_and_b32_e32 v26, v26, v32
	s_delay_alu instid0(VALU_DEP_4) | instskip(NEXT) | instid1(VALU_DEP_2)
	v_xor_b32_e32 v3, s25, v30
	v_and_b32_e32 v27, v26, v27
	ds_load_b32 v26, v28 offset:32
	; wave barrier
	v_and_b32_e32 v3, v27, v3
	s_delay_alu instid0(VALU_DEP_1) | instskip(SKIP_1) | instid1(VALU_DEP_2)
	v_mbcnt_lo_u32_b32 v27, v3, 0
	v_cmp_ne_u32_e64 s25, 0, v3
	v_cmp_eq_u32_e64 s24, 0, v27
	s_delay_alu instid0(VALU_DEP_1) | instskip(NEXT) | instid1(SALU_CYCLE_1)
	s_and_b32 s25, s25, s24
	s_and_saveexec_b32 s24, s25
	s_cbranch_execz .LBB38_53
; %bb.52:
	s_waitcnt lgkmcnt(0)
	v_bcnt_u32_b32 v3, v3, v26
	ds_store_b32 v28, v3 offset:32
.LBB38_53:
	s_or_b32 exec_lo, exec_lo, s24
	v_xor_b32_e32 v25, 0x7f, v25
	; wave barrier
	s_delay_alu instid0(VALU_DEP_1) | instskip(NEXT) | instid1(VALU_DEP_1)
	v_and_b32_e32 v3, 0xff, v25
	v_lshrrev_b32_e32 v3, s60, v3
	s_delay_alu instid0(VALU_DEP_1) | instskip(NEXT) | instid1(VALU_DEP_1)
	v_and_b32_e32 v3, s68, v3
	v_and_b32_e32 v30, 1, v3
	v_lshlrev_b32_e32 v31, 30, v3
	v_lshlrev_b32_e32 v32, 29, v3
	;; [unrolled: 1-line block ×4, first 2 shown]
	v_add_co_u32 v30, s24, v30, -1
	s_delay_alu instid0(VALU_DEP_1)
	v_cndmask_b32_e64 v35, 0, 1, s24
	v_not_b32_e32 v40, v31
	v_cmp_gt_i32_e64 s25, 0, v31
	v_not_b32_e32 v31, v32
	v_lshlrev_b32_e32 v38, 26, v3
	v_cmp_ne_u32_e64 s24, 0, v35
	v_ashrrev_i32_e32 v40, 31, v40
	v_lshlrev_b32_e32 v39, 25, v3
	v_ashrrev_i32_e32 v31, 31, v31
	v_lshlrev_b32_e32 v35, 24, v3
	v_xor_b32_e32 v30, s24, v30
	v_cmp_gt_i32_e64 s24, 0, v32
	v_not_b32_e32 v32, v34
	v_xor_b32_e32 v40, s25, v40
	v_cmp_gt_i32_e64 s25, 0, v34
	v_and_b32_e32 v30, exec_lo, v30
	v_not_b32_e32 v34, v36
	v_ashrrev_i32_e32 v32, 31, v32
	v_xor_b32_e32 v31, s24, v31
	v_cmp_gt_i32_e64 s24, 0, v36
	v_and_b32_e32 v30, v30, v40
	v_not_b32_e32 v36, v38
	v_ashrrev_i32_e32 v34, 31, v34
	v_xor_b32_e32 v32, s25, v32
	v_cmp_gt_i32_e64 s25, 0, v38
	v_and_b32_e32 v30, v30, v31
	;; [unrolled: 5-line block ×3, first 2 shown]
	v_not_b32_e32 v32, v35
	v_ashrrev_i32_e32 v31, 31, v31
	v_xor_b32_e32 v36, s25, v36
	v_mul_u32_u24_e32 v3, 9, v3
	v_and_b32_e32 v30, v30, v34
	v_cmp_gt_i32_e64 s25, 0, v35
	v_ashrrev_i32_e32 v34, 31, v32
	v_xor_b32_e32 v31, s24, v31
	v_add_lshl_u32 v32, v2, v3, 2
	v_and_b32_e32 v30, v30, v36
	s_delay_alu instid0(VALU_DEP_4) | instskip(NEXT) | instid1(VALU_DEP_2)
	v_xor_b32_e32 v3, s25, v34
	v_and_b32_e32 v31, v30, v31
	ds_load_b32 v30, v32 offset:32
	; wave barrier
	v_and_b32_e32 v3, v31, v3
	s_delay_alu instid0(VALU_DEP_1) | instskip(SKIP_1) | instid1(VALU_DEP_2)
	v_mbcnt_lo_u32_b32 v31, v3, 0
	v_cmp_ne_u32_e64 s25, 0, v3
	v_cmp_eq_u32_e64 s24, 0, v31
	s_delay_alu instid0(VALU_DEP_1) | instskip(NEXT) | instid1(SALU_CYCLE_1)
	s_and_b32 s25, s25, s24
	s_and_saveexec_b32 s24, s25
	s_cbranch_execz .LBB38_55
; %bb.54:
	s_waitcnt lgkmcnt(0)
	v_bcnt_u32_b32 v3, v3, v30
	ds_store_b32 v32, v3 offset:32
.LBB38_55:
	s_or_b32 exec_lo, exec_lo, s24
	v_xor_b32_e32 v29, 0x7f, v29
	; wave barrier
	s_delay_alu instid0(VALU_DEP_1) | instskip(NEXT) | instid1(VALU_DEP_1)
	v_and_b32_e32 v3, 0xff, v29
	v_lshrrev_b32_e32 v3, s60, v3
	s_delay_alu instid0(VALU_DEP_1) | instskip(NEXT) | instid1(VALU_DEP_1)
	v_and_b32_e32 v3, s68, v3
	v_and_b32_e32 v34, 1, v3
	v_lshlrev_b32_e32 v35, 30, v3
	v_lshlrev_b32_e32 v36, 29, v3
	;; [unrolled: 1-line block ×4, first 2 shown]
	v_add_co_u32 v34, s24, v34, -1
	s_delay_alu instid0(VALU_DEP_1)
	v_cndmask_b32_e64 v39, 0, 1, s24
	v_not_b32_e32 v45, v35
	v_cmp_gt_i32_e64 s25, 0, v35
	v_not_b32_e32 v35, v36
	v_lshlrev_b32_e32 v43, 26, v3
	v_cmp_ne_u32_e64 s24, 0, v39
	v_ashrrev_i32_e32 v45, 31, v45
	v_lshlrev_b32_e32 v44, 25, v3
	v_ashrrev_i32_e32 v35, 31, v35
	v_lshlrev_b32_e32 v39, 24, v3
	v_xor_b32_e32 v34, s24, v34
	v_cmp_gt_i32_e64 s24, 0, v36
	v_not_b32_e32 v36, v38
	v_xor_b32_e32 v45, s25, v45
	v_cmp_gt_i32_e64 s25, 0, v38
	v_and_b32_e32 v34, exec_lo, v34
	v_not_b32_e32 v38, v40
	v_ashrrev_i32_e32 v36, 31, v36
	v_xor_b32_e32 v35, s24, v35
	v_cmp_gt_i32_e64 s24, 0, v40
	v_and_b32_e32 v34, v34, v45
	v_not_b32_e32 v40, v43
	v_ashrrev_i32_e32 v38, 31, v38
	v_xor_b32_e32 v36, s25, v36
	v_cmp_gt_i32_e64 s25, 0, v43
	v_and_b32_e32 v34, v34, v35
	;; [unrolled: 5-line block ×3, first 2 shown]
	v_not_b32_e32 v36, v39
	v_ashrrev_i32_e32 v35, 31, v35
	v_xor_b32_e32 v40, s25, v40
	v_mul_u32_u24_e32 v3, 9, v3
	v_and_b32_e32 v34, v34, v38
	v_cmp_gt_i32_e64 s25, 0, v39
	v_ashrrev_i32_e32 v38, 31, v36
	v_xor_b32_e32 v35, s24, v35
	v_add_lshl_u32 v36, v2, v3, 2
	v_and_b32_e32 v34, v34, v40
	s_delay_alu instid0(VALU_DEP_4) | instskip(NEXT) | instid1(VALU_DEP_2)
	v_xor_b32_e32 v3, s25, v38
	v_and_b32_e32 v35, v34, v35
	ds_load_b32 v34, v36 offset:32
	; wave barrier
	v_and_b32_e32 v3, v35, v3
	s_delay_alu instid0(VALU_DEP_1) | instskip(SKIP_1) | instid1(VALU_DEP_2)
	v_mbcnt_lo_u32_b32 v35, v3, 0
	v_cmp_ne_u32_e64 s25, 0, v3
	v_cmp_eq_u32_e64 s24, 0, v35
	s_delay_alu instid0(VALU_DEP_1) | instskip(NEXT) | instid1(SALU_CYCLE_1)
	s_and_b32 s25, s25, s24
	s_and_saveexec_b32 s24, s25
	s_cbranch_execz .LBB38_57
; %bb.56:
	s_waitcnt lgkmcnt(0)
	v_bcnt_u32_b32 v3, v3, v34
	ds_store_b32 v36, v3 offset:32
.LBB38_57:
	s_or_b32 exec_lo, exec_lo, s24
	v_xor_b32_e32 v33, 0x7f, v33
	; wave barrier
	s_delay_alu instid0(VALU_DEP_1) | instskip(NEXT) | instid1(VALU_DEP_1)
	v_and_b32_e32 v3, 0xff, v33
	v_lshrrev_b32_e32 v3, s60, v3
	s_delay_alu instid0(VALU_DEP_1) | instskip(NEXT) | instid1(VALU_DEP_1)
	v_and_b32_e32 v3, s68, v3
	v_and_b32_e32 v38, 1, v3
	v_lshlrev_b32_e32 v39, 30, v3
	v_lshlrev_b32_e32 v40, 29, v3
	;; [unrolled: 1-line block ×4, first 2 shown]
	v_add_co_u32 v38, s24, v38, -1
	s_delay_alu instid0(VALU_DEP_1)
	v_cndmask_b32_e64 v44, 0, 1, s24
	v_not_b32_e32 v52, v39
	v_cmp_gt_i32_e64 s25, 0, v39
	v_not_b32_e32 v39, v40
	v_lshlrev_b32_e32 v48, 26, v3
	v_cmp_ne_u32_e64 s24, 0, v44
	v_ashrrev_i32_e32 v52, 31, v52
	v_lshlrev_b32_e32 v49, 25, v3
	v_ashrrev_i32_e32 v39, 31, v39
	v_lshlrev_b32_e32 v44, 24, v3
	v_xor_b32_e32 v38, s24, v38
	v_cmp_gt_i32_e64 s24, 0, v40
	v_not_b32_e32 v40, v43
	v_xor_b32_e32 v52, s25, v52
	v_cmp_gt_i32_e64 s25, 0, v43
	v_and_b32_e32 v38, exec_lo, v38
	v_not_b32_e32 v43, v45
	v_ashrrev_i32_e32 v40, 31, v40
	v_xor_b32_e32 v39, s24, v39
	v_cmp_gt_i32_e64 s24, 0, v45
	v_and_b32_e32 v38, v38, v52
	v_not_b32_e32 v45, v48
	v_ashrrev_i32_e32 v43, 31, v43
	v_xor_b32_e32 v40, s25, v40
	v_cmp_gt_i32_e64 s25, 0, v48
	v_and_b32_e32 v38, v38, v39
	;; [unrolled: 5-line block ×3, first 2 shown]
	v_not_b32_e32 v40, v44
	v_ashrrev_i32_e32 v39, 31, v39
	v_xor_b32_e32 v45, s25, v45
	v_mul_u32_u24_e32 v3, 9, v3
	v_and_b32_e32 v38, v38, v43
	v_cmp_gt_i32_e64 s25, 0, v44
	v_ashrrev_i32_e32 v43, 31, v40
	v_xor_b32_e32 v39, s24, v39
	v_add_lshl_u32 v40, v2, v3, 2
	v_and_b32_e32 v38, v38, v45
	s_delay_alu instid0(VALU_DEP_4) | instskip(NEXT) | instid1(VALU_DEP_2)
	v_xor_b32_e32 v3, s25, v43
	v_and_b32_e32 v39, v38, v39
	ds_load_b32 v38, v40 offset:32
	; wave barrier
	v_and_b32_e32 v3, v39, v3
	s_delay_alu instid0(VALU_DEP_1) | instskip(SKIP_1) | instid1(VALU_DEP_2)
	v_mbcnt_lo_u32_b32 v39, v3, 0
	v_cmp_ne_u32_e64 s25, 0, v3
	v_cmp_eq_u32_e64 s24, 0, v39
	s_delay_alu instid0(VALU_DEP_1) | instskip(NEXT) | instid1(SALU_CYCLE_1)
	s_and_b32 s25, s25, s24
	s_and_saveexec_b32 s24, s25
	s_cbranch_execz .LBB38_59
; %bb.58:
	s_waitcnt lgkmcnt(0)
	v_bcnt_u32_b32 v3, v3, v38
	ds_store_b32 v40, v3 offset:32
.LBB38_59:
	s_or_b32 exec_lo, exec_lo, s24
	v_xor_b32_e32 v37, 0x7f, v37
	; wave barrier
	s_delay_alu instid0(VALU_DEP_1) | instskip(NEXT) | instid1(VALU_DEP_1)
	v_and_b32_e32 v3, 0xff, v37
	v_lshrrev_b32_e32 v3, s60, v3
	s_delay_alu instid0(VALU_DEP_1) | instskip(NEXT) | instid1(VALU_DEP_1)
	v_and_b32_e32 v3, s68, v3
	v_and_b32_e32 v43, 1, v3
	v_lshlrev_b32_e32 v44, 30, v3
	v_lshlrev_b32_e32 v45, 29, v3
	;; [unrolled: 1-line block ×4, first 2 shown]
	v_add_co_u32 v43, s24, v43, -1
	s_delay_alu instid0(VALU_DEP_1)
	v_cndmask_b32_e64 v49, 0, 1, s24
	v_not_b32_e32 v57, v44
	v_cmp_gt_i32_e64 s25, 0, v44
	v_not_b32_e32 v44, v45
	v_lshlrev_b32_e32 v54, 26, v3
	v_cmp_ne_u32_e64 s24, 0, v49
	v_ashrrev_i32_e32 v57, 31, v57
	v_lshlrev_b32_e32 v55, 25, v3
	v_ashrrev_i32_e32 v44, 31, v44
	v_lshlrev_b32_e32 v49, 24, v3
	v_xor_b32_e32 v43, s24, v43
	v_cmp_gt_i32_e64 s24, 0, v45
	v_not_b32_e32 v45, v48
	v_xor_b32_e32 v57, s25, v57
	v_cmp_gt_i32_e64 s25, 0, v48
	v_and_b32_e32 v43, exec_lo, v43
	v_not_b32_e32 v48, v52
	v_ashrrev_i32_e32 v45, 31, v45
	v_xor_b32_e32 v44, s24, v44
	v_cmp_gt_i32_e64 s24, 0, v52
	v_and_b32_e32 v43, v43, v57
	v_not_b32_e32 v52, v54
	v_ashrrev_i32_e32 v48, 31, v48
	v_xor_b32_e32 v45, s25, v45
	v_cmp_gt_i32_e64 s25, 0, v54
	v_and_b32_e32 v43, v43, v44
	;; [unrolled: 5-line block ×3, first 2 shown]
	v_not_b32_e32 v45, v49
	v_ashrrev_i32_e32 v44, 31, v44
	v_xor_b32_e32 v52, s25, v52
	v_mul_u32_u24_e32 v3, 9, v3
	v_and_b32_e32 v43, v43, v48
	v_cmp_gt_i32_e64 s25, 0, v49
	v_ashrrev_i32_e32 v48, 31, v45
	v_xor_b32_e32 v44, s24, v44
	v_add_lshl_u32 v45, v2, v3, 2
	v_and_b32_e32 v43, v43, v52
	s_delay_alu instid0(VALU_DEP_4) | instskip(NEXT) | instid1(VALU_DEP_2)
	v_xor_b32_e32 v3, s25, v48
	v_and_b32_e32 v44, v43, v44
	ds_load_b32 v43, v45 offset:32
	; wave barrier
	v_and_b32_e32 v3, v44, v3
	s_delay_alu instid0(VALU_DEP_1) | instskip(SKIP_1) | instid1(VALU_DEP_2)
	v_mbcnt_lo_u32_b32 v44, v3, 0
	v_cmp_ne_u32_e64 s25, 0, v3
	v_cmp_eq_u32_e64 s24, 0, v44
	s_delay_alu instid0(VALU_DEP_1) | instskip(NEXT) | instid1(SALU_CYCLE_1)
	s_and_b32 s25, s25, s24
	s_and_saveexec_b32 s24, s25
	s_cbranch_execz .LBB38_61
; %bb.60:
	s_waitcnt lgkmcnt(0)
	v_bcnt_u32_b32 v3, v3, v43
	ds_store_b32 v45, v3 offset:32
.LBB38_61:
	s_or_b32 exec_lo, exec_lo, s24
	v_xor_b32_e32 v42, 0x7f, v42
	; wave barrier
	s_delay_alu instid0(VALU_DEP_1) | instskip(NEXT) | instid1(VALU_DEP_1)
	v_and_b32_e32 v3, 0xff, v42
	v_lshrrev_b32_e32 v3, s60, v3
	s_delay_alu instid0(VALU_DEP_1) | instskip(NEXT) | instid1(VALU_DEP_1)
	v_and_b32_e32 v3, s68, v3
	v_and_b32_e32 v48, 1, v3
	v_lshlrev_b32_e32 v49, 30, v3
	v_lshlrev_b32_e32 v52, 29, v3
	;; [unrolled: 1-line block ×4, first 2 shown]
	v_add_co_u32 v48, s24, v48, -1
	s_delay_alu instid0(VALU_DEP_1)
	v_cndmask_b32_e64 v55, 0, 1, s24
	v_not_b32_e32 v61, v49
	v_cmp_gt_i32_e64 s25, 0, v49
	v_not_b32_e32 v49, v52
	v_lshlrev_b32_e32 v59, 26, v3
	v_cmp_ne_u32_e64 s24, 0, v55
	v_ashrrev_i32_e32 v61, 31, v61
	v_lshlrev_b32_e32 v60, 25, v3
	v_ashrrev_i32_e32 v49, 31, v49
	v_lshlrev_b32_e32 v55, 24, v3
	v_xor_b32_e32 v48, s24, v48
	v_cmp_gt_i32_e64 s24, 0, v52
	v_not_b32_e32 v52, v54
	v_xor_b32_e32 v61, s25, v61
	v_cmp_gt_i32_e64 s25, 0, v54
	v_and_b32_e32 v48, exec_lo, v48
	v_not_b32_e32 v54, v57
	v_ashrrev_i32_e32 v52, 31, v52
	v_xor_b32_e32 v49, s24, v49
	v_cmp_gt_i32_e64 s24, 0, v57
	v_and_b32_e32 v48, v48, v61
	v_not_b32_e32 v57, v59
	v_ashrrev_i32_e32 v54, 31, v54
	v_xor_b32_e32 v52, s25, v52
	v_cmp_gt_i32_e64 s25, 0, v59
	v_and_b32_e32 v48, v48, v49
	;; [unrolled: 5-line block ×3, first 2 shown]
	v_not_b32_e32 v52, v55
	v_ashrrev_i32_e32 v49, 31, v49
	v_xor_b32_e32 v57, s25, v57
	v_mul_u32_u24_e32 v3, 9, v3
	v_and_b32_e32 v48, v48, v54
	v_cmp_gt_i32_e64 s25, 0, v55
	v_ashrrev_i32_e32 v54, 31, v52
	v_xor_b32_e32 v49, s24, v49
	v_add_lshl_u32 v52, v2, v3, 2
	v_and_b32_e32 v48, v48, v57
	s_delay_alu instid0(VALU_DEP_4) | instskip(NEXT) | instid1(VALU_DEP_2)
	v_xor_b32_e32 v3, s25, v54
	v_and_b32_e32 v49, v48, v49
	ds_load_b32 v48, v52 offset:32
	; wave barrier
	v_and_b32_e32 v3, v49, v3
	s_delay_alu instid0(VALU_DEP_1) | instskip(SKIP_1) | instid1(VALU_DEP_2)
	v_mbcnt_lo_u32_b32 v49, v3, 0
	v_cmp_ne_u32_e64 s25, 0, v3
	v_cmp_eq_u32_e64 s24, 0, v49
	s_delay_alu instid0(VALU_DEP_1) | instskip(NEXT) | instid1(SALU_CYCLE_1)
	s_and_b32 s25, s25, s24
	s_and_saveexec_b32 s24, s25
	s_cbranch_execz .LBB38_63
; %bb.62:
	s_waitcnt lgkmcnt(0)
	v_bcnt_u32_b32 v3, v3, v48
	ds_store_b32 v52, v3 offset:32
.LBB38_63:
	s_or_b32 exec_lo, exec_lo, s24
	v_xor_b32_e32 v47, 0x7f, v47
	; wave barrier
	s_delay_alu instid0(VALU_DEP_1) | instskip(NEXT) | instid1(VALU_DEP_1)
	v_and_b32_e32 v3, 0xff, v47
	v_lshrrev_b32_e32 v3, s60, v3
	s_delay_alu instid0(VALU_DEP_1) | instskip(NEXT) | instid1(VALU_DEP_1)
	v_and_b32_e32 v3, s68, v3
	v_and_b32_e32 v54, 1, v3
	v_lshlrev_b32_e32 v55, 30, v3
	v_lshlrev_b32_e32 v57, 29, v3
	;; [unrolled: 1-line block ×4, first 2 shown]
	v_add_co_u32 v54, s24, v54, -1
	s_delay_alu instid0(VALU_DEP_1)
	v_cndmask_b32_e64 v60, 0, 1, s24
	v_not_b32_e32 v64, v55
	v_cmp_gt_i32_e64 s25, 0, v55
	v_not_b32_e32 v55, v57
	v_lshlrev_b32_e32 v62, 26, v3
	v_cmp_ne_u32_e64 s24, 0, v60
	v_ashrrev_i32_e32 v64, 31, v64
	v_lshlrev_b32_e32 v63, 25, v3
	v_ashrrev_i32_e32 v55, 31, v55
	v_lshlrev_b32_e32 v60, 24, v3
	v_xor_b32_e32 v54, s24, v54
	v_cmp_gt_i32_e64 s24, 0, v57
	v_not_b32_e32 v57, v59
	v_xor_b32_e32 v64, s25, v64
	v_cmp_gt_i32_e64 s25, 0, v59
	v_and_b32_e32 v54, exec_lo, v54
	v_not_b32_e32 v59, v61
	v_ashrrev_i32_e32 v57, 31, v57
	v_xor_b32_e32 v55, s24, v55
	v_cmp_gt_i32_e64 s24, 0, v61
	v_and_b32_e32 v54, v54, v64
	v_not_b32_e32 v61, v62
	v_ashrrev_i32_e32 v59, 31, v59
	v_xor_b32_e32 v57, s25, v57
	v_cmp_gt_i32_e64 s25, 0, v62
	v_and_b32_e32 v54, v54, v55
	;; [unrolled: 5-line block ×3, first 2 shown]
	v_not_b32_e32 v57, v60
	v_ashrrev_i32_e32 v55, 31, v55
	v_xor_b32_e32 v61, s25, v61
	v_mul_u32_u24_e32 v3, 9, v3
	v_and_b32_e32 v54, v54, v59
	v_cmp_gt_i32_e64 s25, 0, v60
	v_ashrrev_i32_e32 v59, 31, v57
	v_xor_b32_e32 v55, s24, v55
	v_add_lshl_u32 v57, v2, v3, 2
	v_and_b32_e32 v54, v54, v61
	s_delay_alu instid0(VALU_DEP_4) | instskip(NEXT) | instid1(VALU_DEP_2)
	v_xor_b32_e32 v3, s25, v59
	v_and_b32_e32 v55, v54, v55
	ds_load_b32 v54, v57 offset:32
	; wave barrier
	v_and_b32_e32 v3, v55, v3
	s_delay_alu instid0(VALU_DEP_1) | instskip(SKIP_1) | instid1(VALU_DEP_2)
	v_mbcnt_lo_u32_b32 v55, v3, 0
	v_cmp_ne_u32_e64 s25, 0, v3
	v_cmp_eq_u32_e64 s24, 0, v55
	s_delay_alu instid0(VALU_DEP_1) | instskip(NEXT) | instid1(SALU_CYCLE_1)
	s_and_b32 s25, s25, s24
	s_and_saveexec_b32 s24, s25
	s_cbranch_execz .LBB38_65
; %bb.64:
	s_waitcnt lgkmcnt(0)
	v_bcnt_u32_b32 v3, v3, v54
	ds_store_b32 v57, v3 offset:32
.LBB38_65:
	s_or_b32 exec_lo, exec_lo, s24
	v_xor_b32_e32 v53, 0x7f, v53
	; wave barrier
	s_delay_alu instid0(VALU_DEP_1) | instskip(NEXT) | instid1(VALU_DEP_1)
	v_and_b32_e32 v3, 0xff, v53
	v_lshrrev_b32_e32 v3, s60, v3
	s_delay_alu instid0(VALU_DEP_1) | instskip(NEXT) | instid1(VALU_DEP_1)
	v_and_b32_e32 v3, s68, v3
	v_and_b32_e32 v59, 1, v3
	v_lshlrev_b32_e32 v60, 30, v3
	v_lshlrev_b32_e32 v61, 29, v3
	;; [unrolled: 1-line block ×4, first 2 shown]
	v_add_co_u32 v59, s24, v59, -1
	s_delay_alu instid0(VALU_DEP_1)
	v_cndmask_b32_e64 v63, 0, 1, s24
	v_not_b32_e32 v67, v60
	v_cmp_gt_i32_e64 s25, 0, v60
	v_not_b32_e32 v60, v61
	v_lshlrev_b32_e32 v65, 26, v3
	v_cmp_ne_u32_e64 s24, 0, v63
	v_ashrrev_i32_e32 v67, 31, v67
	v_lshlrev_b32_e32 v66, 25, v3
	v_ashrrev_i32_e32 v60, 31, v60
	v_lshlrev_b32_e32 v63, 24, v3
	v_xor_b32_e32 v59, s24, v59
	v_cmp_gt_i32_e64 s24, 0, v61
	v_not_b32_e32 v61, v62
	v_xor_b32_e32 v67, s25, v67
	v_cmp_gt_i32_e64 s25, 0, v62
	v_and_b32_e32 v59, exec_lo, v59
	v_not_b32_e32 v62, v64
	v_ashrrev_i32_e32 v61, 31, v61
	v_xor_b32_e32 v60, s24, v60
	v_cmp_gt_i32_e64 s24, 0, v64
	v_and_b32_e32 v59, v59, v67
	v_not_b32_e32 v64, v65
	v_ashrrev_i32_e32 v62, 31, v62
	v_xor_b32_e32 v61, s25, v61
	v_cmp_gt_i32_e64 s25, 0, v65
	v_and_b32_e32 v59, v59, v60
	;; [unrolled: 5-line block ×3, first 2 shown]
	v_not_b32_e32 v61, v63
	v_ashrrev_i32_e32 v60, 31, v60
	v_xor_b32_e32 v64, s25, v64
	v_mul_u32_u24_e32 v3, 9, v3
	v_and_b32_e32 v59, v59, v62
	v_cmp_gt_i32_e64 s25, 0, v63
	v_ashrrev_i32_e32 v62, 31, v61
	v_xor_b32_e32 v60, s24, v60
	v_add_lshl_u32 v61, v2, v3, 2
	v_and_b32_e32 v59, v59, v64
	s_delay_alu instid0(VALU_DEP_4) | instskip(NEXT) | instid1(VALU_DEP_2)
	v_xor_b32_e32 v3, s25, v62
	v_and_b32_e32 v60, v59, v60
	ds_load_b32 v59, v61 offset:32
	; wave barrier
	v_and_b32_e32 v3, v60, v3
	s_delay_alu instid0(VALU_DEP_1) | instskip(SKIP_1) | instid1(VALU_DEP_2)
	v_mbcnt_lo_u32_b32 v60, v3, 0
	v_cmp_ne_u32_e64 s25, 0, v3
	v_cmp_eq_u32_e64 s24, 0, v60
	s_delay_alu instid0(VALU_DEP_1) | instskip(NEXT) | instid1(SALU_CYCLE_1)
	s_and_b32 s25, s25, s24
	s_and_saveexec_b32 s24, s25
	s_cbranch_execz .LBB38_67
; %bb.66:
	s_waitcnt lgkmcnt(0)
	v_bcnt_u32_b32 v3, v3, v59
	ds_store_b32 v61, v3 offset:32
.LBB38_67:
	s_or_b32 exec_lo, exec_lo, s24
	v_xor_b32_e32 v58, 0x7f, v58
	; wave barrier
	s_delay_alu instid0(VALU_DEP_1) | instskip(NEXT) | instid1(VALU_DEP_1)
	v_and_b32_e32 v3, 0xff, v58
	v_lshrrev_b32_e32 v3, s60, v3
	s_delay_alu instid0(VALU_DEP_1) | instskip(NEXT) | instid1(VALU_DEP_1)
	v_and_b32_e32 v3, s68, v3
	v_and_b32_e32 v62, 1, v3
	v_lshlrev_b32_e32 v63, 30, v3
	v_lshlrev_b32_e32 v64, 29, v3
	;; [unrolled: 1-line block ×4, first 2 shown]
	v_add_co_u32 v62, s24, v62, -1
	s_delay_alu instid0(VALU_DEP_1)
	v_cndmask_b32_e64 v66, 0, 1, s24
	v_not_b32_e32 v70, v63
	v_cmp_gt_i32_e64 s25, 0, v63
	v_not_b32_e32 v63, v64
	v_lshlrev_b32_e32 v68, 26, v3
	v_cmp_ne_u32_e64 s24, 0, v66
	v_ashrrev_i32_e32 v70, 31, v70
	v_lshlrev_b32_e32 v69, 25, v3
	v_ashrrev_i32_e32 v63, 31, v63
	v_lshlrev_b32_e32 v66, 24, v3
	v_xor_b32_e32 v62, s24, v62
	v_cmp_gt_i32_e64 s24, 0, v64
	v_not_b32_e32 v64, v65
	v_xor_b32_e32 v70, s25, v70
	v_cmp_gt_i32_e64 s25, 0, v65
	v_and_b32_e32 v62, exec_lo, v62
	v_not_b32_e32 v65, v67
	v_ashrrev_i32_e32 v64, 31, v64
	v_xor_b32_e32 v63, s24, v63
	v_cmp_gt_i32_e64 s24, 0, v67
	v_and_b32_e32 v62, v62, v70
	v_not_b32_e32 v67, v68
	v_ashrrev_i32_e32 v65, 31, v65
	v_xor_b32_e32 v64, s25, v64
	v_cmp_gt_i32_e64 s25, 0, v68
	v_and_b32_e32 v62, v62, v63
	;; [unrolled: 5-line block ×3, first 2 shown]
	v_not_b32_e32 v64, v66
	v_ashrrev_i32_e32 v63, 31, v63
	v_xor_b32_e32 v67, s25, v67
	v_mul_u32_u24_e32 v3, 9, v3
	v_and_b32_e32 v62, v62, v65
	v_cmp_gt_i32_e64 s25, 0, v66
	v_ashrrev_i32_e32 v65, 31, v64
	v_xor_b32_e32 v63, s24, v63
	v_add_lshl_u32 v64, v2, v3, 2
	v_and_b32_e32 v62, v62, v67
	s_delay_alu instid0(VALU_DEP_4) | instskip(NEXT) | instid1(VALU_DEP_2)
	v_xor_b32_e32 v3, s25, v65
	v_and_b32_e32 v63, v62, v63
	ds_load_b32 v62, v64 offset:32
	; wave barrier
	v_and_b32_e32 v3, v63, v3
	s_delay_alu instid0(VALU_DEP_1) | instskip(SKIP_1) | instid1(VALU_DEP_2)
	v_mbcnt_lo_u32_b32 v63, v3, 0
	v_cmp_ne_u32_e64 s25, 0, v3
	v_cmp_eq_u32_e64 s24, 0, v63
	s_delay_alu instid0(VALU_DEP_1) | instskip(NEXT) | instid1(SALU_CYCLE_1)
	s_and_b32 s25, s25, s24
	s_and_saveexec_b32 s24, s25
	s_cbranch_execz .LBB38_69
; %bb.68:
	s_waitcnt lgkmcnt(0)
	v_bcnt_u32_b32 v3, v3, v62
	ds_store_b32 v64, v3 offset:32
.LBB38_69:
	s_or_b32 exec_lo, exec_lo, s24
	v_xor_b32_e32 v56, 0x7f, v56
	; wave barrier
	s_delay_alu instid0(VALU_DEP_1) | instskip(NEXT) | instid1(VALU_DEP_1)
	v_and_b32_e32 v3, 0xff, v56
	v_lshrrev_b32_e32 v3, s60, v3
	s_delay_alu instid0(VALU_DEP_1) | instskip(NEXT) | instid1(VALU_DEP_1)
	v_and_b32_e32 v3, s68, v3
	v_and_b32_e32 v65, 1, v3
	v_lshlrev_b32_e32 v66, 30, v3
	v_lshlrev_b32_e32 v67, 29, v3
	;; [unrolled: 1-line block ×4, first 2 shown]
	v_add_co_u32 v65, s24, v65, -1
	s_delay_alu instid0(VALU_DEP_1)
	v_cndmask_b32_e64 v69, 0, 1, s24
	v_not_b32_e32 v73, v66
	v_cmp_gt_i32_e64 s25, 0, v66
	v_not_b32_e32 v66, v67
	v_lshlrev_b32_e32 v71, 26, v3
	v_cmp_ne_u32_e64 s24, 0, v69
	v_ashrrev_i32_e32 v73, 31, v73
	v_lshlrev_b32_e32 v72, 25, v3
	v_ashrrev_i32_e32 v66, 31, v66
	v_lshlrev_b32_e32 v69, 24, v3
	v_xor_b32_e32 v65, s24, v65
	v_cmp_gt_i32_e64 s24, 0, v67
	v_not_b32_e32 v67, v68
	v_xor_b32_e32 v73, s25, v73
	v_cmp_gt_i32_e64 s25, 0, v68
	v_and_b32_e32 v65, exec_lo, v65
	v_not_b32_e32 v68, v70
	v_ashrrev_i32_e32 v67, 31, v67
	v_xor_b32_e32 v66, s24, v66
	v_cmp_gt_i32_e64 s24, 0, v70
	v_and_b32_e32 v65, v65, v73
	v_not_b32_e32 v70, v71
	v_ashrrev_i32_e32 v68, 31, v68
	v_xor_b32_e32 v67, s25, v67
	v_cmp_gt_i32_e64 s25, 0, v71
	v_and_b32_e32 v65, v65, v66
	;; [unrolled: 5-line block ×3, first 2 shown]
	v_not_b32_e32 v67, v69
	v_ashrrev_i32_e32 v66, 31, v66
	v_xor_b32_e32 v70, s25, v70
	v_mul_u32_u24_e32 v3, 9, v3
	v_and_b32_e32 v65, v65, v68
	v_cmp_gt_i32_e64 s25, 0, v69
	v_ashrrev_i32_e32 v67, 31, v67
	v_xor_b32_e32 v68, s24, v66
	v_add_lshl_u32 v66, v2, v3, 2
	v_and_b32_e32 v65, v65, v70
	s_delay_alu instid0(VALU_DEP_4) | instskip(NEXT) | instid1(VALU_DEP_2)
	v_xor_b32_e32 v3, s25, v67
	v_and_b32_e32 v67, v65, v68
	ds_load_b32 v65, v66 offset:32
	; wave barrier
	v_and_b32_e32 v3, v67, v3
	s_delay_alu instid0(VALU_DEP_1) | instskip(SKIP_1) | instid1(VALU_DEP_2)
	v_mbcnt_lo_u32_b32 v78, v3, 0
	v_cmp_ne_u32_e64 s25, 0, v3
	v_cmp_eq_u32_e64 s24, 0, v78
	s_delay_alu instid0(VALU_DEP_1) | instskip(NEXT) | instid1(SALU_CYCLE_1)
	s_and_b32 s25, s25, s24
	s_and_saveexec_b32 s24, s25
	s_cbranch_execz .LBB38_71
; %bb.70:
	s_waitcnt lgkmcnt(0)
	v_bcnt_u32_b32 v3, v3, v65
	ds_store_b32 v66, v3 offset:32
.LBB38_71:
	s_or_b32 exec_lo, exec_lo, s24
	v_xor_b32_e32 v50, 0x7f, v50
	; wave barrier
	s_delay_alu instid0(VALU_DEP_1) | instskip(NEXT) | instid1(VALU_DEP_1)
	v_and_b32_e32 v3, 0xff, v50
	v_lshrrev_b32_e32 v3, s60, v3
	s_delay_alu instid0(VALU_DEP_1) | instskip(NEXT) | instid1(VALU_DEP_1)
	v_and_b32_e32 v3, s68, v3
	v_and_b32_e32 v67, 1, v3
	v_lshlrev_b32_e32 v68, 30, v3
	v_lshlrev_b32_e32 v69, 29, v3
	;; [unrolled: 1-line block ×4, first 2 shown]
	v_add_co_u32 v67, s24, v67, -1
	s_delay_alu instid0(VALU_DEP_1)
	v_cndmask_b32_e64 v71, 0, 1, s24
	v_not_b32_e32 v75, v68
	v_cmp_gt_i32_e64 s25, 0, v68
	v_not_b32_e32 v68, v69
	v_lshlrev_b32_e32 v73, 26, v3
	v_cmp_ne_u32_e64 s24, 0, v71
	v_ashrrev_i32_e32 v75, 31, v75
	v_lshlrev_b32_e32 v74, 25, v3
	v_ashrrev_i32_e32 v68, 31, v68
	v_lshlrev_b32_e32 v71, 24, v3
	v_xor_b32_e32 v67, s24, v67
	v_cmp_gt_i32_e64 s24, 0, v69
	v_not_b32_e32 v69, v70
	v_xor_b32_e32 v75, s25, v75
	v_cmp_gt_i32_e64 s25, 0, v70
	v_and_b32_e32 v67, exec_lo, v67
	v_not_b32_e32 v70, v72
	v_ashrrev_i32_e32 v69, 31, v69
	v_xor_b32_e32 v68, s24, v68
	v_cmp_gt_i32_e64 s24, 0, v72
	v_and_b32_e32 v67, v67, v75
	v_not_b32_e32 v72, v73
	v_ashrrev_i32_e32 v70, 31, v70
	v_xor_b32_e32 v69, s25, v69
	v_cmp_gt_i32_e64 s25, 0, v73
	v_and_b32_e32 v67, v67, v68
	;; [unrolled: 5-line block ×3, first 2 shown]
	v_not_b32_e32 v69, v71
	v_ashrrev_i32_e32 v68, 31, v68
	v_xor_b32_e32 v72, s25, v72
	v_mul_u32_u24_e32 v3, 9, v3
	v_and_b32_e32 v67, v67, v70
	v_cmp_gt_i32_e64 s25, 0, v71
	v_ashrrev_i32_e32 v69, 31, v69
	v_xor_b32_e32 v68, s24, v68
	s_delay_alu instid0(VALU_DEP_4) | instskip(SKIP_1) | instid1(VALU_DEP_4)
	v_and_b32_e32 v70, v67, v72
	v_add_lshl_u32 v67, v2, v3, 2
	v_xor_b32_e32 v3, s25, v69
	s_delay_alu instid0(VALU_DEP_3) | instskip(SKIP_2) | instid1(VALU_DEP_1)
	v_and_b32_e32 v68, v70, v68
	ds_load_b32 v79, v67 offset:32
	; wave barrier
	v_and_b32_e32 v3, v68, v3
	v_mbcnt_lo_u32_b32 v80, v3, 0
	v_cmp_ne_u32_e64 s25, 0, v3
	s_delay_alu instid0(VALU_DEP_2) | instskip(NEXT) | instid1(VALU_DEP_1)
	v_cmp_eq_u32_e64 s24, 0, v80
	s_and_b32 s25, s25, s24
	s_delay_alu instid0(SALU_CYCLE_1)
	s_and_saveexec_b32 s24, s25
	s_cbranch_execz .LBB38_73
; %bb.72:
	s_waitcnt lgkmcnt(0)
	v_bcnt_u32_b32 v3, v3, v79
	ds_store_b32 v67, v3 offset:32
.LBB38_73:
	s_or_b32 exec_lo, exec_lo, s24
	v_xor_b32_e32 v46, 0x7f, v46
	; wave barrier
	s_delay_alu instid0(VALU_DEP_1) | instskip(NEXT) | instid1(VALU_DEP_1)
	v_and_b32_e32 v3, 0xff, v46
	v_lshrrev_b32_e32 v3, s60, v3
	s_delay_alu instid0(VALU_DEP_1) | instskip(NEXT) | instid1(VALU_DEP_1)
	v_and_b32_e32 v3, s68, v3
	v_and_b32_e32 v68, 1, v3
	v_lshlrev_b32_e32 v69, 30, v3
	v_lshlrev_b32_e32 v70, 29, v3
	;; [unrolled: 1-line block ×4, first 2 shown]
	v_add_co_u32 v68, s24, v68, -1
	s_delay_alu instid0(VALU_DEP_1)
	v_cndmask_b32_e64 v72, 0, 1, s24
	v_not_b32_e32 v76, v69
	v_cmp_gt_i32_e64 s25, 0, v69
	v_not_b32_e32 v69, v70
	v_lshlrev_b32_e32 v74, 26, v3
	v_cmp_ne_u32_e64 s24, 0, v72
	v_ashrrev_i32_e32 v76, 31, v76
	v_lshlrev_b32_e32 v75, 25, v3
	v_ashrrev_i32_e32 v69, 31, v69
	v_lshlrev_b32_e32 v72, 24, v3
	v_xor_b32_e32 v68, s24, v68
	v_cmp_gt_i32_e64 s24, 0, v70
	v_not_b32_e32 v70, v71
	v_xor_b32_e32 v76, s25, v76
	v_cmp_gt_i32_e64 s25, 0, v71
	v_and_b32_e32 v68, exec_lo, v68
	v_not_b32_e32 v71, v73
	v_ashrrev_i32_e32 v70, 31, v70
	v_xor_b32_e32 v69, s24, v69
	v_cmp_gt_i32_e64 s24, 0, v73
	v_and_b32_e32 v68, v68, v76
	v_not_b32_e32 v73, v74
	v_ashrrev_i32_e32 v71, 31, v71
	v_xor_b32_e32 v70, s25, v70
	v_cmp_gt_i32_e64 s25, 0, v74
	v_and_b32_e32 v68, v68, v69
	;; [unrolled: 5-line block ×3, first 2 shown]
	v_not_b32_e32 v70, v72
	v_ashrrev_i32_e32 v69, 31, v69
	v_xor_b32_e32 v73, s25, v73
	v_mul_u32_u24_e32 v3, 9, v3
	v_and_b32_e32 v68, v68, v71
	v_cmp_gt_i32_e64 s25, 0, v72
	v_ashrrev_i32_e32 v70, 31, v70
	v_xor_b32_e32 v69, s24, v69
	s_delay_alu instid0(VALU_DEP_4) | instskip(SKIP_1) | instid1(VALU_DEP_4)
	v_and_b32_e32 v71, v68, v73
	v_add_lshl_u32 v68, v2, v3, 2
	v_xor_b32_e32 v3, s25, v70
	s_delay_alu instid0(VALU_DEP_3) | instskip(SKIP_2) | instid1(VALU_DEP_1)
	v_and_b32_e32 v69, v71, v69
	ds_load_b32 v81, v68 offset:32
	; wave barrier
	v_and_b32_e32 v3, v69, v3
	v_mbcnt_lo_u32_b32 v82, v3, 0
	v_cmp_ne_u32_e64 s25, 0, v3
	s_delay_alu instid0(VALU_DEP_2) | instskip(NEXT) | instid1(VALU_DEP_1)
	v_cmp_eq_u32_e64 s24, 0, v82
	s_and_b32 s25, s25, s24
	s_delay_alu instid0(SALU_CYCLE_1)
	s_and_saveexec_b32 s24, s25
	s_cbranch_execz .LBB38_75
; %bb.74:
	s_waitcnt lgkmcnt(0)
	v_bcnt_u32_b32 v3, v3, v81
	ds_store_b32 v68, v3 offset:32
.LBB38_75:
	s_or_b32 exec_lo, exec_lo, s24
	v_xor_b32_e32 v41, 0x7f, v41
	; wave barrier
	s_delay_alu instid0(VALU_DEP_1) | instskip(NEXT) | instid1(VALU_DEP_1)
	v_and_b32_e32 v3, 0xff, v41
	v_lshrrev_b32_e32 v3, s60, v3
	s_delay_alu instid0(VALU_DEP_1) | instskip(NEXT) | instid1(VALU_DEP_1)
	v_and_b32_e32 v3, s68, v3
	v_and_b32_e32 v69, 1, v3
	v_lshlrev_b32_e32 v70, 30, v3
	v_lshlrev_b32_e32 v71, 29, v3
	v_lshlrev_b32_e32 v72, 28, v3
	v_lshlrev_b32_e32 v74, 27, v3
	v_add_co_u32 v69, s24, v69, -1
	s_delay_alu instid0(VALU_DEP_1)
	v_cndmask_b32_e64 v73, 0, 1, s24
	v_not_b32_e32 v77, v70
	v_cmp_gt_i32_e64 s25, 0, v70
	v_not_b32_e32 v70, v71
	v_lshlrev_b32_e32 v75, 26, v3
	v_cmp_ne_u32_e64 s24, 0, v73
	v_ashrrev_i32_e32 v77, 31, v77
	v_lshlrev_b32_e32 v76, 25, v3
	v_ashrrev_i32_e32 v70, 31, v70
	v_lshlrev_b32_e32 v73, 24, v3
	v_xor_b32_e32 v69, s24, v69
	v_cmp_gt_i32_e64 s24, 0, v71
	v_not_b32_e32 v71, v72
	v_xor_b32_e32 v77, s25, v77
	v_cmp_gt_i32_e64 s25, 0, v72
	v_and_b32_e32 v69, exec_lo, v69
	v_not_b32_e32 v72, v74
	v_ashrrev_i32_e32 v71, 31, v71
	v_xor_b32_e32 v70, s24, v70
	v_cmp_gt_i32_e64 s24, 0, v74
	v_and_b32_e32 v69, v69, v77
	v_not_b32_e32 v74, v75
	v_ashrrev_i32_e32 v72, 31, v72
	v_xor_b32_e32 v71, s25, v71
	v_cmp_gt_i32_e64 s25, 0, v75
	v_and_b32_e32 v69, v69, v70
	;; [unrolled: 5-line block ×3, first 2 shown]
	v_not_b32_e32 v71, v73
	v_ashrrev_i32_e32 v70, 31, v70
	v_xor_b32_e32 v74, s25, v74
	v_mul_u32_u24_e32 v3, 9, v3
	v_and_b32_e32 v69, v69, v72
	v_cmp_gt_i32_e64 s25, 0, v73
	v_ashrrev_i32_e32 v71, 31, v71
	v_xor_b32_e32 v70, s24, v70
	s_delay_alu instid0(VALU_DEP_4) | instskip(SKIP_1) | instid1(VALU_DEP_4)
	v_and_b32_e32 v72, v69, v74
	v_add_lshl_u32 v69, v2, v3, 2
	v_xor_b32_e32 v3, s25, v71
	s_delay_alu instid0(VALU_DEP_3) | instskip(SKIP_2) | instid1(VALU_DEP_1)
	v_and_b32_e32 v70, v72, v70
	ds_load_b32 v84, v69 offset:32
	; wave barrier
	v_and_b32_e32 v3, v70, v3
	v_mbcnt_lo_u32_b32 v85, v3, 0
	v_cmp_ne_u32_e64 s25, 0, v3
	s_delay_alu instid0(VALU_DEP_2) | instskip(NEXT) | instid1(VALU_DEP_1)
	v_cmp_eq_u32_e64 s24, 0, v85
	s_and_b32 s25, s25, s24
	s_delay_alu instid0(SALU_CYCLE_1)
	s_and_saveexec_b32 s24, s25
	s_cbranch_execz .LBB38_77
; %bb.76:
	s_waitcnt lgkmcnt(0)
	v_bcnt_u32_b32 v3, v3, v84
	ds_store_b32 v69, v3 offset:32
.LBB38_77:
	s_or_b32 exec_lo, exec_lo, s24
	v_xor_b32_e32 v83, 0x7f, v9
	; wave barrier
	s_delay_alu instid0(VALU_DEP_1) | instskip(NEXT) | instid1(VALU_DEP_1)
	v_and_b32_e32 v3, 0xff, v83
	v_lshrrev_b32_e32 v3, s60, v3
	s_delay_alu instid0(VALU_DEP_1) | instskip(NEXT) | instid1(VALU_DEP_1)
	v_and_b32_e32 v3, s68, v3
	v_and_b32_e32 v9, 1, v3
	v_lshlrev_b32_e32 v70, 30, v3
	v_lshlrev_b32_e32 v71, 29, v3
	;; [unrolled: 1-line block ×4, first 2 shown]
	v_add_co_u32 v9, s24, v9, -1
	s_delay_alu instid0(VALU_DEP_1)
	v_cndmask_b32_e64 v73, 0, 1, s24
	v_not_b32_e32 v77, v70
	v_cmp_gt_i32_e64 s25, 0, v70
	v_not_b32_e32 v70, v71
	v_lshlrev_b32_e32 v75, 26, v3
	v_cmp_ne_u32_e64 s24, 0, v73
	v_ashrrev_i32_e32 v77, 31, v77
	v_lshlrev_b32_e32 v76, 25, v3
	v_ashrrev_i32_e32 v70, 31, v70
	v_lshlrev_b32_e32 v73, 24, v3
	v_xor_b32_e32 v9, s24, v9
	v_cmp_gt_i32_e64 s24, 0, v71
	v_not_b32_e32 v71, v72
	v_xor_b32_e32 v77, s25, v77
	v_cmp_gt_i32_e64 s25, 0, v72
	v_and_b32_e32 v9, exec_lo, v9
	v_not_b32_e32 v72, v74
	v_ashrrev_i32_e32 v71, 31, v71
	v_xor_b32_e32 v70, s24, v70
	v_cmp_gt_i32_e64 s24, 0, v74
	v_and_b32_e32 v9, v9, v77
	v_not_b32_e32 v74, v75
	v_ashrrev_i32_e32 v72, 31, v72
	v_xor_b32_e32 v71, s25, v71
	v_cmp_gt_i32_e64 s25, 0, v75
	v_and_b32_e32 v9, v9, v70
	;; [unrolled: 5-line block ×3, first 2 shown]
	v_not_b32_e32 v71, v73
	v_ashrrev_i32_e32 v70, 31, v70
	v_xor_b32_e32 v74, s25, v74
	v_mul_u32_u24_e32 v3, 9, v3
	v_and_b32_e32 v9, v9, v72
	v_cmp_gt_i32_e64 s25, 0, v73
	v_ashrrev_i32_e32 v71, 31, v71
	v_xor_b32_e32 v72, s24, v70
	v_add_lshl_u32 v70, v2, v3, 2
	v_and_b32_e32 v9, v9, v74
	s_delay_alu instid0(VALU_DEP_4) | instskip(SKIP_2) | instid1(VALU_DEP_1)
	v_xor_b32_e32 v3, s25, v71
	ds_load_b32 v87, v70 offset:32
	v_and_b32_e32 v9, v9, v72
	; wave barrier
	v_and_b32_e32 v3, v9, v3
	s_delay_alu instid0(VALU_DEP_1) | instskip(SKIP_1) | instid1(VALU_DEP_2)
	v_mbcnt_lo_u32_b32 v88, v3, 0
	v_cmp_ne_u32_e64 s25, 0, v3
	v_cmp_eq_u32_e64 s24, 0, v88
	s_delay_alu instid0(VALU_DEP_1) | instskip(NEXT) | instid1(SALU_CYCLE_1)
	s_and_b32 s25, s25, s24
	s_and_saveexec_b32 s24, s25
	s_cbranch_execz .LBB38_79
; %bb.78:
	s_waitcnt lgkmcnt(0)
	v_bcnt_u32_b32 v3, v3, v87
	ds_store_b32 v70, v3 offset:32
.LBB38_79:
	s_or_b32 exec_lo, exec_lo, s24
	v_xor_b32_e32 v86, 0x7f, v8
	; wave barrier
	s_delay_alu instid0(VALU_DEP_1) | instskip(NEXT) | instid1(VALU_DEP_1)
	v_and_b32_e32 v3, 0xff, v86
	v_lshrrev_b32_e32 v3, s60, v3
	s_delay_alu instid0(VALU_DEP_1) | instskip(NEXT) | instid1(VALU_DEP_1)
	v_and_b32_e32 v3, s68, v3
	v_and_b32_e32 v8, 1, v3
	v_lshlrev_b32_e32 v9, 30, v3
	v_lshlrev_b32_e32 v71, 29, v3
	;; [unrolled: 1-line block ×4, first 2 shown]
	v_add_co_u32 v8, s24, v8, -1
	s_delay_alu instid0(VALU_DEP_1)
	v_cndmask_b32_e64 v73, 0, 1, s24
	v_not_b32_e32 v77, v9
	v_cmp_gt_i32_e64 s25, 0, v9
	v_not_b32_e32 v9, v71
	v_lshlrev_b32_e32 v75, 26, v3
	v_cmp_ne_u32_e64 s24, 0, v73
	v_ashrrev_i32_e32 v77, 31, v77
	v_lshlrev_b32_e32 v76, 25, v3
	v_ashrrev_i32_e32 v9, 31, v9
	v_lshlrev_b32_e32 v73, 24, v3
	v_xor_b32_e32 v8, s24, v8
	v_cmp_gt_i32_e64 s24, 0, v71
	v_not_b32_e32 v71, v72
	v_xor_b32_e32 v77, s25, v77
	v_cmp_gt_i32_e64 s25, 0, v72
	v_and_b32_e32 v8, exec_lo, v8
	v_not_b32_e32 v72, v74
	v_ashrrev_i32_e32 v71, 31, v71
	v_xor_b32_e32 v9, s24, v9
	v_cmp_gt_i32_e64 s24, 0, v74
	v_and_b32_e32 v8, v8, v77
	v_not_b32_e32 v74, v75
	v_ashrrev_i32_e32 v72, 31, v72
	v_xor_b32_e32 v71, s25, v71
	v_cmp_gt_i32_e64 s25, 0, v75
	v_and_b32_e32 v8, v8, v9
	;; [unrolled: 5-line block ×3, first 2 shown]
	v_not_b32_e32 v71, v73
	v_ashrrev_i32_e32 v9, 31, v9
	v_xor_b32_e32 v74, s25, v74
	v_mul_u32_u24_e32 v3, 9, v3
	v_and_b32_e32 v8, v8, v72
	v_cmp_gt_i32_e64 s25, 0, v73
	v_ashrrev_i32_e32 v72, 31, v71
	v_xor_b32_e32 v9, s24, v9
	v_add_lshl_u32 v71, v2, v3, 2
	v_and_b32_e32 v8, v8, v74
	s_delay_alu instid0(VALU_DEP_4) | instskip(SKIP_2) | instid1(VALU_DEP_1)
	v_xor_b32_e32 v3, s25, v72
	ds_load_b32 v90, v71 offset:32
	v_and_b32_e32 v8, v8, v9
	; wave barrier
	v_and_b32_e32 v3, v8, v3
	s_delay_alu instid0(VALU_DEP_1) | instskip(SKIP_1) | instid1(VALU_DEP_2)
	v_mbcnt_lo_u32_b32 v91, v3, 0
	v_cmp_ne_u32_e64 s25, 0, v3
	v_cmp_eq_u32_e64 s24, 0, v91
	s_delay_alu instid0(VALU_DEP_1) | instskip(NEXT) | instid1(SALU_CYCLE_1)
	s_and_b32 s25, s25, s24
	s_and_saveexec_b32 s24, s25
	s_cbranch_execz .LBB38_81
; %bb.80:
	s_waitcnt lgkmcnt(0)
	v_bcnt_u32_b32 v3, v3, v90
	ds_store_b32 v71, v3 offset:32
.LBB38_81:
	s_or_b32 exec_lo, exec_lo, s24
	v_xor_b32_e32 v89, 0x7f, v7
	; wave barrier
	s_delay_alu instid0(VALU_DEP_1) | instskip(NEXT) | instid1(VALU_DEP_1)
	v_and_b32_e32 v3, 0xff, v89
	v_lshrrev_b32_e32 v3, s60, v3
	s_delay_alu instid0(VALU_DEP_1) | instskip(NEXT) | instid1(VALU_DEP_1)
	v_and_b32_e32 v3, s68, v3
	v_and_b32_e32 v7, 1, v3
	v_lshlrev_b32_e32 v8, 30, v3
	v_lshlrev_b32_e32 v9, 29, v3
	;; [unrolled: 1-line block ×4, first 2 shown]
	v_add_co_u32 v7, s24, v7, -1
	s_delay_alu instid0(VALU_DEP_1)
	v_cndmask_b32_e64 v73, 0, 1, s24
	v_not_b32_e32 v77, v8
	v_cmp_gt_i32_e64 s25, 0, v8
	v_not_b32_e32 v8, v9
	v_lshlrev_b32_e32 v75, 26, v3
	v_cmp_ne_u32_e64 s24, 0, v73
	v_ashrrev_i32_e32 v77, 31, v77
	v_lshlrev_b32_e32 v76, 25, v3
	v_ashrrev_i32_e32 v8, 31, v8
	v_lshlrev_b32_e32 v73, 24, v3
	v_xor_b32_e32 v7, s24, v7
	v_cmp_gt_i32_e64 s24, 0, v9
	v_not_b32_e32 v9, v72
	v_xor_b32_e32 v77, s25, v77
	v_cmp_gt_i32_e64 s25, 0, v72
	v_and_b32_e32 v7, exec_lo, v7
	v_not_b32_e32 v72, v74
	v_ashrrev_i32_e32 v9, 31, v9
	v_xor_b32_e32 v8, s24, v8
	v_cmp_gt_i32_e64 s24, 0, v74
	v_and_b32_e32 v7, v7, v77
	v_not_b32_e32 v74, v75
	v_ashrrev_i32_e32 v72, 31, v72
	v_xor_b32_e32 v9, s25, v9
	v_cmp_gt_i32_e64 s25, 0, v75
	v_and_b32_e32 v7, v7, v8
	;; [unrolled: 5-line block ×3, first 2 shown]
	v_not_b32_e32 v9, v73
	v_ashrrev_i32_e32 v8, 31, v8
	v_xor_b32_e32 v74, s25, v74
	v_mul_u32_u24_e32 v3, 9, v3
	v_and_b32_e32 v7, v7, v72
	v_cmp_gt_i32_e64 s25, 0, v73
	v_ashrrev_i32_e32 v9, 31, v9
	v_xor_b32_e32 v8, s24, v8
	v_add_lshl_u32 v72, v2, v3, 2
	v_and_b32_e32 v7, v7, v74
	s_delay_alu instid0(VALU_DEP_4) | instskip(SKIP_2) | instid1(VALU_DEP_1)
	v_xor_b32_e32 v3, s25, v9
	ds_load_b32 v93, v72 offset:32
	v_and_b32_e32 v7, v7, v8
	; wave barrier
	v_and_b32_e32 v3, v7, v3
	s_delay_alu instid0(VALU_DEP_1) | instskip(SKIP_1) | instid1(VALU_DEP_2)
	v_mbcnt_lo_u32_b32 v94, v3, 0
	v_cmp_ne_u32_e64 s25, 0, v3
	v_cmp_eq_u32_e64 s24, 0, v94
	s_delay_alu instid0(VALU_DEP_1) | instskip(NEXT) | instid1(SALU_CYCLE_1)
	s_and_b32 s25, s25, s24
	s_and_saveexec_b32 s24, s25
	s_cbranch_execz .LBB38_83
; %bb.82:
	s_waitcnt lgkmcnt(0)
	v_bcnt_u32_b32 v3, v3, v93
	ds_store_b32 v72, v3 offset:32
.LBB38_83:
	s_or_b32 exec_lo, exec_lo, s24
	v_xor_b32_e32 v92, 0x7f, v6
	; wave barrier
	s_delay_alu instid0(VALU_DEP_1) | instskip(NEXT) | instid1(VALU_DEP_1)
	v_and_b32_e32 v3, 0xff, v92
	v_lshrrev_b32_e32 v3, s60, v3
	s_delay_alu instid0(VALU_DEP_1) | instskip(NEXT) | instid1(VALU_DEP_1)
	v_and_b32_e32 v3, s68, v3
	v_and_b32_e32 v6, 1, v3
	v_lshlrev_b32_e32 v7, 30, v3
	v_lshlrev_b32_e32 v8, 29, v3
	;; [unrolled: 1-line block ×4, first 2 shown]
	v_add_co_u32 v6, s24, v6, -1
	s_delay_alu instid0(VALU_DEP_1)
	v_cndmask_b32_e64 v73, 0, 1, s24
	v_not_b32_e32 v77, v7
	v_cmp_gt_i32_e64 s25, 0, v7
	v_not_b32_e32 v7, v8
	v_lshlrev_b32_e32 v75, 26, v3
	v_cmp_ne_u32_e64 s24, 0, v73
	v_ashrrev_i32_e32 v77, 31, v77
	v_lshlrev_b32_e32 v76, 25, v3
	v_ashrrev_i32_e32 v7, 31, v7
	v_lshlrev_b32_e32 v73, 24, v3
	v_xor_b32_e32 v6, s24, v6
	v_cmp_gt_i32_e64 s24, 0, v8
	v_not_b32_e32 v8, v9
	v_xor_b32_e32 v77, s25, v77
	v_cmp_gt_i32_e64 s25, 0, v9
	v_and_b32_e32 v6, exec_lo, v6
	v_not_b32_e32 v9, v74
	v_ashrrev_i32_e32 v8, 31, v8
	v_xor_b32_e32 v7, s24, v7
	v_cmp_gt_i32_e64 s24, 0, v74
	v_and_b32_e32 v6, v6, v77
	v_not_b32_e32 v74, v75
	v_ashrrev_i32_e32 v9, 31, v9
	v_xor_b32_e32 v8, s25, v8
	v_cmp_gt_i32_e64 s25, 0, v75
	v_and_b32_e32 v6, v6, v7
	;; [unrolled: 5-line block ×3, first 2 shown]
	v_not_b32_e32 v8, v73
	v_ashrrev_i32_e32 v7, 31, v7
	v_xor_b32_e32 v74, s25, v74
	v_mul_u32_u24_e32 v3, 9, v3
	v_and_b32_e32 v6, v6, v9
	v_cmp_gt_i32_e64 s25, 0, v73
	v_ashrrev_i32_e32 v8, 31, v8
	v_xor_b32_e32 v7, s24, v7
	v_add_lshl_u32 v73, v2, v3, 2
	v_and_b32_e32 v6, v6, v74
	s_delay_alu instid0(VALU_DEP_4) | instskip(SKIP_2) | instid1(VALU_DEP_1)
	v_xor_b32_e32 v3, s25, v8
	ds_load_b32 v96, v73 offset:32
	v_and_b32_e32 v6, v6, v7
	; wave barrier
	v_and_b32_e32 v3, v6, v3
	s_delay_alu instid0(VALU_DEP_1) | instskip(SKIP_1) | instid1(VALU_DEP_2)
	v_mbcnt_lo_u32_b32 v97, v3, 0
	v_cmp_ne_u32_e64 s25, 0, v3
	v_cmp_eq_u32_e64 s24, 0, v97
	s_delay_alu instid0(VALU_DEP_1) | instskip(NEXT) | instid1(SALU_CYCLE_1)
	s_and_b32 s25, s25, s24
	s_and_saveexec_b32 s24, s25
	s_cbranch_execz .LBB38_85
; %bb.84:
	s_waitcnt lgkmcnt(0)
	v_bcnt_u32_b32 v3, v3, v96
	ds_store_b32 v73, v3 offset:32
.LBB38_85:
	s_or_b32 exec_lo, exec_lo, s24
	v_xor_b32_e32 v95, 0x7f, v5
	; wave barrier
	s_delay_alu instid0(VALU_DEP_1) | instskip(NEXT) | instid1(VALU_DEP_1)
	v_and_b32_e32 v3, 0xff, v95
	v_lshrrev_b32_e32 v3, s60, v3
	s_delay_alu instid0(VALU_DEP_1) | instskip(NEXT) | instid1(VALU_DEP_1)
	v_and_b32_e32 v3, s68, v3
	v_and_b32_e32 v5, 1, v3
	v_lshlrev_b32_e32 v6, 30, v3
	v_lshlrev_b32_e32 v7, 29, v3
	;; [unrolled: 1-line block ×4, first 2 shown]
	v_add_co_u32 v5, s24, v5, -1
	s_delay_alu instid0(VALU_DEP_1)
	v_cndmask_b32_e64 v9, 0, 1, s24
	v_not_b32_e32 v77, v6
	v_cmp_gt_i32_e64 s25, 0, v6
	v_not_b32_e32 v6, v7
	v_lshlrev_b32_e32 v75, 26, v3
	v_cmp_ne_u32_e64 s24, 0, v9
	v_ashrrev_i32_e32 v77, 31, v77
	v_lshlrev_b32_e32 v76, 25, v3
	v_ashrrev_i32_e32 v6, 31, v6
	v_lshlrev_b32_e32 v9, 24, v3
	v_xor_b32_e32 v5, s24, v5
	v_cmp_gt_i32_e64 s24, 0, v7
	v_not_b32_e32 v7, v8
	v_xor_b32_e32 v77, s25, v77
	v_cmp_gt_i32_e64 s25, 0, v8
	v_and_b32_e32 v5, exec_lo, v5
	v_not_b32_e32 v8, v74
	v_ashrrev_i32_e32 v7, 31, v7
	v_xor_b32_e32 v6, s24, v6
	v_cmp_gt_i32_e64 s24, 0, v74
	v_and_b32_e32 v5, v5, v77
	v_not_b32_e32 v74, v75
	v_ashrrev_i32_e32 v8, 31, v8
	v_xor_b32_e32 v7, s25, v7
	v_cmp_gt_i32_e64 s25, 0, v75
	v_and_b32_e32 v5, v5, v6
	v_not_b32_e32 v6, v76
	v_ashrrev_i32_e32 v74, 31, v74
	v_xor_b32_e32 v8, s24, v8
	v_cmp_gt_i32_e64 s24, 0, v76
	v_and_b32_e32 v5, v5, v7
	v_not_b32_e32 v7, v9
	v_ashrrev_i32_e32 v6, 31, v6
	v_xor_b32_e32 v74, s25, v74
	v_mul_u32_u24_e32 v3, 9, v3
	v_and_b32_e32 v5, v5, v8
	v_cmp_gt_i32_e64 s25, 0, v9
	v_ashrrev_i32_e32 v7, 31, v7
	v_xor_b32_e32 v6, s24, v6
	s_delay_alu instid0(VALU_DEP_4) | instskip(SKIP_1) | instid1(VALU_DEP_4)
	v_and_b32_e32 v5, v5, v74
	v_add_lshl_u32 v74, v2, v3, 2
	v_xor_b32_e32 v3, s25, v7
	s_delay_alu instid0(VALU_DEP_3) | instskip(SKIP_2) | instid1(VALU_DEP_1)
	v_and_b32_e32 v5, v5, v6
	ds_load_b32 v99, v74 offset:32
	; wave barrier
	v_and_b32_e32 v3, v5, v3
	v_mbcnt_lo_u32_b32 v100, v3, 0
	v_cmp_ne_u32_e64 s25, 0, v3
	s_delay_alu instid0(VALU_DEP_2) | instskip(NEXT) | instid1(VALU_DEP_1)
	v_cmp_eq_u32_e64 s24, 0, v100
	s_and_b32 s25, s25, s24
	s_delay_alu instid0(SALU_CYCLE_1)
	s_and_saveexec_b32 s24, s25
	s_cbranch_execz .LBB38_87
; %bb.86:
	s_waitcnt lgkmcnt(0)
	v_bcnt_u32_b32 v3, v3, v99
	ds_store_b32 v74, v3 offset:32
.LBB38_87:
	s_or_b32 exec_lo, exec_lo, s24
	v_xor_b32_e32 v98, 0x7f, v4
	; wave barrier
	s_delay_alu instid0(VALU_DEP_1) | instskip(NEXT) | instid1(VALU_DEP_1)
	v_and_b32_e32 v3, 0xff, v98
	v_lshrrev_b32_e32 v3, s60, v3
	s_delay_alu instid0(VALU_DEP_1) | instskip(NEXT) | instid1(VALU_DEP_1)
	v_and_b32_e32 v3, s68, v3
	v_and_b32_e32 v4, 1, v3
	v_lshlrev_b32_e32 v5, 30, v3
	v_lshlrev_b32_e32 v6, 29, v3
	;; [unrolled: 1-line block ×4, first 2 shown]
	v_add_co_u32 v4, s24, v4, -1
	s_delay_alu instid0(VALU_DEP_1)
	v_cndmask_b32_e64 v8, 0, 1, s24
	v_not_b32_e32 v77, v5
	v_cmp_gt_i32_e64 s25, 0, v5
	v_not_b32_e32 v5, v6
	v_lshlrev_b32_e32 v75, 26, v3
	v_cmp_ne_u32_e64 s24, 0, v8
	v_ashrrev_i32_e32 v77, 31, v77
	v_lshlrev_b32_e32 v76, 25, v3
	v_ashrrev_i32_e32 v5, 31, v5
	v_lshlrev_b32_e32 v8, 24, v3
	v_xor_b32_e32 v4, s24, v4
	v_cmp_gt_i32_e64 s24, 0, v6
	v_not_b32_e32 v6, v7
	v_xor_b32_e32 v77, s25, v77
	v_cmp_gt_i32_e64 s25, 0, v7
	v_and_b32_e32 v4, exec_lo, v4
	v_not_b32_e32 v7, v9
	v_ashrrev_i32_e32 v6, 31, v6
	v_xor_b32_e32 v5, s24, v5
	v_cmp_gt_i32_e64 s24, 0, v9
	v_and_b32_e32 v4, v4, v77
	v_not_b32_e32 v9, v75
	v_ashrrev_i32_e32 v7, 31, v7
	v_xor_b32_e32 v6, s25, v6
	v_cmp_gt_i32_e64 s25, 0, v75
	v_and_b32_e32 v4, v4, v5
	;; [unrolled: 5-line block ×3, first 2 shown]
	v_not_b32_e32 v6, v8
	v_ashrrev_i32_e32 v5, 31, v5
	v_xor_b32_e32 v9, s25, v9
	v_mul_u32_u24_e32 v3, 9, v3
	v_and_b32_e32 v4, v4, v7
	v_cmp_gt_i32_e64 s25, 0, v8
	v_ashrrev_i32_e32 v6, 31, v6
	v_xor_b32_e32 v5, s24, v5
	v_add_lshl_u32 v75, v2, v3, 2
	v_and_b32_e32 v4, v4, v9
	v_add_nc_u32_e32 v76, 32, v15
	v_xor_b32_e32 v2, s25, v6
	ds_load_b32 v101, v75 offset:32
	v_and_b32_e32 v3, v4, v5
	; wave barrier
	s_delay_alu instid0(VALU_DEP_1) | instskip(NEXT) | instid1(VALU_DEP_1)
	v_and_b32_e32 v2, v3, v2
	v_mbcnt_lo_u32_b32 v102, v2, 0
	v_cmp_ne_u32_e64 s25, 0, v2
	s_delay_alu instid0(VALU_DEP_2) | instskip(NEXT) | instid1(VALU_DEP_1)
	v_cmp_eq_u32_e64 s24, 0, v102
	s_and_b32 s25, s25, s24
	s_delay_alu instid0(SALU_CYCLE_1)
	s_and_saveexec_b32 s24, s25
	s_cbranch_execz .LBB38_89
; %bb.88:
	s_waitcnt lgkmcnt(0)
	v_bcnt_u32_b32 v2, v2, v101
	ds_store_b32 v75, v2 offset:32
.LBB38_89:
	s_or_b32 exec_lo, exec_lo, s24
	; wave barrier
	s_waitcnt lgkmcnt(0)
	s_barrier
	buffer_gl0_inv
	ds_load_2addr_b32 v[8:9], v15 offset0:8 offset1:9
	ds_load_2addr_b32 v[6:7], v76 offset0:2 offset1:3
	;; [unrolled: 1-line block ×4, first 2 shown]
	ds_load_b32 v77, v76 offset:32
	v_min_u32_e32 v11, 0xe0, v11
	s_mov_b32 s25, exec_lo
	s_delay_alu instid0(VALU_DEP_1) | instskip(SKIP_3) | instid1(VALU_DEP_1)
	v_or_b32_e32 v105, 31, v11
	s_waitcnt lgkmcnt(3)
	v_add3_u32 v103, v9, v8, v6
	s_waitcnt lgkmcnt(2)
	v_add3_u32 v103, v103, v7, v4
	s_waitcnt lgkmcnt(1)
	s_delay_alu instid0(VALU_DEP_1) | instskip(SKIP_1) | instid1(VALU_DEP_1)
	v_add3_u32 v103, v103, v5, v2
	s_waitcnt lgkmcnt(0)
	v_add3_u32 v77, v103, v3, v77
	v_and_b32_e32 v103, 15, v51
	s_delay_alu instid0(VALU_DEP_2) | instskip(NEXT) | instid1(VALU_DEP_2)
	v_mov_b32_dpp v104, v77 row_shr:1 row_mask:0xf bank_mask:0xf
	v_cmp_ne_u32_e64 s24, 0, v103
	s_delay_alu instid0(VALU_DEP_1) | instskip(SKIP_1) | instid1(VALU_DEP_2)
	v_cndmask_b32_e64 v104, 0, v104, s24
	v_cmp_lt_u32_e64 s24, 1, v103
	v_add_nc_u32_e32 v77, v104, v77
	s_delay_alu instid0(VALU_DEP_1) | instskip(NEXT) | instid1(VALU_DEP_1)
	v_mov_b32_dpp v104, v77 row_shr:2 row_mask:0xf bank_mask:0xf
	v_cndmask_b32_e64 v104, 0, v104, s24
	v_cmp_lt_u32_e64 s24, 3, v103
	s_delay_alu instid0(VALU_DEP_2) | instskip(NEXT) | instid1(VALU_DEP_1)
	v_add_nc_u32_e32 v77, v77, v104
	v_mov_b32_dpp v104, v77 row_shr:4 row_mask:0xf bank_mask:0xf
	s_delay_alu instid0(VALU_DEP_1) | instskip(SKIP_1) | instid1(VALU_DEP_2)
	v_cndmask_b32_e64 v104, 0, v104, s24
	v_cmp_lt_u32_e64 s24, 7, v103
	v_add_nc_u32_e32 v77, v77, v104
	s_delay_alu instid0(VALU_DEP_1) | instskip(NEXT) | instid1(VALU_DEP_1)
	v_mov_b32_dpp v104, v77 row_shr:8 row_mask:0xf bank_mask:0xf
	v_cndmask_b32_e64 v103, 0, v104, s24
	v_bfe_i32 v104, v51, 4, 1
	s_delay_alu instid0(VALU_DEP_2) | instskip(SKIP_4) | instid1(VALU_DEP_2)
	v_add_nc_u32_e32 v103, v77, v103
	ds_swizzle_b32 v77, v103 offset:swizzle(BROADCAST,32,15)
	s_waitcnt lgkmcnt(0)
	v_and_b32_e32 v104, v104, v77
	v_lshrrev_b32_e32 v77, 5, v1
	v_add_nc_u32_e32 v11, v103, v104
	v_cmpx_eq_u32_e64 v105, v1
	s_cbranch_execz .LBB38_91
; %bb.90:
	s_delay_alu instid0(VALU_DEP_3)
	v_lshlrev_b32_e32 v103, 2, v77
	ds_store_b32 v103, v11
.LBB38_91:
	s_or_b32 exec_lo, exec_lo, s25
	s_delay_alu instid0(SALU_CYCLE_1)
	s_mov_b32 s25, exec_lo
	s_waitcnt lgkmcnt(0)
	s_barrier
	buffer_gl0_inv
	v_cmpx_gt_u32_e32 8, v1
	s_cbranch_execz .LBB38_93
; %bb.92:
	v_lshlrev_b32_e32 v103, 2, v1
	v_and_b32_e32 v105, 7, v51
	ds_load_b32 v104, v103
	v_cmp_ne_u32_e64 s24, 0, v105
	s_waitcnt lgkmcnt(0)
	v_mov_b32_dpp v106, v104 row_shr:1 row_mask:0xf bank_mask:0xf
	s_delay_alu instid0(VALU_DEP_1) | instskip(SKIP_1) | instid1(VALU_DEP_2)
	v_cndmask_b32_e64 v106, 0, v106, s24
	v_cmp_lt_u32_e64 s24, 1, v105
	v_add_nc_u32_e32 v104, v106, v104
	s_delay_alu instid0(VALU_DEP_1) | instskip(NEXT) | instid1(VALU_DEP_1)
	v_mov_b32_dpp v106, v104 row_shr:2 row_mask:0xf bank_mask:0xf
	v_cndmask_b32_e64 v106, 0, v106, s24
	v_cmp_lt_u32_e64 s24, 3, v105
	s_delay_alu instid0(VALU_DEP_2) | instskip(NEXT) | instid1(VALU_DEP_1)
	v_add_nc_u32_e32 v104, v104, v106
	v_mov_b32_dpp v106, v104 row_shr:4 row_mask:0xf bank_mask:0xf
	s_delay_alu instid0(VALU_DEP_1) | instskip(NEXT) | instid1(VALU_DEP_1)
	v_cndmask_b32_e64 v105, 0, v106, s24
	v_add_nc_u32_e32 v104, v104, v105
	ds_store_b32 v103, v104
.LBB38_93:
	s_or_b32 exec_lo, exec_lo, s25
	v_mov_b32_e32 v103, 0
	s_mov_b32 s25, exec_lo
	s_waitcnt lgkmcnt(0)
	s_barrier
	buffer_gl0_inv
	v_cmpx_lt_u32_e32 31, v1
	s_cbranch_execz .LBB38_95
; %bb.94:
	v_lshl_add_u32 v77, v77, 2, -4
	ds_load_b32 v103, v77
.LBB38_95:
	s_or_b32 exec_lo, exec_lo, s25
	v_add_nc_u32_e32 v77, -1, v51
	s_waitcnt lgkmcnt(0)
	v_add_nc_u32_e32 v11, v103, v11
	s_mov_b32 s25, 0
	s_mov_b32 s26, exec_lo
	v_cmp_gt_i32_e64 s24, 0, v77
	s_delay_alu instid0(VALU_DEP_1) | instskip(SKIP_1) | instid1(VALU_DEP_2)
	v_cndmask_b32_e64 v77, v77, v51, s24
	v_cmp_eq_u32_e64 s24, 0, v51
	v_lshlrev_b32_e32 v77, 2, v77
	ds_bpermute_b32 v11, v77, v11
	s_waitcnt lgkmcnt(0)
	v_cndmask_b32_e64 v11, v11, v103, s24
	v_cmp_ne_u32_e64 s24, 0, v1
	s_delay_alu instid0(VALU_DEP_1) | instskip(NEXT) | instid1(VALU_DEP_1)
	v_cndmask_b32_e64 v11, 0, v11, s24
	v_add_nc_u32_e32 v8, v11, v8
	s_delay_alu instid0(VALU_DEP_1) | instskip(NEXT) | instid1(VALU_DEP_1)
	v_add_nc_u32_e32 v9, v8, v9
	v_add_nc_u32_e32 v6, v9, v6
	s_delay_alu instid0(VALU_DEP_1) | instskip(NEXT) | instid1(VALU_DEP_1)
	v_add_nc_u32_e32 v7, v6, v7
	;; [unrolled: 3-line block ×3, first 2 shown]
	v_add_nc_u32_e32 v2, v5, v2
	s_delay_alu instid0(VALU_DEP_1)
	v_add_nc_u32_e32 v3, v2, v3
	ds_store_2addr_b32 v15, v11, v8 offset0:8 offset1:9
	ds_store_2addr_b32 v76, v9, v6 offset0:2 offset1:3
	;; [unrolled: 1-line block ×4, first 2 shown]
	ds_store_b32 v76, v3 offset:32
	v_mov_b32_e32 v2, 0x1600
	s_waitcnt lgkmcnt(0)
	s_barrier
	buffer_gl0_inv
	ds_load_b32 v4, v20 offset:32
	ds_load_b32 v5, v24 offset:32
	;; [unrolled: 1-line block ×23, first 2 shown]
	v_add_nc_u32_e32 v15, 1, v1
	s_delay_alu instid0(VALU_DEP_1)
	v_cmpx_ne_u32_e32 0x100, v15
	s_cbranch_execz .LBB38_97
; %bb.96:
	v_mul_u32_u24_e32 v2, 9, v15
	s_delay_alu instid0(VALU_DEP_1)
	v_lshlrev_b32_e32 v2, 2, v2
	ds_load_b32 v2, v2 offset:32
.LBB38_97:
	s_or_b32 exec_lo, exec_lo, s26
	s_waitcnt lgkmcnt(22)
	v_add3_u32 v76, v19, v18, v4
	s_waitcnt lgkmcnt(21)
	v_add3_u32 v75, v23, v22, v5
	v_lshl_add_u32 v4, s15, 8, v1
	v_mov_b32_e32 v5, 0
	s_waitcnt lgkmcnt(20)
	v_add3_u32 v74, v27, v26, v6
	s_waitcnt lgkmcnt(19)
	v_add3_u32 v73, v31, v30, v7
	;; [unrolled: 2-line block ×4, first 2 shown]
	v_lshlrev_b64 v[6:7], 2, v[4:5]
	s_waitcnt lgkmcnt(0)
	v_sub_nc_u32_e32 v52, v2, v3
	v_dual_mov_b32 v2, 0 :: v_dual_add_nc_u32 v77, v16, v14
	v_add3_u32 v72, v35, v34, v8
	v_add3_u32 v71, v39, v38, v9
	v_add_co_u32 v6, s24, s66, v6
	v_add3_u32 v70, v44, v43, v11
	v_add3_u32 v69, v49, v48, v20
	;; [unrolled: 1-line block ×13, first 2 shown]
	v_add_co_ci_u32_e64 v7, s24, s67, v7, s24
	v_or_b32_e32 v4, 2.0, v52
	s_mov_b32 s26, s63
	s_barrier
	buffer_gl0_inv
	ds_store_b8 v77, v12 offset:2048
	ds_store_b8 v76, v13 offset:2048
	;; [unrolled: 1-line block ×22, first 2 shown]
	s_waitcnt lgkmcnt(0)
	s_barrier
	buffer_gl0_inv
	global_store_b32 v[6:7], v4, off
                                        ; implicit-def: $sgpr24
	s_branch .LBB38_99
	.p2align	6
.LBB38_98:                              ;   in Loop: Header=BB38_99 Depth=1
	s_or_b32 exec_lo, exec_lo, s27
	v_and_b32_e32 v8, 0x3fffffff, v11
	v_cmp_eq_u32_e64 s24, 0x80000000, v4
	s_delay_alu instid0(VALU_DEP_2) | instskip(NEXT) | instid1(VALU_DEP_2)
	v_add_nc_u32_e32 v2, v8, v2
	s_and_b32 s27, exec_lo, s24
	s_delay_alu instid0(SALU_CYCLE_1) | instskip(NEXT) | instid1(SALU_CYCLE_1)
	s_or_b32 s25, s27, s25
	s_and_not1_b32 exec_lo, exec_lo, s25
	s_cbranch_execz .LBB38_105
.LBB38_99:                              ; =>This Loop Header: Depth=1
                                        ;     Child Loop BB38_102 Depth 2
	s_or_b32 s24, s24, exec_lo
	s_cmp_eq_u32 s26, 0
	s_cbranch_scc1 .LBB38_104
; %bb.100:                              ;   in Loop: Header=BB38_99 Depth=1
	s_add_i32 s26, s26, -1
	s_mov_b32 s27, exec_lo
	v_lshl_add_u32 v4, s26, 8, v1
	s_delay_alu instid0(VALU_DEP_1) | instskip(NEXT) | instid1(VALU_DEP_1)
	v_lshlrev_b64 v[8:9], 2, v[4:5]
	v_add_co_u32 v8, s24, s66, v8
	s_delay_alu instid0(VALU_DEP_1) | instskip(SKIP_3) | instid1(VALU_DEP_1)
	v_add_co_ci_u32_e64 v9, s24, s67, v9, s24
	global_load_b32 v11, v[8:9], off glc
	s_waitcnt vmcnt(0)
	v_and_b32_e32 v4, -2.0, v11
	v_cmpx_eq_u32_e32 0, v4
	s_cbranch_execz .LBB38_98
; %bb.101:                              ;   in Loop: Header=BB38_99 Depth=1
	s_mov_b32 s28, 0
.LBB38_102:                             ;   Parent Loop BB38_99 Depth=1
                                        ; =>  This Inner Loop Header: Depth=2
	global_load_b32 v11, v[8:9], off glc
	s_waitcnt vmcnt(0)
	v_and_b32_e32 v4, -2.0, v11
	s_delay_alu instid0(VALU_DEP_1) | instskip(NEXT) | instid1(VALU_DEP_1)
	v_cmp_ne_u32_e64 s24, 0, v4
	s_or_b32 s28, s24, s28
	s_delay_alu instid0(SALU_CYCLE_1)
	s_and_not1_b32 exec_lo, exec_lo, s28
	s_cbranch_execnz .LBB38_102
; %bb.103:                              ;   in Loop: Header=BB38_99 Depth=1
	s_or_b32 exec_lo, exec_lo, s28
	s_branch .LBB38_98
.LBB38_104:                             ;   in Loop: Header=BB38_99 Depth=1
                                        ; implicit-def: $sgpr26
	s_and_b32 s27, exec_lo, s24
	s_delay_alu instid0(SALU_CYCLE_1) | instskip(NEXT) | instid1(SALU_CYCLE_1)
	s_or_b32 s25, s27, s25
	s_and_not1_b32 exec_lo, exec_lo, s25
	s_cbranch_execnz .LBB38_99
.LBB38_105:
	s_or_b32 exec_lo, exec_lo, s25
	v_add_nc_u32_e32 v4, v2, v52
	v_lshlrev_b32_e32 v53, 3, v1
	s_delay_alu instid0(VALU_DEP_2)
	v_or_b32_e32 v4, 0x80000000, v4
	global_store_b32 v[6:7], v4, off
	v_sub_co_u32 v6, s24, v2, v3
	v_mov_b32_e32 v2, 0
	global_load_b64 v[4:5], v53, s[56:57]
	v_sub_co_ci_u32_e64 v7, null, 0, 0, s24
	s_waitcnt vmcnt(0)
	v_add_co_u32 v6, s24, v6, v4
	s_delay_alu instid0(VALU_DEP_1)
	v_add_co_ci_u32_e64 v7, s24, v7, v5, s24
	v_cmp_gt_u32_e64 s24, s47, v1
	v_mov_b32_e32 v4, v2
	ds_store_b64 v53, v[6:7]
	s_waitcnt lgkmcnt(0)
	s_waitcnt_vscnt null, 0x0
	s_barrier
	buffer_gl0_inv
	s_and_saveexec_b32 s26, s24
	s_cbranch_execz .LBB38_107
; %bb.106:
	ds_load_u8 v7, v1 offset:2048
	s_waitcnt lgkmcnt(0)
	v_and_b32_e32 v5, 0xff, v7
	v_xor_b32_e32 v7, 0x7f, v7
	s_delay_alu instid0(VALU_DEP_2) | instskip(NEXT) | instid1(VALU_DEP_1)
	v_lshrrev_b32_e32 v5, s60, v5
	v_and_b32_e32 v5, s68, v5
	s_delay_alu instid0(VALU_DEP_1) | instskip(SKIP_3) | instid1(VALU_DEP_1)
	v_lshlrev_b32_e32 v5, 3, v5
	ds_load_b64 v[5:6], v5
	s_waitcnt lgkmcnt(0)
	v_add_co_u32 v5, s25, s50, v5
	v_add_co_ci_u32_e64 v6, s25, s51, v6, s25
	s_delay_alu instid0(VALU_DEP_2) | instskip(NEXT) | instid1(VALU_DEP_1)
	v_add_co_u32 v5, s25, v5, v1
	v_add_co_ci_u32_e64 v6, s25, 0, v6, s25
	global_store_b8 v[5:6], v7, off
.LBB38_107:
	s_or_b32 exec_lo, exec_lo, s26
	v_add_nc_u32_e32 v5, 0x100, v1
	s_delay_alu instid0(VALU_DEP_1) | instskip(NEXT) | instid1(VALU_DEP_1)
	v_cmp_gt_u32_e64 s25, s47, v5
	s_and_saveexec_b32 s27, s25
	s_cbranch_execz .LBB38_109
; %bb.108:
	ds_load_u8 v7, v1 offset:2304
	s_waitcnt lgkmcnt(0)
	v_and_b32_e32 v5, 0xff, v7
	v_xor_b32_e32 v7, 0x7f, v7
	s_delay_alu instid0(VALU_DEP_2) | instskip(NEXT) | instid1(VALU_DEP_1)
	v_lshrrev_b32_e32 v5, s60, v5
	v_and_b32_e32 v5, s68, v5
	s_delay_alu instid0(VALU_DEP_1) | instskip(SKIP_3) | instid1(VALU_DEP_1)
	v_lshlrev_b32_e32 v5, 3, v5
	ds_load_b64 v[5:6], v5
	s_waitcnt lgkmcnt(0)
	v_add_co_u32 v5, s26, s50, v5
	v_add_co_ci_u32_e64 v6, s26, s51, v6, s26
	s_delay_alu instid0(VALU_DEP_2) | instskip(NEXT) | instid1(VALU_DEP_1)
	v_add_co_u32 v5, s26, v5, v1
	v_add_co_ci_u32_e64 v6, s26, 0, v6, s26
	global_store_b8 v[5:6], v7, off offset:256
.LBB38_109:
	s_or_b32 exec_lo, exec_lo, s27
	v_add_nc_u32_e32 v56, 0x200, v1
	s_delay_alu instid0(VALU_DEP_1) | instskip(NEXT) | instid1(VALU_DEP_1)
	v_cmp_gt_u32_e64 s26, s47, v56
	s_and_saveexec_b32 s28, s26
	s_cbranch_execz .LBB38_111
; %bb.110:
	ds_load_u8 v7, v1 offset:2560
	s_waitcnt lgkmcnt(0)
	v_and_b32_e32 v5, 0xff, v7
	v_xor_b32_e32 v7, 0x7f, v7
	s_delay_alu instid0(VALU_DEP_2) | instskip(NEXT) | instid1(VALU_DEP_1)
	v_lshrrev_b32_e32 v5, s60, v5
	v_and_b32_e32 v5, s68, v5
	s_delay_alu instid0(VALU_DEP_1) | instskip(SKIP_3) | instid1(VALU_DEP_1)
	v_lshlrev_b32_e32 v5, 3, v5
	ds_load_b64 v[5:6], v5
	s_waitcnt lgkmcnt(0)
	v_add_co_u32 v5, s27, s50, v5
	v_add_co_ci_u32_e64 v6, s27, s51, v6, s27
	s_delay_alu instid0(VALU_DEP_2) | instskip(NEXT) | instid1(VALU_DEP_1)
	v_add_co_u32 v5, s27, v5, v1
	v_add_co_ci_u32_e64 v6, s27, 0, v6, s27
	global_store_b8 v[5:6], v7, off offset:512
.LBB38_111:
	;; [unrolled: 25-line block ×3, first 2 shown]
	s_or_b32 exec_lo, exec_lo, s29
	v_or_b32_e32 v78, 0x400, v1
	s_delay_alu instid0(VALU_DEP_1) | instskip(NEXT) | instid1(VALU_DEP_1)
	v_cmp_gt_u32_e64 s28, s47, v78
	s_and_saveexec_b32 s30, s28
	s_cbranch_execz .LBB38_115
; %bb.114:
	ds_load_u8 v7, v1 offset:3072
	s_waitcnt lgkmcnt(0)
	v_and_b32_e32 v5, 0xff, v7
	v_xor_b32_e32 v7, 0x7f, v7
	s_delay_alu instid0(VALU_DEP_2) | instskip(NEXT) | instid1(VALU_DEP_1)
	v_lshrrev_b32_e32 v5, s60, v5
	v_and_b32_e32 v5, s68, v5
	s_delay_alu instid0(VALU_DEP_1) | instskip(SKIP_3) | instid1(VALU_DEP_1)
	v_lshlrev_b32_e32 v5, 3, v5
	ds_load_b64 v[5:6], v5
	s_waitcnt lgkmcnt(0)
	v_add_co_u32 v5, s29, s50, v5
	v_add_co_ci_u32_e64 v6, s29, s51, v6, s29
	s_delay_alu instid0(VALU_DEP_2) | instskip(NEXT) | instid1(VALU_DEP_1)
	v_add_co_u32 v5, s29, v5, v1
	v_add_co_ci_u32_e64 v6, s29, 0, v6, s29
	global_store_b8 v[5:6], v7, off offset:1024
.LBB38_115:
	s_or_b32 exec_lo, exec_lo, s30
	v_add_nc_u32_e32 v79, 0x500, v1
	s_delay_alu instid0(VALU_DEP_1) | instskip(NEXT) | instid1(VALU_DEP_1)
	v_cmp_gt_u32_e64 s29, s47, v79
	s_and_saveexec_b32 s31, s29
	s_cbranch_execz .LBB38_117
; %bb.116:
	ds_load_u8 v7, v1 offset:3328
	s_waitcnt lgkmcnt(0)
	v_and_b32_e32 v5, 0xff, v7
	v_xor_b32_e32 v7, 0x7f, v7
	s_delay_alu instid0(VALU_DEP_2) | instskip(NEXT) | instid1(VALU_DEP_1)
	v_lshrrev_b32_e32 v5, s60, v5
	v_and_b32_e32 v5, s68, v5
	s_delay_alu instid0(VALU_DEP_1) | instskip(SKIP_3) | instid1(VALU_DEP_1)
	v_lshlrev_b32_e32 v5, 3, v5
	ds_load_b64 v[5:6], v5
	s_waitcnt lgkmcnt(0)
	v_add_co_u32 v5, s30, s50, v5
	v_add_co_ci_u32_e64 v6, s30, s51, v6, s30
	s_delay_alu instid0(VALU_DEP_2) | instskip(NEXT) | instid1(VALU_DEP_1)
	v_add_co_u32 v5, s30, v5, v1
	v_add_co_ci_u32_e64 v6, s30, 0, v6, s30
	global_store_b8 v[5:6], v7, off offset:1280
.LBB38_117:
	s_or_b32 exec_lo, exec_lo, s31
	v_add_nc_u32_e32 v80, 0x600, v1
	;; [unrolled: 25-line block ×3, first 2 shown]
	s_delay_alu instid0(VALU_DEP_1) | instskip(NEXT) | instid1(VALU_DEP_1)
	v_cmp_gt_u32_e64 s31, s47, v81
	s_and_saveexec_b32 s34, s31
	s_cbranch_execz .LBB38_121
; %bb.120:
	ds_load_u8 v7, v1 offset:3840
	s_waitcnt lgkmcnt(0)
	v_and_b32_e32 v5, 0xff, v7
	v_xor_b32_e32 v7, 0x7f, v7
	s_delay_alu instid0(VALU_DEP_2) | instskip(NEXT) | instid1(VALU_DEP_1)
	v_lshrrev_b32_e32 v5, s60, v5
	v_and_b32_e32 v5, s68, v5
	s_delay_alu instid0(VALU_DEP_1) | instskip(SKIP_3) | instid1(VALU_DEP_1)
	v_lshlrev_b32_e32 v5, 3, v5
	ds_load_b64 v[5:6], v5
	s_waitcnt lgkmcnt(0)
	v_add_co_u32 v5, s33, s50, v5
	v_add_co_ci_u32_e64 v6, s33, s51, v6, s33
	s_delay_alu instid0(VALU_DEP_2) | instskip(NEXT) | instid1(VALU_DEP_1)
	v_add_co_u32 v5, s33, v5, v1
	v_add_co_ci_u32_e64 v6, s33, 0, v6, s33
	global_store_b8 v[5:6], v7, off offset:1792
.LBB38_121:
	s_or_b32 exec_lo, exec_lo, s34
	v_or_b32_e32 v82, 0x800, v1
	s_delay_alu instid0(VALU_DEP_1) | instskip(NEXT) | instid1(VALU_DEP_1)
	v_cmp_gt_u32_e64 s33, s47, v82
	s_and_saveexec_b32 s35, s33
	s_cbranch_execz .LBB38_123
; %bb.122:
	ds_load_u8 v7, v1 offset:4096
	s_waitcnt lgkmcnt(0)
	v_and_b32_e32 v5, 0xff, v7
	v_xor_b32_e32 v7, 0x7f, v7
	s_delay_alu instid0(VALU_DEP_2) | instskip(NEXT) | instid1(VALU_DEP_1)
	v_lshrrev_b32_e32 v5, s60, v5
	v_and_b32_e32 v5, s68, v5
	s_delay_alu instid0(VALU_DEP_1) | instskip(SKIP_3) | instid1(VALU_DEP_1)
	v_lshlrev_b32_e32 v5, 3, v5
	ds_load_b64 v[5:6], v5
	s_waitcnt lgkmcnt(0)
	v_add_co_u32 v5, s34, s50, v5
	v_add_co_ci_u32_e64 v6, s34, s51, v6, s34
	s_delay_alu instid0(VALU_DEP_2) | instskip(NEXT) | instid1(VALU_DEP_1)
	v_add_co_u32 v5, s34, v5, v1
	v_add_co_ci_u32_e64 v6, s34, 0, v6, s34
	global_store_b8 v[5:6], v7, off offset:2048
.LBB38_123:
	s_or_b32 exec_lo, exec_lo, s35
	v_add_nc_u32_e32 v83, 0x900, v1
	s_delay_alu instid0(VALU_DEP_1) | instskip(NEXT) | instid1(VALU_DEP_1)
	v_cmp_gt_u32_e64 s34, s47, v83
	s_and_saveexec_b32 s36, s34
	s_cbranch_execz .LBB38_125
; %bb.124:
	ds_load_u8 v7, v1 offset:4352
	s_waitcnt lgkmcnt(0)
	v_and_b32_e32 v5, 0xff, v7
	v_xor_b32_e32 v7, 0x7f, v7
	s_delay_alu instid0(VALU_DEP_2) | instskip(NEXT) | instid1(VALU_DEP_1)
	v_lshrrev_b32_e32 v5, s60, v5
	v_and_b32_e32 v5, s68, v5
	s_delay_alu instid0(VALU_DEP_1) | instskip(SKIP_3) | instid1(VALU_DEP_1)
	v_lshlrev_b32_e32 v5, 3, v5
	ds_load_b64 v[5:6], v5
	s_waitcnt lgkmcnt(0)
	v_add_co_u32 v5, s35, s50, v5
	v_add_co_ci_u32_e64 v6, s35, s51, v6, s35
	s_delay_alu instid0(VALU_DEP_2) | instskip(NEXT) | instid1(VALU_DEP_1)
	v_add_co_u32 v5, s35, v5, v1
	v_add_co_ci_u32_e64 v6, s35, 0, v6, s35
	global_store_b8 v[5:6], v7, off offset:2304
.LBB38_125:
	s_or_b32 exec_lo, exec_lo, s36
	v_add_nc_u32_e32 v84, 0xa00, v1
	;; [unrolled: 25-line block ×3, first 2 shown]
	s_delay_alu instid0(VALU_DEP_1) | instskip(NEXT) | instid1(VALU_DEP_1)
	v_cmp_gt_u32_e64 s36, s47, v85
	s_and_saveexec_b32 s38, s36
	s_cbranch_execz .LBB38_129
; %bb.128:
	ds_load_u8 v7, v1 offset:4864
	s_waitcnt lgkmcnt(0)
	v_and_b32_e32 v5, 0xff, v7
	v_xor_b32_e32 v7, 0x7f, v7
	s_delay_alu instid0(VALU_DEP_2) | instskip(NEXT) | instid1(VALU_DEP_1)
	v_lshrrev_b32_e32 v5, s60, v5
	v_and_b32_e32 v5, s68, v5
	s_delay_alu instid0(VALU_DEP_1) | instskip(SKIP_3) | instid1(VALU_DEP_1)
	v_lshlrev_b32_e32 v5, 3, v5
	ds_load_b64 v[5:6], v5
	s_waitcnt lgkmcnt(0)
	v_add_co_u32 v5, s37, s50, v5
	v_add_co_ci_u32_e64 v6, s37, s51, v6, s37
	s_delay_alu instid0(VALU_DEP_2) | instskip(NEXT) | instid1(VALU_DEP_1)
	v_add_co_u32 v5, s37, v5, v1
	v_add_co_ci_u32_e64 v6, s37, 0, v6, s37
	global_store_b8 v[5:6], v7, off offset:2816
.LBB38_129:
	s_or_b32 exec_lo, exec_lo, s38
	v_or_b32_e32 v86, 0xc00, v1
	s_delay_alu instid0(VALU_DEP_1) | instskip(NEXT) | instid1(VALU_DEP_1)
	v_cmp_gt_u32_e64 s37, s47, v86
	s_and_saveexec_b32 s39, s37
	s_cbranch_execz .LBB38_131
; %bb.130:
	ds_load_u8 v7, v1 offset:5120
	s_waitcnt lgkmcnt(0)
	v_and_b32_e32 v5, 0xff, v7
	v_xor_b32_e32 v7, 0x7f, v7
	s_delay_alu instid0(VALU_DEP_2) | instskip(NEXT) | instid1(VALU_DEP_1)
	v_lshrrev_b32_e32 v5, s60, v5
	v_and_b32_e32 v5, s68, v5
	s_delay_alu instid0(VALU_DEP_1) | instskip(SKIP_3) | instid1(VALU_DEP_1)
	v_lshlrev_b32_e32 v5, 3, v5
	ds_load_b64 v[5:6], v5
	s_waitcnt lgkmcnt(0)
	v_add_co_u32 v5, s38, s50, v5
	v_add_co_ci_u32_e64 v6, s38, s51, v6, s38
	s_delay_alu instid0(VALU_DEP_2) | instskip(NEXT) | instid1(VALU_DEP_1)
	v_add_co_u32 v5, s38, v5, v1
	v_add_co_ci_u32_e64 v6, s38, 0, v6, s38
	global_store_b8 v[5:6], v7, off offset:3072
.LBB38_131:
	s_or_b32 exec_lo, exec_lo, s39
	v_add_nc_u32_e32 v87, 0xd00, v1
	s_delay_alu instid0(VALU_DEP_1) | instskip(NEXT) | instid1(VALU_DEP_1)
	v_cmp_gt_u32_e64 s38, s47, v87
	s_and_saveexec_b32 s40, s38
	s_cbranch_execz .LBB38_133
; %bb.132:
	ds_load_u8 v7, v1 offset:5376
	s_waitcnt lgkmcnt(0)
	v_and_b32_e32 v5, 0xff, v7
	v_xor_b32_e32 v7, 0x7f, v7
	s_delay_alu instid0(VALU_DEP_2) | instskip(NEXT) | instid1(VALU_DEP_1)
	v_lshrrev_b32_e32 v5, s60, v5
	v_and_b32_e32 v5, s68, v5
	s_delay_alu instid0(VALU_DEP_1) | instskip(SKIP_3) | instid1(VALU_DEP_1)
	v_lshlrev_b32_e32 v5, 3, v5
	ds_load_b64 v[5:6], v5
	s_waitcnt lgkmcnt(0)
	v_add_co_u32 v5, s39, s50, v5
	v_add_co_ci_u32_e64 v6, s39, s51, v6, s39
	s_delay_alu instid0(VALU_DEP_2) | instskip(NEXT) | instid1(VALU_DEP_1)
	v_add_co_u32 v5, s39, v5, v1
	v_add_co_ci_u32_e64 v6, s39, 0, v6, s39
	global_store_b8 v[5:6], v7, off offset:3328
.LBB38_133:
	s_or_b32 exec_lo, exec_lo, s40
	v_add_nc_u32_e32 v88, 0xe00, v1
	;; [unrolled: 25-line block ×3, first 2 shown]
	s_delay_alu instid0(VALU_DEP_1) | instskip(NEXT) | instid1(VALU_DEP_1)
	v_cmp_gt_u32_e64 s40, s47, v89
	s_and_saveexec_b32 s42, s40
	s_cbranch_execz .LBB38_137
; %bb.136:
	ds_load_u8 v7, v1 offset:5888
	s_waitcnt lgkmcnt(0)
	v_and_b32_e32 v5, 0xff, v7
	v_xor_b32_e32 v7, 0x7f, v7
	s_delay_alu instid0(VALU_DEP_2) | instskip(NEXT) | instid1(VALU_DEP_1)
	v_lshrrev_b32_e32 v5, s60, v5
	v_and_b32_e32 v5, s68, v5
	s_delay_alu instid0(VALU_DEP_1) | instskip(SKIP_3) | instid1(VALU_DEP_1)
	v_lshlrev_b32_e32 v5, 3, v5
	ds_load_b64 v[5:6], v5
	s_waitcnt lgkmcnt(0)
	v_add_co_u32 v5, s41, s50, v5
	v_add_co_ci_u32_e64 v6, s41, s51, v6, s41
	s_delay_alu instid0(VALU_DEP_2) | instskip(NEXT) | instid1(VALU_DEP_1)
	v_add_co_u32 v5, s41, v5, v1
	v_add_co_ci_u32_e64 v6, s41, 0, v6, s41
	global_store_b8 v[5:6], v7, off offset:3840
.LBB38_137:
	s_or_b32 exec_lo, exec_lo, s42
	v_or_b32_e32 v90, 0x1000, v1
	s_delay_alu instid0(VALU_DEP_1) | instskip(NEXT) | instid1(VALU_DEP_1)
	v_cmp_gt_u32_e64 s41, s47, v90
	s_and_saveexec_b32 s43, s41
	s_cbranch_execz .LBB38_139
; %bb.138:
	ds_load_u8 v7, v1 offset:6144
	s_waitcnt lgkmcnt(0)
	v_and_b32_e32 v5, 0xff, v7
	v_xor_b32_e32 v7, 0x7f, v7
	s_delay_alu instid0(VALU_DEP_2) | instskip(NEXT) | instid1(VALU_DEP_1)
	v_lshrrev_b32_e32 v5, s60, v5
	v_and_b32_e32 v5, s68, v5
	s_delay_alu instid0(VALU_DEP_1) | instskip(SKIP_3) | instid1(VALU_DEP_1)
	v_lshlrev_b32_e32 v5, 3, v5
	ds_load_b64 v[5:6], v5
	s_waitcnt lgkmcnt(0)
	v_add_co_u32 v5, s42, s50, v5
	v_add_co_ci_u32_e64 v6, s42, s51, v6, s42
	s_delay_alu instid0(VALU_DEP_2) | instskip(NEXT) | instid1(VALU_DEP_1)
	v_add_co_u32 v5, s42, v5, v90
	v_add_co_ci_u32_e64 v6, s42, 0, v6, s42
	global_store_b8 v[5:6], v7, off
.LBB38_139:
	s_or_b32 exec_lo, exec_lo, s43
	v_add_nc_u32_e32 v91, 0x1100, v1
	s_delay_alu instid0(VALU_DEP_1) | instskip(NEXT) | instid1(VALU_DEP_1)
	v_cmp_gt_u32_e64 s42, s47, v91
	s_and_saveexec_b32 s44, s42
	s_cbranch_execz .LBB38_141
; %bb.140:
	ds_load_u8 v7, v1 offset:6400
	s_waitcnt lgkmcnt(0)
	v_and_b32_e32 v5, 0xff, v7
	v_xor_b32_e32 v7, 0x7f, v7
	s_delay_alu instid0(VALU_DEP_2) | instskip(NEXT) | instid1(VALU_DEP_1)
	v_lshrrev_b32_e32 v5, s60, v5
	v_and_b32_e32 v5, s68, v5
	s_delay_alu instid0(VALU_DEP_1) | instskip(SKIP_3) | instid1(VALU_DEP_1)
	v_lshlrev_b32_e32 v5, 3, v5
	ds_load_b64 v[5:6], v5
	s_waitcnt lgkmcnt(0)
	v_add_co_u32 v5, s43, s50, v5
	v_add_co_ci_u32_e64 v6, s43, s51, v6, s43
	s_delay_alu instid0(VALU_DEP_2) | instskip(NEXT) | instid1(VALU_DEP_1)
	v_add_co_u32 v5, s43, v5, v91
	v_add_co_ci_u32_e64 v6, s43, 0, v6, s43
	global_store_b8 v[5:6], v7, off
.LBB38_141:
	s_or_b32 exec_lo, exec_lo, s44
	v_add_nc_u32_e32 v92, 0x1200, v1
	;; [unrolled: 25-line block ×3, first 2 shown]
	s_delay_alu instid0(VALU_DEP_1) | instskip(NEXT) | instid1(VALU_DEP_1)
	v_cmp_gt_u32_e64 s44, s47, v93
	s_and_saveexec_b32 s46, s44
	s_cbranch_execz .LBB38_145
; %bb.144:
	ds_load_u8 v7, v1 offset:6912
	s_waitcnt lgkmcnt(0)
	v_and_b32_e32 v5, 0xff, v7
	v_xor_b32_e32 v7, 0x7f, v7
	s_delay_alu instid0(VALU_DEP_2) | instskip(NEXT) | instid1(VALU_DEP_1)
	v_lshrrev_b32_e32 v5, s60, v5
	v_and_b32_e32 v5, s68, v5
	s_delay_alu instid0(VALU_DEP_1) | instskip(SKIP_3) | instid1(VALU_DEP_1)
	v_lshlrev_b32_e32 v5, 3, v5
	ds_load_b64 v[5:6], v5
	s_waitcnt lgkmcnt(0)
	v_add_co_u32 v5, s45, s50, v5
	v_add_co_ci_u32_e64 v6, s45, s51, v6, s45
	s_delay_alu instid0(VALU_DEP_2) | instskip(NEXT) | instid1(VALU_DEP_1)
	v_add_co_u32 v5, s45, v5, v93
	v_add_co_ci_u32_e64 v6, s45, 0, v6, s45
	global_store_b8 v[5:6], v7, off
.LBB38_145:
	s_or_b32 exec_lo, exec_lo, s46
	v_or_b32_e32 v94, 0x1400, v1
	s_delay_alu instid0(VALU_DEP_1) | instskip(NEXT) | instid1(VALU_DEP_1)
	v_cmp_gt_u32_e64 s45, s47, v94
	s_and_saveexec_b32 s69, s45
	s_cbranch_execz .LBB38_147
; %bb.146:
	ds_load_u8 v7, v1 offset:7168
	s_waitcnt lgkmcnt(0)
	v_and_b32_e32 v5, 0xff, v7
	v_xor_b32_e32 v7, 0x7f, v7
	s_delay_alu instid0(VALU_DEP_2) | instskip(NEXT) | instid1(VALU_DEP_1)
	v_lshrrev_b32_e32 v5, s60, v5
	v_and_b32_e32 v5, s68, v5
	s_delay_alu instid0(VALU_DEP_1) | instskip(SKIP_3) | instid1(VALU_DEP_1)
	v_lshlrev_b32_e32 v5, 3, v5
	ds_load_b64 v[5:6], v5
	s_waitcnt lgkmcnt(0)
	v_add_co_u32 v5, s46, s50, v5
	v_add_co_ci_u32_e64 v6, s46, s51, v6, s46
	s_delay_alu instid0(VALU_DEP_2) | instskip(NEXT) | instid1(VALU_DEP_1)
	v_add_co_u32 v5, s46, v5, v94
	v_add_co_ci_u32_e64 v6, s46, 0, v6, s46
	global_store_b8 v[5:6], v7, off
.LBB38_147:
	s_or_b32 exec_lo, exec_lo, s69
	v_add_nc_u32_e32 v95, 0x1500, v1
	s_delay_alu instid0(VALU_DEP_1) | instskip(NEXT) | instid1(VALU_DEP_1)
	v_cmp_gt_u32_e64 s46, s47, v95
	s_and_saveexec_b32 s69, s46
	s_cbranch_execz .LBB38_149
; %bb.148:
	ds_load_u8 v7, v1 offset:7424
	s_waitcnt lgkmcnt(0)
	v_and_b32_e32 v5, 0xff, v7
	v_xor_b32_e32 v7, 0x7f, v7
	s_delay_alu instid0(VALU_DEP_2) | instskip(NEXT) | instid1(VALU_DEP_1)
	v_lshrrev_b32_e32 v5, s60, v5
	v_and_b32_e32 v5, s68, v5
	s_delay_alu instid0(VALU_DEP_1) | instskip(SKIP_3) | instid1(VALU_DEP_1)
	v_lshlrev_b32_e32 v5, 3, v5
	ds_load_b64 v[5:6], v5
	s_waitcnt lgkmcnt(0)
	v_add_co_u32 v5, s47, s50, v5
	v_add_co_ci_u32_e64 v6, s47, s51, v6, s47
	s_delay_alu instid0(VALU_DEP_2) | instskip(NEXT) | instid1(VALU_DEP_1)
	v_add_co_u32 v5, s47, v5, v95
	v_add_co_ci_u32_e64 v6, s47, 0, v6, s47
	global_store_b8 v[5:6], v7, off
.LBB38_149:
	s_or_b32 exec_lo, exec_lo, s69
	v_lshlrev_b32_e32 v5, 3, v51
	s_lshl_b64 s[70:71], s[64:65], 3
	v_lshlrev_b32_e32 v6, 3, v10
	s_add_u32 s47, s52, s70
	s_addc_u32 s65, s53, s71
	v_add_co_u32 v5, s47, s47, v5
	s_delay_alu instid0(VALU_DEP_1) | instskip(NEXT) | instid1(VALU_DEP_2)
	v_add_co_ci_u32_e64 v7, null, s65, 0, s47
	v_add_co_u32 v49, s47, v5, v6
	s_delay_alu instid0(VALU_DEP_1) | instskip(SKIP_1) | instid1(SALU_CYCLE_1)
	v_add_co_ci_u32_e64 v50, s47, 0, v7, s47
                                        ; implicit-def: $vgpr5_vgpr6
	s_and_saveexec_b32 s47, vcc_lo
	s_xor_b32 s47, exec_lo, s47
	s_cbranch_execnz .LBB38_283
; %bb.150:
	s_or_b32 exec_lo, exec_lo, s47
                                        ; implicit-def: $vgpr7_vgpr8
	s_and_saveexec_b32 s47, s2
	s_cbranch_execnz .LBB38_284
.LBB38_151:
	s_or_b32 exec_lo, exec_lo, s47
                                        ; implicit-def: $vgpr9_vgpr10
	s_and_saveexec_b32 s2, s3
	s_cbranch_execnz .LBB38_285
.LBB38_152:
	s_or_b32 exec_lo, exec_lo, s2
                                        ; implicit-def: $vgpr11_vgpr12
	s_and_saveexec_b32 s2, s4
	s_cbranch_execnz .LBB38_286
.LBB38_153:
	s_or_b32 exec_lo, exec_lo, s2
                                        ; implicit-def: $vgpr13_vgpr14
	s_and_saveexec_b32 s2, s5
	s_cbranch_execnz .LBB38_287
.LBB38_154:
	s_or_b32 exec_lo, exec_lo, s2
                                        ; implicit-def: $vgpr15_vgpr16
	s_and_saveexec_b32 s2, s6
	s_cbranch_execnz .LBB38_288
.LBB38_155:
	s_or_b32 exec_lo, exec_lo, s2
                                        ; implicit-def: $vgpr17_vgpr18
	s_and_saveexec_b32 s2, s7
	s_cbranch_execnz .LBB38_289
.LBB38_156:
	s_or_b32 exec_lo, exec_lo, s2
                                        ; implicit-def: $vgpr19_vgpr20
	s_and_saveexec_b32 s2, s8
	s_cbranch_execnz .LBB38_290
.LBB38_157:
	s_or_b32 exec_lo, exec_lo, s2
                                        ; implicit-def: $vgpr21_vgpr22
	s_and_saveexec_b32 s2, s9
	s_cbranch_execnz .LBB38_291
.LBB38_158:
	s_or_b32 exec_lo, exec_lo, s2
                                        ; implicit-def: $vgpr23_vgpr24
	s_and_saveexec_b32 s2, s10
	s_cbranch_execnz .LBB38_292
.LBB38_159:
	s_or_b32 exec_lo, exec_lo, s2
                                        ; implicit-def: $vgpr25_vgpr26
	s_and_saveexec_b32 s2, s11
	s_cbranch_execnz .LBB38_293
.LBB38_160:
	s_or_b32 exec_lo, exec_lo, s2
                                        ; implicit-def: $vgpr27_vgpr28
	s_and_saveexec_b32 s2, s12
	s_cbranch_execnz .LBB38_294
.LBB38_161:
	s_or_b32 exec_lo, exec_lo, s2
                                        ; implicit-def: $vgpr29_vgpr30
	s_and_saveexec_b32 s2, s13
	s_cbranch_execnz .LBB38_295
.LBB38_162:
	s_or_b32 exec_lo, exec_lo, s2
                                        ; implicit-def: $vgpr31_vgpr32
	s_and_saveexec_b32 s2, s14
	s_cbranch_execnz .LBB38_296
.LBB38_163:
	s_or_b32 exec_lo, exec_lo, s2
                                        ; implicit-def: $vgpr33_vgpr34
	s_and_saveexec_b32 s2, s16
	s_cbranch_execnz .LBB38_297
.LBB38_164:
	s_or_b32 exec_lo, exec_lo, s2
                                        ; implicit-def: $vgpr35_vgpr36
	s_and_saveexec_b32 s2, s18
	s_cbranch_execnz .LBB38_298
.LBB38_165:
	s_or_b32 exec_lo, exec_lo, s2
                                        ; implicit-def: $vgpr37_vgpr38
	s_and_saveexec_b32 s2, s23
	s_cbranch_execnz .LBB38_299
.LBB38_166:
	s_or_b32 exec_lo, exec_lo, s2
                                        ; implicit-def: $vgpr39_vgpr40
	s_and_saveexec_b32 s2, s21
	s_cbranch_execnz .LBB38_300
.LBB38_167:
	s_or_b32 exec_lo, exec_lo, s2
                                        ; implicit-def: $vgpr41_vgpr42
	s_and_saveexec_b32 s2, s22
	s_cbranch_execnz .LBB38_301
.LBB38_168:
	s_or_b32 exec_lo, exec_lo, s2
                                        ; implicit-def: $vgpr43_vgpr44
	s_and_saveexec_b32 s2, s19
	s_cbranch_execnz .LBB38_302
.LBB38_169:
	s_or_b32 exec_lo, exec_lo, s2
                                        ; implicit-def: $vgpr45_vgpr46
	s_and_saveexec_b32 s2, s20
	s_cbranch_execnz .LBB38_303
.LBB38_170:
	s_or_b32 exec_lo, exec_lo, s2
                                        ; implicit-def: $vgpr47_vgpr48
	s_and_saveexec_b32 s2, s17
	s_cbranch_execnz .LBB38_304
.LBB38_171:
	s_or_b32 exec_lo, exec_lo, s2
                                        ; implicit-def: $vgpr115
	s_and_saveexec_b32 s2, s24
	s_cbranch_execnz .LBB38_305
.LBB38_172:
	s_or_b32 exec_lo, exec_lo, s2
                                        ; implicit-def: $vgpr114
	s_and_saveexec_b32 s2, s25
	s_cbranch_execnz .LBB38_306
.LBB38_173:
	s_or_b32 exec_lo, exec_lo, s2
                                        ; implicit-def: $vgpr113
	s_and_saveexec_b32 s2, s26
	s_cbranch_execnz .LBB38_307
.LBB38_174:
	s_or_b32 exec_lo, exec_lo, s2
                                        ; implicit-def: $vgpr112
	s_and_saveexec_b32 s2, s27
	s_cbranch_execnz .LBB38_308
.LBB38_175:
	s_or_b32 exec_lo, exec_lo, s2
                                        ; implicit-def: $vgpr111
	s_and_saveexec_b32 s2, s28
	s_cbranch_execnz .LBB38_309
.LBB38_176:
	s_or_b32 exec_lo, exec_lo, s2
                                        ; implicit-def: $vgpr110
	s_and_saveexec_b32 s2, s29
	s_cbranch_execnz .LBB38_310
.LBB38_177:
	s_or_b32 exec_lo, exec_lo, s2
                                        ; implicit-def: $vgpr109
	s_and_saveexec_b32 s2, s30
	s_cbranch_execnz .LBB38_311
.LBB38_178:
	s_or_b32 exec_lo, exec_lo, s2
                                        ; implicit-def: $vgpr108
	s_and_saveexec_b32 s2, s31
	s_cbranch_execnz .LBB38_312
.LBB38_179:
	s_or_b32 exec_lo, exec_lo, s2
                                        ; implicit-def: $vgpr107
	s_and_saveexec_b32 s2, s33
	s_cbranch_execnz .LBB38_313
.LBB38_180:
	s_or_b32 exec_lo, exec_lo, s2
                                        ; implicit-def: $vgpr106
	s_and_saveexec_b32 s2, s34
	s_cbranch_execnz .LBB38_314
.LBB38_181:
	s_or_b32 exec_lo, exec_lo, s2
                                        ; implicit-def: $vgpr105
	s_and_saveexec_b32 s2, s35
	s_cbranch_execnz .LBB38_315
.LBB38_182:
	s_or_b32 exec_lo, exec_lo, s2
                                        ; implicit-def: $vgpr104
	s_and_saveexec_b32 s2, s36
	s_cbranch_execnz .LBB38_316
.LBB38_183:
	s_or_b32 exec_lo, exec_lo, s2
                                        ; implicit-def: $vgpr103
	s_and_saveexec_b32 s2, s37
	s_cbranch_execnz .LBB38_317
.LBB38_184:
	s_or_b32 exec_lo, exec_lo, s2
                                        ; implicit-def: $vgpr102
	s_and_saveexec_b32 s2, s38
	s_cbranch_execnz .LBB38_318
.LBB38_185:
	s_or_b32 exec_lo, exec_lo, s2
                                        ; implicit-def: $vgpr101
	s_and_saveexec_b32 s2, s39
	s_cbranch_execnz .LBB38_319
.LBB38_186:
	s_or_b32 exec_lo, exec_lo, s2
                                        ; implicit-def: $vgpr100
	s_and_saveexec_b32 s2, s40
	s_cbranch_execnz .LBB38_320
.LBB38_187:
	s_or_b32 exec_lo, exec_lo, s2
                                        ; implicit-def: $vgpr99
	s_and_saveexec_b32 s2, s41
	s_cbranch_execnz .LBB38_321
.LBB38_188:
	s_or_b32 exec_lo, exec_lo, s2
                                        ; implicit-def: $vgpr98
	s_and_saveexec_b32 s2, s42
	s_cbranch_execnz .LBB38_322
.LBB38_189:
	s_or_b32 exec_lo, exec_lo, s2
                                        ; implicit-def: $vgpr97
	s_and_saveexec_b32 s2, s43
	s_cbranch_execnz .LBB38_323
.LBB38_190:
	s_or_b32 exec_lo, exec_lo, s2
                                        ; implicit-def: $vgpr96
	s_and_saveexec_b32 s2, s44
	s_cbranch_execnz .LBB38_324
.LBB38_191:
	s_or_b32 exec_lo, exec_lo, s2
                                        ; implicit-def: $vgpr50
	s_and_saveexec_b32 s2, s45
	s_cbranch_execnz .LBB38_325
.LBB38_192:
	s_or_b32 exec_lo, exec_lo, s2
                                        ; implicit-def: $vgpr49
	s_and_saveexec_b32 s2, s46
	s_cbranch_execz .LBB38_194
.LBB38_193:
	ds_load_u8 v49, v1 offset:7424
	s_waitcnt lgkmcnt(0)
	v_lshrrev_b32_e32 v49, s60, v49
	s_delay_alu instid0(VALU_DEP_1)
	v_and_b32_e32 v49, s68, v49
.LBB38_194:
	s_or_b32 exec_lo, exec_lo, s2
	v_lshlrev_b32_e32 v77, 3, v77
	v_lshlrev_b32_e32 v76, 3, v76
	s_waitcnt vmcnt(0)
	s_waitcnt_vscnt null, 0x0
	s_barrier
	buffer_gl0_inv
	ds_store_b64 v77, v[5:6] offset:2048
	ds_store_b64 v76, v[7:8] offset:2048
	v_lshlrev_b32_e32 v5, 3, v75
	v_lshlrev_b32_e32 v6, 3, v74
	v_lshlrev_b32_e32 v7, 3, v73
	v_lshlrev_b32_e32 v8, 3, v72
	v_lshlrev_b32_e32 v71, 3, v71
	ds_store_b64 v5, v[9:10] offset:2048
	ds_store_b64 v6, v[11:12] offset:2048
	ds_store_b64 v7, v[13:14] offset:2048
	ds_store_b64 v8, v[15:16] offset:2048
	ds_store_b64 v71, v[17:18] offset:2048
	v_lshlrev_b32_e32 v5, 3, v70
	v_lshlrev_b32_e32 v6, 3, v69
	v_lshlrev_b32_e32 v7, 3, v68
	v_lshlrev_b32_e32 v8, 3, v67
	v_lshlrev_b32_e32 v9, 3, v66
	ds_store_b64 v5, v[19:20] offset:2048
	ds_store_b64 v6, v[21:22] offset:2048
	ds_store_b64 v7, v[23:24] offset:2048
	;; [unrolled: 10-line block ×4, first 2 shown]
	ds_store_b64 v8, v[45:46] offset:2048
	ds_store_b64 v9, v[47:48] offset:2048
	s_waitcnt lgkmcnt(0)
	s_barrier
	buffer_gl0_inv
	s_and_saveexec_b32 s2, s24
	s_cbranch_execnz .LBB38_326
; %bb.195:
	s_or_b32 exec_lo, exec_lo, s2
	s_and_saveexec_b32 s2, s25
	s_cbranch_execnz .LBB38_327
.LBB38_196:
	s_or_b32 exec_lo, exec_lo, s2
	s_and_saveexec_b32 s2, s26
	s_cbranch_execnz .LBB38_328
.LBB38_197:
	s_or_b32 exec_lo, exec_lo, s2
	s_and_saveexec_b32 s2, s27
	s_cbranch_execnz .LBB38_329
.LBB38_198:
	s_or_b32 exec_lo, exec_lo, s2
	s_and_saveexec_b32 s2, s28
	s_cbranch_execnz .LBB38_330
.LBB38_199:
	s_or_b32 exec_lo, exec_lo, s2
	s_and_saveexec_b32 s2, s29
	s_cbranch_execnz .LBB38_331
.LBB38_200:
	s_or_b32 exec_lo, exec_lo, s2
	s_and_saveexec_b32 s2, s30
	s_cbranch_execnz .LBB38_332
.LBB38_201:
	s_or_b32 exec_lo, exec_lo, s2
	s_and_saveexec_b32 s2, s31
	s_cbranch_execnz .LBB38_333
.LBB38_202:
	s_or_b32 exec_lo, exec_lo, s2
	s_and_saveexec_b32 s2, s33
	s_cbranch_execnz .LBB38_334
.LBB38_203:
	s_or_b32 exec_lo, exec_lo, s2
	s_and_saveexec_b32 s2, s34
	s_cbranch_execnz .LBB38_335
.LBB38_204:
	s_or_b32 exec_lo, exec_lo, s2
	s_and_saveexec_b32 s2, s35
	s_cbranch_execnz .LBB38_336
.LBB38_205:
	s_or_b32 exec_lo, exec_lo, s2
	s_and_saveexec_b32 s2, s36
	s_cbranch_execnz .LBB38_337
.LBB38_206:
	s_or_b32 exec_lo, exec_lo, s2
	s_and_saveexec_b32 s2, s37
	s_cbranch_execnz .LBB38_338
.LBB38_207:
	s_or_b32 exec_lo, exec_lo, s2
	s_and_saveexec_b32 s2, s38
	s_cbranch_execnz .LBB38_339
.LBB38_208:
	s_or_b32 exec_lo, exec_lo, s2
	s_and_saveexec_b32 s2, s39
	s_cbranch_execnz .LBB38_340
.LBB38_209:
	s_or_b32 exec_lo, exec_lo, s2
	s_and_saveexec_b32 s2, s40
	s_cbranch_execnz .LBB38_341
.LBB38_210:
	s_or_b32 exec_lo, exec_lo, s2
	s_and_saveexec_b32 s2, s41
	s_cbranch_execnz .LBB38_342
.LBB38_211:
	s_or_b32 exec_lo, exec_lo, s2
	s_and_saveexec_b32 s2, s42
	s_cbranch_execnz .LBB38_343
.LBB38_212:
	s_or_b32 exec_lo, exec_lo, s2
	s_and_saveexec_b32 s2, s43
	s_cbranch_execnz .LBB38_344
.LBB38_213:
	s_or_b32 exec_lo, exec_lo, s2
	s_and_saveexec_b32 s2, s44
	s_cbranch_execnz .LBB38_345
.LBB38_214:
	s_or_b32 exec_lo, exec_lo, s2
	s_and_saveexec_b32 s2, s45
	s_cbranch_execnz .LBB38_346
.LBB38_215:
	s_or_b32 exec_lo, exec_lo, s2
	s_and_saveexec_b32 s2, s46
	s_cbranch_execz .LBB38_217
.LBB38_216:
	v_lshlrev_b32_e32 v5, 3, v49
	v_lshlrev_b32_e32 v7, 3, v1
	;; [unrolled: 1-line block ×3, first 2 shown]
	ds_load_b64 v[5:6], v5
	ds_load_b64 v[7:8], v7 offset:45056
	s_waitcnt lgkmcnt(1)
	v_lshlrev_b64 v[5:6], 3, v[5:6]
	s_delay_alu instid0(VALU_DEP_1) | instskip(NEXT) | instid1(VALU_DEP_2)
	v_add_co_u32 v5, vcc_lo, s54, v5
	v_add_co_ci_u32_e32 v6, vcc_lo, s55, v6, vcc_lo
	s_delay_alu instid0(VALU_DEP_2) | instskip(NEXT) | instid1(VALU_DEP_2)
	v_add_co_u32 v5, vcc_lo, v5, v9
	v_add_co_ci_u32_e32 v6, vcc_lo, 0, v6, vcc_lo
	s_waitcnt lgkmcnt(0)
	global_store_b64 v[5:6], v[7:8], off
.LBB38_217:
	s_or_b32 exec_lo, exec_lo, s2
	s_add_i32 s62, s62, -1
	s_delay_alu instid0(SALU_CYCLE_1)
	s_cmp_eq_u32 s15, s62
	s_cselect_b32 s2, -1, 0
	s_branch .LBB38_280
.LBB38_218:
	s_mov_b32 s2, 0
                                        ; implicit-def: $vgpr53
                                        ; implicit-def: $vgpr3_vgpr4
                                        ; implicit-def: $vgpr52
	s_cbranch_execz .LBB38_280
; %bb.219:
	v_dual_mov_b32 v15, 0 :: v_dual_and_b32 v12, 0xe0, v1
	s_add_u32 s2, s48, s64
	s_addc_u32 s3, s49, 0
	v_add_co_u32 v2, s2, s2, v51
	s_delay_alu instid0(VALU_DEP_2) | instskip(SKIP_3) | instid1(VALU_DEP_4)
	v_mul_u32_u24_e32 v10, 22, v12
	v_add_co_ci_u32_e64 v3, null, s3, 0, s2
	v_bfe_u32 v14, v0, 10, 10
	v_bfe_u32 v0, v0, 20, 10
	v_add_co_u32 v2, vcc_lo, v2, v10
	s_delay_alu instid0(VALU_DEP_4)
	v_add_co_ci_u32_e32 v3, vcc_lo, 0, v3, vcc_lo
	s_mov_b32 s65, 0
	global_load_u8 v11, v[2:3], off
	s_clause 0x1
	s_load_b32 s3, s[0:1], 0x5c
	s_load_b32 s2, s[0:1], 0x50
	s_add_u32 s0, s0, 0x50
	s_addc_u32 s1, s1, 0
	s_waitcnt lgkmcnt(0)
	s_lshr_b32 s3, s3, 16
	s_cmp_lt_u32 s15, s2
	v_mad_u32_u24 v0, v0, s3, v14
	s_cselect_b32 s4, 12, 18
	s_delay_alu instid0(SALU_CYCLE_1)
	s_add_u32 s0, s0, s4
	s_addc_u32 s1, s1, 0
	global_load_u16 v13, v15, s[0:1]
	s_clause 0x14
	global_load_u8 v17, v[2:3], off offset:32
	global_load_u8 v16, v[2:3], off offset:64
	;; [unrolled: 1-line block ×21, first 2 shown]
	s_lshl_b32 s0, -1, s61
	s_delay_alu instid0(SALU_CYCLE_1) | instskip(SKIP_2) | instid1(VALU_DEP_1)
	s_not_b32 s1, s0
	s_waitcnt vmcnt(22)
	v_xor_b32_e32 v11, 0x7f, v11
	v_lshrrev_b32_e32 v3, s60, v11
	s_delay_alu instid0(VALU_DEP_1) | instskip(NEXT) | instid1(VALU_DEP_1)
	v_and_b32_e32 v3, s1, v3
	v_and_b32_e32 v18, 1, v3
	v_lshlrev_b32_e32 v19, 30, v3
	v_lshlrev_b32_e32 v21, 29, v3
	;; [unrolled: 1-line block ×4, first 2 shown]
	v_add_co_u32 v18, s0, v18, -1
	s_delay_alu instid0(VALU_DEP_1)
	v_cndmask_b32_e64 v23, 0, 1, s0
	v_not_b32_e32 v29, v19
	v_cmp_gt_i32_e64 s0, 0, v19
	v_not_b32_e32 v19, v21
	v_lshlrev_b32_e32 v26, 26, v3
	v_cmp_ne_u32_e32 vcc_lo, 0, v23
	v_ashrrev_i32_e32 v29, 31, v29
	v_lshlrev_b32_e32 v27, 25, v3
	v_ashrrev_i32_e32 v19, 31, v19
	v_lshlrev_b32_e32 v23, 24, v3
	v_xor_b32_e32 v18, vcc_lo, v18
	v_cmp_gt_i32_e32 vcc_lo, 0, v21
	v_not_b32_e32 v21, v22
	v_xor_b32_e32 v29, s0, v29
	v_cmp_gt_i32_e64 s0, 0, v22
	v_and_b32_e32 v18, exec_lo, v18
	v_not_b32_e32 v22, v25
	v_ashrrev_i32_e32 v21, 31, v21
	v_xor_b32_e32 v19, vcc_lo, v19
	v_cmp_gt_i32_e32 vcc_lo, 0, v25
	v_and_b32_e32 v18, v18, v29
	v_not_b32_e32 v25, v26
	v_ashrrev_i32_e32 v22, 31, v22
	v_xor_b32_e32 v21, s0, v21
	v_cmp_gt_i32_e64 s0, 0, v26
	v_and_b32_e32 v18, v18, v19
	v_not_b32_e32 v19, v27
	v_ashrrev_i32_e32 v25, 31, v25
	v_xor_b32_e32 v22, vcc_lo, v22
	v_cmp_gt_i32_e32 vcc_lo, 0, v27
	v_and_b32_e32 v18, v18, v21
	v_not_b32_e32 v21, v23
	v_ashrrev_i32_e32 v19, 31, v19
	v_xor_b32_e32 v25, s0, v25
	v_cmp_gt_i32_e64 s0, 0, v23
	v_and_b32_e32 v18, v18, v22
	v_ashrrev_i32_e32 v21, 31, v21
	v_xor_b32_e32 v19, vcc_lo, v19
	v_mul_u32_u24_e32 v22, 9, v1
	s_delay_alu instid0(VALU_DEP_4) | instskip(NEXT) | instid1(VALU_DEP_4)
	v_and_b32_e32 v18, v18, v25
	v_xor_b32_e32 v21, s0, v21
	s_delay_alu instid0(VALU_DEP_3)
	v_lshlrev_b32_e32 v14, 2, v22
	ds_store_2addr_b32 v14, v15, v15 offset0:8 offset1:9
	ds_store_2addr_b32 v14, v15, v15 offset0:10 offset1:11
	;; [unrolled: 1-line block ×4, first 2 shown]
	v_and_b32_e32 v23, v18, v19
	s_waitcnt vmcnt(0)
	v_mad_u64_u32 v[18:19], null, v0, v13, v[1:2]
	ds_store_b32 v14, v15 offset:64
	v_mul_u32_u24_e32 v15, 9, v3
	v_and_b32_e32 v0, v23, v21
	s_waitcnt lgkmcnt(0)
	s_waitcnt_vscnt null, 0x0
	s_barrier
	buffer_gl0_inv
	v_lshrrev_b32_e32 v3, 5, v18
	v_mbcnt_lo_u32_b32 v13, v0, 0
	v_cmp_ne_u32_e64 s0, 0, v0
	; wave barrier
	s_delay_alu instid0(VALU_DEP_3) | instskip(NEXT) | instid1(VALU_DEP_3)
	v_add_lshl_u32 v15, v3, v15, 2
	v_cmp_eq_u32_e32 vcc_lo, 0, v13
	s_delay_alu instid0(VALU_DEP_3) | instskip(NEXT) | instid1(SALU_CYCLE_1)
	s_and_b32 s3, s0, vcc_lo
	s_and_saveexec_b32 s0, s3
	s_cbranch_execz .LBB38_221
; %bb.220:
	v_bcnt_u32_b32 v0, v0, 0
	ds_store_b32 v15, v0 offset:32
.LBB38_221:
	s_or_b32 exec_lo, exec_lo, s0
	v_xor_b32_e32 v0, 0x7f, v17
	; wave barrier
	s_delay_alu instid0(VALU_DEP_1) | instskip(NEXT) | instid1(VALU_DEP_1)
	v_and_b32_e32 v17, 0xff, v0
	v_lshrrev_b32_e32 v17, s60, v17
	s_delay_alu instid0(VALU_DEP_1) | instskip(NEXT) | instid1(VALU_DEP_1)
	v_and_b32_e32 v17, s1, v17
	v_and_b32_e32 v18, 1, v17
	v_lshlrev_b32_e32 v19, 30, v17
	v_lshlrev_b32_e32 v21, 29, v17
	;; [unrolled: 1-line block ×4, first 2 shown]
	v_add_co_u32 v18, s0, v18, -1
	s_delay_alu instid0(VALU_DEP_1)
	v_cndmask_b32_e64 v23, 0, 1, s0
	v_not_b32_e32 v29, v19
	v_cmp_gt_i32_e64 s0, 0, v19
	v_not_b32_e32 v19, v21
	v_lshlrev_b32_e32 v26, 26, v17
	v_cmp_ne_u32_e32 vcc_lo, 0, v23
	v_ashrrev_i32_e32 v29, 31, v29
	v_lshlrev_b32_e32 v27, 25, v17
	v_ashrrev_i32_e32 v19, 31, v19
	v_lshlrev_b32_e32 v23, 24, v17
	v_xor_b32_e32 v18, vcc_lo, v18
	v_cmp_gt_i32_e32 vcc_lo, 0, v21
	v_not_b32_e32 v21, v22
	v_xor_b32_e32 v29, s0, v29
	v_cmp_gt_i32_e64 s0, 0, v22
	v_and_b32_e32 v18, exec_lo, v18
	v_not_b32_e32 v22, v25
	v_ashrrev_i32_e32 v21, 31, v21
	v_xor_b32_e32 v19, vcc_lo, v19
	v_cmp_gt_i32_e32 vcc_lo, 0, v25
	v_and_b32_e32 v18, v18, v29
	v_not_b32_e32 v25, v26
	v_ashrrev_i32_e32 v22, 31, v22
	v_xor_b32_e32 v21, s0, v21
	v_cmp_gt_i32_e64 s0, 0, v26
	v_and_b32_e32 v18, v18, v19
	v_not_b32_e32 v19, v27
	v_ashrrev_i32_e32 v25, 31, v25
	v_xor_b32_e32 v22, vcc_lo, v22
	v_cmp_gt_i32_e32 vcc_lo, 0, v27
	v_and_b32_e32 v18, v18, v21
	v_not_b32_e32 v21, v23
	v_ashrrev_i32_e32 v19, 31, v19
	v_xor_b32_e32 v25, s0, v25
	v_mul_u32_u24_e32 v17, 9, v17
	v_and_b32_e32 v18, v18, v22
	v_cmp_gt_i32_e64 s0, 0, v23
	v_ashrrev_i32_e32 v21, 31, v21
	v_xor_b32_e32 v22, vcc_lo, v19
	v_add_lshl_u32 v19, v3, v17, 2
	v_and_b32_e32 v18, v18, v25
	s_delay_alu instid0(VALU_DEP_4) | instskip(SKIP_2) | instid1(VALU_DEP_1)
	v_xor_b32_e32 v21, s0, v21
	ds_load_b32 v17, v19 offset:32
	v_and_b32_e32 v18, v18, v22
	; wave barrier
	v_and_b32_e32 v21, v18, v21
	s_delay_alu instid0(VALU_DEP_1) | instskip(SKIP_1) | instid1(VALU_DEP_2)
	v_mbcnt_lo_u32_b32 v18, v21, 0
	v_cmp_ne_u32_e64 s0, 0, v21
	v_cmp_eq_u32_e32 vcc_lo, 0, v18
	s_delay_alu instid0(VALU_DEP_2) | instskip(NEXT) | instid1(SALU_CYCLE_1)
	s_and_b32 s3, s0, vcc_lo
	s_and_saveexec_b32 s0, s3
	s_cbranch_execz .LBB38_223
; %bb.222:
	s_waitcnt lgkmcnt(0)
	v_bcnt_u32_b32 v21, v21, v17
	ds_store_b32 v19, v21 offset:32
.LBB38_223:
	s_or_b32 exec_lo, exec_lo, s0
	v_xor_b32_e32 v16, 0x7f, v16
	; wave barrier
	s_delay_alu instid0(VALU_DEP_1) | instskip(NEXT) | instid1(VALU_DEP_1)
	v_and_b32_e32 v21, 0xff, v16
	v_lshrrev_b32_e32 v21, s60, v21
	s_delay_alu instid0(VALU_DEP_1) | instskip(NEXT) | instid1(VALU_DEP_1)
	v_and_b32_e32 v21, s1, v21
	v_and_b32_e32 v22, 1, v21
	v_lshlrev_b32_e32 v23, 30, v21
	v_lshlrev_b32_e32 v25, 29, v21
	;; [unrolled: 1-line block ×4, first 2 shown]
	v_add_co_u32 v22, s0, v22, -1
	s_delay_alu instid0(VALU_DEP_1)
	v_cndmask_b32_e64 v27, 0, 1, s0
	v_not_b32_e32 v33, v23
	v_cmp_gt_i32_e64 s0, 0, v23
	v_not_b32_e32 v23, v25
	v_lshlrev_b32_e32 v30, 26, v21
	v_cmp_ne_u32_e32 vcc_lo, 0, v27
	v_ashrrev_i32_e32 v33, 31, v33
	v_lshlrev_b32_e32 v31, 25, v21
	v_ashrrev_i32_e32 v23, 31, v23
	v_lshlrev_b32_e32 v27, 24, v21
	v_xor_b32_e32 v22, vcc_lo, v22
	v_cmp_gt_i32_e32 vcc_lo, 0, v25
	v_not_b32_e32 v25, v26
	v_xor_b32_e32 v33, s0, v33
	v_cmp_gt_i32_e64 s0, 0, v26
	v_and_b32_e32 v22, exec_lo, v22
	v_not_b32_e32 v26, v29
	v_ashrrev_i32_e32 v25, 31, v25
	v_xor_b32_e32 v23, vcc_lo, v23
	v_cmp_gt_i32_e32 vcc_lo, 0, v29
	v_and_b32_e32 v22, v22, v33
	v_not_b32_e32 v29, v30
	v_ashrrev_i32_e32 v26, 31, v26
	v_xor_b32_e32 v25, s0, v25
	v_cmp_gt_i32_e64 s0, 0, v30
	v_and_b32_e32 v22, v22, v23
	v_not_b32_e32 v23, v31
	v_ashrrev_i32_e32 v29, 31, v29
	v_xor_b32_e32 v26, vcc_lo, v26
	v_cmp_gt_i32_e32 vcc_lo, 0, v31
	v_and_b32_e32 v22, v22, v25
	v_not_b32_e32 v25, v27
	v_ashrrev_i32_e32 v23, 31, v23
	v_xor_b32_e32 v29, s0, v29
	v_mul_u32_u24_e32 v21, 9, v21
	v_and_b32_e32 v22, v22, v26
	v_cmp_gt_i32_e64 s0, 0, v27
	v_ashrrev_i32_e32 v25, 31, v25
	v_xor_b32_e32 v26, vcc_lo, v23
	v_add_lshl_u32 v23, v3, v21, 2
	v_and_b32_e32 v22, v22, v29
	s_delay_alu instid0(VALU_DEP_4) | instskip(SKIP_2) | instid1(VALU_DEP_1)
	v_xor_b32_e32 v25, s0, v25
	ds_load_b32 v21, v23 offset:32
	v_and_b32_e32 v22, v22, v26
	; wave barrier
	v_and_b32_e32 v25, v22, v25
	s_delay_alu instid0(VALU_DEP_1) | instskip(SKIP_1) | instid1(VALU_DEP_2)
	v_mbcnt_lo_u32_b32 v22, v25, 0
	v_cmp_ne_u32_e64 s0, 0, v25
	v_cmp_eq_u32_e32 vcc_lo, 0, v22
	s_delay_alu instid0(VALU_DEP_2) | instskip(NEXT) | instid1(SALU_CYCLE_1)
	s_and_b32 s3, s0, vcc_lo
	s_and_saveexec_b32 s0, s3
	s_cbranch_execz .LBB38_225
; %bb.224:
	s_waitcnt lgkmcnt(0)
	v_bcnt_u32_b32 v25, v25, v21
	ds_store_b32 v23, v25 offset:32
.LBB38_225:
	s_or_b32 exec_lo, exec_lo, s0
	v_xor_b32_e32 v20, 0x7f, v20
	; wave barrier
	s_delay_alu instid0(VALU_DEP_1) | instskip(NEXT) | instid1(VALU_DEP_1)
	v_and_b32_e32 v25, 0xff, v20
	v_lshrrev_b32_e32 v25, s60, v25
	s_delay_alu instid0(VALU_DEP_1) | instskip(NEXT) | instid1(VALU_DEP_1)
	v_and_b32_e32 v25, s1, v25
	v_and_b32_e32 v26, 1, v25
	v_lshlrev_b32_e32 v27, 30, v25
	v_lshlrev_b32_e32 v29, 29, v25
	;; [unrolled: 1-line block ×4, first 2 shown]
	v_add_co_u32 v26, s0, v26, -1
	s_delay_alu instid0(VALU_DEP_1)
	v_cndmask_b32_e64 v31, 0, 1, s0
	v_not_b32_e32 v37, v27
	v_cmp_gt_i32_e64 s0, 0, v27
	v_not_b32_e32 v27, v29
	v_lshlrev_b32_e32 v34, 26, v25
	v_cmp_ne_u32_e32 vcc_lo, 0, v31
	v_ashrrev_i32_e32 v37, 31, v37
	v_lshlrev_b32_e32 v35, 25, v25
	v_ashrrev_i32_e32 v27, 31, v27
	v_lshlrev_b32_e32 v31, 24, v25
	v_xor_b32_e32 v26, vcc_lo, v26
	v_cmp_gt_i32_e32 vcc_lo, 0, v29
	v_not_b32_e32 v29, v30
	v_xor_b32_e32 v37, s0, v37
	v_cmp_gt_i32_e64 s0, 0, v30
	v_and_b32_e32 v26, exec_lo, v26
	v_not_b32_e32 v30, v33
	v_ashrrev_i32_e32 v29, 31, v29
	v_xor_b32_e32 v27, vcc_lo, v27
	v_cmp_gt_i32_e32 vcc_lo, 0, v33
	v_and_b32_e32 v26, v26, v37
	v_not_b32_e32 v33, v34
	v_ashrrev_i32_e32 v30, 31, v30
	v_xor_b32_e32 v29, s0, v29
	v_cmp_gt_i32_e64 s0, 0, v34
	v_and_b32_e32 v26, v26, v27
	v_not_b32_e32 v27, v35
	v_ashrrev_i32_e32 v33, 31, v33
	v_xor_b32_e32 v30, vcc_lo, v30
	v_cmp_gt_i32_e32 vcc_lo, 0, v35
	v_and_b32_e32 v26, v26, v29
	v_not_b32_e32 v29, v31
	v_ashrrev_i32_e32 v27, 31, v27
	v_xor_b32_e32 v33, s0, v33
	v_mul_u32_u24_e32 v25, 9, v25
	v_and_b32_e32 v26, v26, v30
	v_cmp_gt_i32_e64 s0, 0, v31
	v_ashrrev_i32_e32 v29, 31, v29
	v_xor_b32_e32 v30, vcc_lo, v27
	v_add_lshl_u32 v27, v3, v25, 2
	v_and_b32_e32 v26, v26, v33
	s_delay_alu instid0(VALU_DEP_4) | instskip(SKIP_2) | instid1(VALU_DEP_1)
	v_xor_b32_e32 v29, s0, v29
	ds_load_b32 v25, v27 offset:32
	v_and_b32_e32 v26, v26, v30
	; wave barrier
	v_and_b32_e32 v29, v26, v29
	s_delay_alu instid0(VALU_DEP_1) | instskip(SKIP_1) | instid1(VALU_DEP_2)
	v_mbcnt_lo_u32_b32 v26, v29, 0
	v_cmp_ne_u32_e64 s0, 0, v29
	v_cmp_eq_u32_e32 vcc_lo, 0, v26
	s_delay_alu instid0(VALU_DEP_2) | instskip(NEXT) | instid1(SALU_CYCLE_1)
	s_and_b32 s3, s0, vcc_lo
	s_and_saveexec_b32 s0, s3
	s_cbranch_execz .LBB38_227
; %bb.226:
	s_waitcnt lgkmcnt(0)
	v_bcnt_u32_b32 v29, v29, v25
	ds_store_b32 v27, v29 offset:32
.LBB38_227:
	s_or_b32 exec_lo, exec_lo, s0
	v_xor_b32_e32 v24, 0x7f, v24
	; wave barrier
	s_delay_alu instid0(VALU_DEP_1) | instskip(NEXT) | instid1(VALU_DEP_1)
	v_and_b32_e32 v29, 0xff, v24
	v_lshrrev_b32_e32 v29, s60, v29
	s_delay_alu instid0(VALU_DEP_1) | instskip(NEXT) | instid1(VALU_DEP_1)
	v_and_b32_e32 v29, s1, v29
	v_and_b32_e32 v30, 1, v29
	v_lshlrev_b32_e32 v31, 30, v29
	v_lshlrev_b32_e32 v33, 29, v29
	;; [unrolled: 1-line block ×4, first 2 shown]
	v_add_co_u32 v30, s0, v30, -1
	s_delay_alu instid0(VALU_DEP_1)
	v_cndmask_b32_e64 v35, 0, 1, s0
	v_not_b32_e32 v41, v31
	v_cmp_gt_i32_e64 s0, 0, v31
	v_not_b32_e32 v31, v33
	v_lshlrev_b32_e32 v38, 26, v29
	v_cmp_ne_u32_e32 vcc_lo, 0, v35
	v_ashrrev_i32_e32 v41, 31, v41
	v_lshlrev_b32_e32 v39, 25, v29
	v_ashrrev_i32_e32 v31, 31, v31
	v_lshlrev_b32_e32 v35, 24, v29
	v_xor_b32_e32 v30, vcc_lo, v30
	v_cmp_gt_i32_e32 vcc_lo, 0, v33
	v_not_b32_e32 v33, v34
	v_xor_b32_e32 v41, s0, v41
	v_cmp_gt_i32_e64 s0, 0, v34
	v_and_b32_e32 v30, exec_lo, v30
	v_not_b32_e32 v34, v37
	v_ashrrev_i32_e32 v33, 31, v33
	v_xor_b32_e32 v31, vcc_lo, v31
	v_cmp_gt_i32_e32 vcc_lo, 0, v37
	v_and_b32_e32 v30, v30, v41
	v_not_b32_e32 v37, v38
	v_ashrrev_i32_e32 v34, 31, v34
	v_xor_b32_e32 v33, s0, v33
	v_cmp_gt_i32_e64 s0, 0, v38
	v_and_b32_e32 v30, v30, v31
	v_not_b32_e32 v31, v39
	v_ashrrev_i32_e32 v37, 31, v37
	v_xor_b32_e32 v34, vcc_lo, v34
	v_cmp_gt_i32_e32 vcc_lo, 0, v39
	v_and_b32_e32 v30, v30, v33
	v_not_b32_e32 v33, v35
	v_ashrrev_i32_e32 v31, 31, v31
	v_xor_b32_e32 v37, s0, v37
	v_mul_u32_u24_e32 v29, 9, v29
	v_and_b32_e32 v30, v30, v34
	v_cmp_gt_i32_e64 s0, 0, v35
	v_ashrrev_i32_e32 v33, 31, v33
	v_xor_b32_e32 v34, vcc_lo, v31
	v_add_lshl_u32 v31, v3, v29, 2
	v_and_b32_e32 v30, v30, v37
	s_delay_alu instid0(VALU_DEP_4) | instskip(SKIP_2) | instid1(VALU_DEP_1)
	v_xor_b32_e32 v33, s0, v33
	ds_load_b32 v29, v31 offset:32
	v_and_b32_e32 v30, v30, v34
	; wave barrier
	v_and_b32_e32 v33, v30, v33
	s_delay_alu instid0(VALU_DEP_1) | instskip(SKIP_1) | instid1(VALU_DEP_2)
	v_mbcnt_lo_u32_b32 v30, v33, 0
	v_cmp_ne_u32_e64 s0, 0, v33
	v_cmp_eq_u32_e32 vcc_lo, 0, v30
	s_delay_alu instid0(VALU_DEP_2) | instskip(NEXT) | instid1(SALU_CYCLE_1)
	s_and_b32 s3, s0, vcc_lo
	s_and_saveexec_b32 s0, s3
	s_cbranch_execz .LBB38_229
; %bb.228:
	s_waitcnt lgkmcnt(0)
	v_bcnt_u32_b32 v33, v33, v29
	ds_store_b32 v31, v33 offset:32
.LBB38_229:
	s_or_b32 exec_lo, exec_lo, s0
	v_xor_b32_e32 v28, 0x7f, v28
	; wave barrier
	s_delay_alu instid0(VALU_DEP_1) | instskip(NEXT) | instid1(VALU_DEP_1)
	v_and_b32_e32 v33, 0xff, v28
	v_lshrrev_b32_e32 v33, s60, v33
	s_delay_alu instid0(VALU_DEP_1) | instskip(NEXT) | instid1(VALU_DEP_1)
	v_and_b32_e32 v33, s1, v33
	v_and_b32_e32 v34, 1, v33
	v_lshlrev_b32_e32 v35, 30, v33
	v_lshlrev_b32_e32 v37, 29, v33
	;; [unrolled: 1-line block ×4, first 2 shown]
	v_add_co_u32 v34, s0, v34, -1
	s_delay_alu instid0(VALU_DEP_1)
	v_cndmask_b32_e64 v39, 0, 1, s0
	v_not_b32_e32 v45, v35
	v_cmp_gt_i32_e64 s0, 0, v35
	v_not_b32_e32 v35, v37
	v_lshlrev_b32_e32 v42, 26, v33
	v_cmp_ne_u32_e32 vcc_lo, 0, v39
	v_ashrrev_i32_e32 v45, 31, v45
	v_lshlrev_b32_e32 v43, 25, v33
	v_ashrrev_i32_e32 v35, 31, v35
	v_lshlrev_b32_e32 v39, 24, v33
	v_xor_b32_e32 v34, vcc_lo, v34
	v_cmp_gt_i32_e32 vcc_lo, 0, v37
	v_not_b32_e32 v37, v38
	v_xor_b32_e32 v45, s0, v45
	v_cmp_gt_i32_e64 s0, 0, v38
	v_and_b32_e32 v34, exec_lo, v34
	v_not_b32_e32 v38, v41
	v_ashrrev_i32_e32 v37, 31, v37
	v_xor_b32_e32 v35, vcc_lo, v35
	v_cmp_gt_i32_e32 vcc_lo, 0, v41
	v_and_b32_e32 v34, v34, v45
	v_not_b32_e32 v41, v42
	v_ashrrev_i32_e32 v38, 31, v38
	v_xor_b32_e32 v37, s0, v37
	v_cmp_gt_i32_e64 s0, 0, v42
	v_and_b32_e32 v34, v34, v35
	v_not_b32_e32 v35, v43
	v_ashrrev_i32_e32 v41, 31, v41
	v_xor_b32_e32 v38, vcc_lo, v38
	v_cmp_gt_i32_e32 vcc_lo, 0, v43
	v_and_b32_e32 v34, v34, v37
	v_not_b32_e32 v37, v39
	v_ashrrev_i32_e32 v35, 31, v35
	v_xor_b32_e32 v41, s0, v41
	v_mul_u32_u24_e32 v33, 9, v33
	v_and_b32_e32 v34, v34, v38
	v_cmp_gt_i32_e64 s0, 0, v39
	v_ashrrev_i32_e32 v37, 31, v37
	v_xor_b32_e32 v38, vcc_lo, v35
	v_add_lshl_u32 v35, v3, v33, 2
	v_and_b32_e32 v34, v34, v41
	s_delay_alu instid0(VALU_DEP_4) | instskip(SKIP_2) | instid1(VALU_DEP_1)
	v_xor_b32_e32 v37, s0, v37
	ds_load_b32 v33, v35 offset:32
	v_and_b32_e32 v34, v34, v38
	; wave barrier
	v_and_b32_e32 v37, v34, v37
	s_delay_alu instid0(VALU_DEP_1) | instskip(SKIP_1) | instid1(VALU_DEP_2)
	v_mbcnt_lo_u32_b32 v34, v37, 0
	v_cmp_ne_u32_e64 s0, 0, v37
	v_cmp_eq_u32_e32 vcc_lo, 0, v34
	s_delay_alu instid0(VALU_DEP_2) | instskip(NEXT) | instid1(SALU_CYCLE_1)
	s_and_b32 s3, s0, vcc_lo
	s_and_saveexec_b32 s0, s3
	s_cbranch_execz .LBB38_231
; %bb.230:
	s_waitcnt lgkmcnt(0)
	v_bcnt_u32_b32 v37, v37, v33
	ds_store_b32 v35, v37 offset:32
.LBB38_231:
	s_or_b32 exec_lo, exec_lo, s0
	v_xor_b32_e32 v32, 0x7f, v32
	; wave barrier
	s_delay_alu instid0(VALU_DEP_1) | instskip(NEXT) | instid1(VALU_DEP_1)
	v_and_b32_e32 v37, 0xff, v32
	v_lshrrev_b32_e32 v37, s60, v37
	s_delay_alu instid0(VALU_DEP_1) | instskip(NEXT) | instid1(VALU_DEP_1)
	v_and_b32_e32 v37, s1, v37
	v_and_b32_e32 v38, 1, v37
	v_lshlrev_b32_e32 v39, 30, v37
	v_lshlrev_b32_e32 v41, 29, v37
	;; [unrolled: 1-line block ×4, first 2 shown]
	v_add_co_u32 v38, s0, v38, -1
	s_delay_alu instid0(VALU_DEP_1)
	v_cndmask_b32_e64 v43, 0, 1, s0
	v_not_b32_e32 v50, v39
	v_cmp_gt_i32_e64 s0, 0, v39
	v_not_b32_e32 v39, v41
	v_lshlrev_b32_e32 v46, 26, v37
	v_cmp_ne_u32_e32 vcc_lo, 0, v43
	v_ashrrev_i32_e32 v50, 31, v50
	v_lshlrev_b32_e32 v47, 25, v37
	v_ashrrev_i32_e32 v39, 31, v39
	v_lshlrev_b32_e32 v43, 24, v37
	v_xor_b32_e32 v38, vcc_lo, v38
	v_cmp_gt_i32_e32 vcc_lo, 0, v41
	v_not_b32_e32 v41, v42
	v_xor_b32_e32 v50, s0, v50
	v_cmp_gt_i32_e64 s0, 0, v42
	v_and_b32_e32 v38, exec_lo, v38
	v_not_b32_e32 v42, v45
	v_ashrrev_i32_e32 v41, 31, v41
	v_xor_b32_e32 v39, vcc_lo, v39
	v_cmp_gt_i32_e32 vcc_lo, 0, v45
	v_and_b32_e32 v38, v38, v50
	v_not_b32_e32 v45, v46
	v_ashrrev_i32_e32 v42, 31, v42
	v_xor_b32_e32 v41, s0, v41
	v_cmp_gt_i32_e64 s0, 0, v46
	v_and_b32_e32 v38, v38, v39
	v_not_b32_e32 v39, v47
	v_ashrrev_i32_e32 v45, 31, v45
	v_xor_b32_e32 v42, vcc_lo, v42
	v_cmp_gt_i32_e32 vcc_lo, 0, v47
	v_and_b32_e32 v38, v38, v41
	v_not_b32_e32 v41, v43
	v_ashrrev_i32_e32 v39, 31, v39
	v_xor_b32_e32 v45, s0, v45
	v_mul_u32_u24_e32 v37, 9, v37
	v_and_b32_e32 v38, v38, v42
	v_cmp_gt_i32_e64 s0, 0, v43
	v_ashrrev_i32_e32 v41, 31, v41
	v_xor_b32_e32 v42, vcc_lo, v39
	v_add_lshl_u32 v39, v3, v37, 2
	v_and_b32_e32 v38, v38, v45
	s_delay_alu instid0(VALU_DEP_4) | instskip(SKIP_2) | instid1(VALU_DEP_1)
	v_xor_b32_e32 v41, s0, v41
	ds_load_b32 v37, v39 offset:32
	v_and_b32_e32 v38, v38, v42
	; wave barrier
	v_and_b32_e32 v41, v38, v41
	s_delay_alu instid0(VALU_DEP_1) | instskip(SKIP_1) | instid1(VALU_DEP_2)
	v_mbcnt_lo_u32_b32 v38, v41, 0
	v_cmp_ne_u32_e64 s0, 0, v41
	v_cmp_eq_u32_e32 vcc_lo, 0, v38
	s_delay_alu instid0(VALU_DEP_2) | instskip(NEXT) | instid1(SALU_CYCLE_1)
	s_and_b32 s3, s0, vcc_lo
	s_and_saveexec_b32 s0, s3
	s_cbranch_execz .LBB38_233
; %bb.232:
	s_waitcnt lgkmcnt(0)
	v_bcnt_u32_b32 v41, v41, v37
	ds_store_b32 v39, v41 offset:32
.LBB38_233:
	s_or_b32 exec_lo, exec_lo, s0
	v_xor_b32_e32 v36, 0x7f, v36
	; wave barrier
	s_delay_alu instid0(VALU_DEP_1) | instskip(NEXT) | instid1(VALU_DEP_1)
	v_and_b32_e32 v41, 0xff, v36
	v_lshrrev_b32_e32 v41, s60, v41
	s_delay_alu instid0(VALU_DEP_1) | instskip(NEXT) | instid1(VALU_DEP_1)
	v_and_b32_e32 v41, s1, v41
	v_and_b32_e32 v42, 1, v41
	v_lshlrev_b32_e32 v43, 30, v41
	v_lshlrev_b32_e32 v45, 29, v41
	;; [unrolled: 1-line block ×4, first 2 shown]
	v_add_co_u32 v42, s0, v42, -1
	s_delay_alu instid0(VALU_DEP_1)
	v_cndmask_b32_e64 v47, 0, 1, s0
	v_not_b32_e32 v56, v43
	v_cmp_gt_i32_e64 s0, 0, v43
	v_not_b32_e32 v43, v45
	v_lshlrev_b32_e32 v52, 26, v41
	v_cmp_ne_u32_e32 vcc_lo, 0, v47
	v_ashrrev_i32_e32 v56, 31, v56
	v_lshlrev_b32_e32 v53, 25, v41
	v_ashrrev_i32_e32 v43, 31, v43
	v_lshlrev_b32_e32 v47, 24, v41
	v_xor_b32_e32 v42, vcc_lo, v42
	v_cmp_gt_i32_e32 vcc_lo, 0, v45
	v_not_b32_e32 v45, v46
	v_xor_b32_e32 v56, s0, v56
	v_cmp_gt_i32_e64 s0, 0, v46
	v_and_b32_e32 v42, exec_lo, v42
	v_not_b32_e32 v46, v50
	v_ashrrev_i32_e32 v45, 31, v45
	v_xor_b32_e32 v43, vcc_lo, v43
	v_cmp_gt_i32_e32 vcc_lo, 0, v50
	v_and_b32_e32 v42, v42, v56
	v_not_b32_e32 v50, v52
	v_ashrrev_i32_e32 v46, 31, v46
	v_xor_b32_e32 v45, s0, v45
	v_cmp_gt_i32_e64 s0, 0, v52
	v_and_b32_e32 v42, v42, v43
	v_not_b32_e32 v43, v53
	v_ashrrev_i32_e32 v50, 31, v50
	v_xor_b32_e32 v46, vcc_lo, v46
	v_cmp_gt_i32_e32 vcc_lo, 0, v53
	v_and_b32_e32 v42, v42, v45
	v_not_b32_e32 v45, v47
	v_ashrrev_i32_e32 v43, 31, v43
	v_xor_b32_e32 v50, s0, v50
	v_mul_u32_u24_e32 v41, 9, v41
	v_and_b32_e32 v42, v42, v46
	v_cmp_gt_i32_e64 s0, 0, v47
	v_ashrrev_i32_e32 v45, 31, v45
	v_xor_b32_e32 v46, vcc_lo, v43
	v_add_lshl_u32 v43, v3, v41, 2
	v_and_b32_e32 v42, v42, v50
	s_delay_alu instid0(VALU_DEP_4) | instskip(SKIP_2) | instid1(VALU_DEP_1)
	v_xor_b32_e32 v45, s0, v45
	ds_load_b32 v41, v43 offset:32
	v_and_b32_e32 v42, v42, v46
	; wave barrier
	v_and_b32_e32 v45, v42, v45
	s_delay_alu instid0(VALU_DEP_1) | instskip(SKIP_1) | instid1(VALU_DEP_2)
	v_mbcnt_lo_u32_b32 v42, v45, 0
	v_cmp_ne_u32_e64 s0, 0, v45
	v_cmp_eq_u32_e32 vcc_lo, 0, v42
	s_delay_alu instid0(VALU_DEP_2) | instskip(NEXT) | instid1(SALU_CYCLE_1)
	s_and_b32 s3, s0, vcc_lo
	s_and_saveexec_b32 s0, s3
	s_cbranch_execz .LBB38_235
; %bb.234:
	s_waitcnt lgkmcnt(0)
	v_bcnt_u32_b32 v45, v45, v41
	ds_store_b32 v43, v45 offset:32
.LBB38_235:
	s_or_b32 exec_lo, exec_lo, s0
	v_xor_b32_e32 v40, 0x7f, v40
	; wave barrier
	s_delay_alu instid0(VALU_DEP_1) | instskip(NEXT) | instid1(VALU_DEP_1)
	v_and_b32_e32 v45, 0xff, v40
	v_lshrrev_b32_e32 v45, s60, v45
	s_delay_alu instid0(VALU_DEP_1) | instskip(NEXT) | instid1(VALU_DEP_1)
	v_and_b32_e32 v45, s1, v45
	v_and_b32_e32 v46, 1, v45
	v_lshlrev_b32_e32 v47, 30, v45
	v_lshlrev_b32_e32 v50, 29, v45
	v_lshlrev_b32_e32 v52, 28, v45
	v_lshlrev_b32_e32 v56, 27, v45
	v_add_co_u32 v46, s0, v46, -1
	s_delay_alu instid0(VALU_DEP_1)
	v_cndmask_b32_e64 v53, 0, 1, s0
	v_not_b32_e32 v60, v47
	v_cmp_gt_i32_e64 s0, 0, v47
	v_not_b32_e32 v47, v50
	v_lshlrev_b32_e32 v57, 26, v45
	v_cmp_ne_u32_e32 vcc_lo, 0, v53
	v_ashrrev_i32_e32 v60, 31, v60
	v_lshlrev_b32_e32 v58, 25, v45
	v_ashrrev_i32_e32 v47, 31, v47
	v_lshlrev_b32_e32 v53, 24, v45
	v_xor_b32_e32 v46, vcc_lo, v46
	v_cmp_gt_i32_e32 vcc_lo, 0, v50
	v_not_b32_e32 v50, v52
	v_xor_b32_e32 v60, s0, v60
	v_cmp_gt_i32_e64 s0, 0, v52
	v_and_b32_e32 v46, exec_lo, v46
	v_not_b32_e32 v52, v56
	v_ashrrev_i32_e32 v50, 31, v50
	v_xor_b32_e32 v47, vcc_lo, v47
	v_cmp_gt_i32_e32 vcc_lo, 0, v56
	v_and_b32_e32 v46, v46, v60
	v_not_b32_e32 v56, v57
	v_ashrrev_i32_e32 v52, 31, v52
	v_xor_b32_e32 v50, s0, v50
	v_cmp_gt_i32_e64 s0, 0, v57
	v_and_b32_e32 v46, v46, v47
	v_not_b32_e32 v47, v58
	v_ashrrev_i32_e32 v56, 31, v56
	v_xor_b32_e32 v52, vcc_lo, v52
	v_cmp_gt_i32_e32 vcc_lo, 0, v58
	v_and_b32_e32 v46, v46, v50
	v_not_b32_e32 v50, v53
	v_ashrrev_i32_e32 v47, 31, v47
	v_xor_b32_e32 v56, s0, v56
	v_mul_u32_u24_e32 v45, 9, v45
	v_and_b32_e32 v46, v46, v52
	v_cmp_gt_i32_e64 s0, 0, v53
	v_ashrrev_i32_e32 v50, 31, v50
	v_xor_b32_e32 v52, vcc_lo, v47
	v_add_lshl_u32 v47, v3, v45, 2
	v_and_b32_e32 v46, v46, v56
	s_delay_alu instid0(VALU_DEP_4) | instskip(SKIP_2) | instid1(VALU_DEP_1)
	v_xor_b32_e32 v50, s0, v50
	ds_load_b32 v45, v47 offset:32
	v_and_b32_e32 v46, v46, v52
	; wave barrier
	v_and_b32_e32 v50, v46, v50
	s_delay_alu instid0(VALU_DEP_1) | instskip(SKIP_1) | instid1(VALU_DEP_2)
	v_mbcnt_lo_u32_b32 v46, v50, 0
	v_cmp_ne_u32_e64 s0, 0, v50
	v_cmp_eq_u32_e32 vcc_lo, 0, v46
	s_delay_alu instid0(VALU_DEP_2) | instskip(NEXT) | instid1(SALU_CYCLE_1)
	s_and_b32 s3, s0, vcc_lo
	s_and_saveexec_b32 s0, s3
	s_cbranch_execz .LBB38_237
; %bb.236:
	s_waitcnt lgkmcnt(0)
	v_bcnt_u32_b32 v50, v50, v45
	ds_store_b32 v47, v50 offset:32
.LBB38_237:
	s_or_b32 exec_lo, exec_lo, s0
	v_xor_b32_e32 v44, 0x7f, v44
	; wave barrier
	s_delay_alu instid0(VALU_DEP_1) | instskip(NEXT) | instid1(VALU_DEP_1)
	v_and_b32_e32 v50, 0xff, v44
	v_lshrrev_b32_e32 v50, s60, v50
	s_delay_alu instid0(VALU_DEP_1) | instskip(NEXT) | instid1(VALU_DEP_1)
	v_and_b32_e32 v50, s1, v50
	v_and_b32_e32 v52, 1, v50
	v_lshlrev_b32_e32 v53, 30, v50
	v_lshlrev_b32_e32 v56, 29, v50
	;; [unrolled: 1-line block ×4, first 2 shown]
	v_add_co_u32 v52, s0, v52, -1
	s_delay_alu instid0(VALU_DEP_1)
	v_cndmask_b32_e64 v58, 0, 1, s0
	v_not_b32_e32 v63, v53
	v_cmp_gt_i32_e64 s0, 0, v53
	v_not_b32_e32 v53, v56
	v_lshlrev_b32_e32 v61, 26, v50
	v_cmp_ne_u32_e32 vcc_lo, 0, v58
	v_ashrrev_i32_e32 v63, 31, v63
	v_lshlrev_b32_e32 v62, 25, v50
	v_ashrrev_i32_e32 v53, 31, v53
	v_lshlrev_b32_e32 v58, 24, v50
	v_xor_b32_e32 v52, vcc_lo, v52
	v_cmp_gt_i32_e32 vcc_lo, 0, v56
	v_not_b32_e32 v56, v57
	v_xor_b32_e32 v63, s0, v63
	v_cmp_gt_i32_e64 s0, 0, v57
	v_and_b32_e32 v52, exec_lo, v52
	v_not_b32_e32 v57, v60
	v_ashrrev_i32_e32 v56, 31, v56
	v_xor_b32_e32 v53, vcc_lo, v53
	v_cmp_gt_i32_e32 vcc_lo, 0, v60
	v_and_b32_e32 v52, v52, v63
	v_not_b32_e32 v60, v61
	v_ashrrev_i32_e32 v57, 31, v57
	v_xor_b32_e32 v56, s0, v56
	v_cmp_gt_i32_e64 s0, 0, v61
	v_and_b32_e32 v52, v52, v53
	v_not_b32_e32 v53, v62
	v_ashrrev_i32_e32 v60, 31, v60
	v_xor_b32_e32 v57, vcc_lo, v57
	v_cmp_gt_i32_e32 vcc_lo, 0, v62
	v_and_b32_e32 v52, v52, v56
	v_not_b32_e32 v56, v58
	v_ashrrev_i32_e32 v53, 31, v53
	v_xor_b32_e32 v60, s0, v60
	v_mul_u32_u24_e32 v50, 9, v50
	v_and_b32_e32 v52, v52, v57
	v_cmp_gt_i32_e64 s0, 0, v58
	v_ashrrev_i32_e32 v56, 31, v56
	v_xor_b32_e32 v57, vcc_lo, v53
	v_add_lshl_u32 v53, v3, v50, 2
	v_and_b32_e32 v52, v52, v60
	s_delay_alu instid0(VALU_DEP_4) | instskip(SKIP_2) | instid1(VALU_DEP_1)
	v_xor_b32_e32 v56, s0, v56
	ds_load_b32 v50, v53 offset:32
	v_and_b32_e32 v52, v52, v57
	; wave barrier
	v_and_b32_e32 v56, v52, v56
	s_delay_alu instid0(VALU_DEP_1) | instskip(SKIP_1) | instid1(VALU_DEP_2)
	v_mbcnt_lo_u32_b32 v52, v56, 0
	v_cmp_ne_u32_e64 s0, 0, v56
	v_cmp_eq_u32_e32 vcc_lo, 0, v52
	s_delay_alu instid0(VALU_DEP_2) | instskip(NEXT) | instid1(SALU_CYCLE_1)
	s_and_b32 s3, s0, vcc_lo
	s_and_saveexec_b32 s0, s3
	s_cbranch_execz .LBB38_239
; %bb.238:
	s_waitcnt lgkmcnt(0)
	v_bcnt_u32_b32 v56, v56, v50
	ds_store_b32 v53, v56 offset:32
.LBB38_239:
	s_or_b32 exec_lo, exec_lo, s0
	v_xor_b32_e32 v49, 0x7f, v49
	; wave barrier
	s_delay_alu instid0(VALU_DEP_1) | instskip(NEXT) | instid1(VALU_DEP_1)
	v_and_b32_e32 v56, 0xff, v49
	v_lshrrev_b32_e32 v56, s60, v56
	s_delay_alu instid0(VALU_DEP_1) | instskip(NEXT) | instid1(VALU_DEP_1)
	v_and_b32_e32 v56, s1, v56
	v_and_b32_e32 v57, 1, v56
	v_lshlrev_b32_e32 v58, 30, v56
	v_lshlrev_b32_e32 v60, 29, v56
	;; [unrolled: 1-line block ×4, first 2 shown]
	v_add_co_u32 v57, s0, v57, -1
	s_delay_alu instid0(VALU_DEP_1)
	v_cndmask_b32_e64 v62, 0, 1, s0
	v_not_b32_e32 v66, v58
	v_cmp_gt_i32_e64 s0, 0, v58
	v_not_b32_e32 v58, v60
	v_lshlrev_b32_e32 v64, 26, v56
	v_cmp_ne_u32_e32 vcc_lo, 0, v62
	v_ashrrev_i32_e32 v66, 31, v66
	v_lshlrev_b32_e32 v65, 25, v56
	v_ashrrev_i32_e32 v58, 31, v58
	v_lshlrev_b32_e32 v62, 24, v56
	v_xor_b32_e32 v57, vcc_lo, v57
	v_cmp_gt_i32_e32 vcc_lo, 0, v60
	v_not_b32_e32 v60, v61
	v_xor_b32_e32 v66, s0, v66
	v_cmp_gt_i32_e64 s0, 0, v61
	v_and_b32_e32 v57, exec_lo, v57
	v_not_b32_e32 v61, v63
	v_ashrrev_i32_e32 v60, 31, v60
	v_xor_b32_e32 v58, vcc_lo, v58
	v_cmp_gt_i32_e32 vcc_lo, 0, v63
	v_and_b32_e32 v57, v57, v66
	v_not_b32_e32 v63, v64
	v_ashrrev_i32_e32 v61, 31, v61
	v_xor_b32_e32 v60, s0, v60
	v_cmp_gt_i32_e64 s0, 0, v64
	v_and_b32_e32 v57, v57, v58
	v_not_b32_e32 v58, v65
	v_ashrrev_i32_e32 v63, 31, v63
	v_xor_b32_e32 v61, vcc_lo, v61
	v_cmp_gt_i32_e32 vcc_lo, 0, v65
	v_and_b32_e32 v57, v57, v60
	v_not_b32_e32 v60, v62
	v_ashrrev_i32_e32 v58, 31, v58
	v_xor_b32_e32 v63, s0, v63
	v_mul_u32_u24_e32 v56, 9, v56
	v_and_b32_e32 v57, v57, v61
	v_cmp_gt_i32_e64 s0, 0, v62
	v_ashrrev_i32_e32 v60, 31, v60
	v_xor_b32_e32 v61, vcc_lo, v58
	v_add_lshl_u32 v58, v3, v56, 2
	v_and_b32_e32 v57, v57, v63
	s_delay_alu instid0(VALU_DEP_4) | instskip(SKIP_2) | instid1(VALU_DEP_1)
	v_xor_b32_e32 v60, s0, v60
	ds_load_b32 v56, v58 offset:32
	v_and_b32_e32 v57, v57, v61
	; wave barrier
	v_and_b32_e32 v60, v57, v60
	s_delay_alu instid0(VALU_DEP_1) | instskip(SKIP_1) | instid1(VALU_DEP_2)
	v_mbcnt_lo_u32_b32 v57, v60, 0
	v_cmp_ne_u32_e64 s0, 0, v60
	v_cmp_eq_u32_e32 vcc_lo, 0, v57
	s_delay_alu instid0(VALU_DEP_2) | instskip(NEXT) | instid1(SALU_CYCLE_1)
	s_and_b32 s3, s0, vcc_lo
	s_and_saveexec_b32 s0, s3
	s_cbranch_execz .LBB38_241
; %bb.240:
	s_waitcnt lgkmcnt(0)
	v_bcnt_u32_b32 v60, v60, v56
	ds_store_b32 v58, v60 offset:32
.LBB38_241:
	s_or_b32 exec_lo, exec_lo, s0
	v_xor_b32_e32 v55, 0x7f, v55
	; wave barrier
	s_delay_alu instid0(VALU_DEP_1) | instskip(NEXT) | instid1(VALU_DEP_1)
	v_and_b32_e32 v60, 0xff, v55
	v_lshrrev_b32_e32 v60, s60, v60
	s_delay_alu instid0(VALU_DEP_1) | instskip(NEXT) | instid1(VALU_DEP_1)
	v_and_b32_e32 v60, s1, v60
	v_and_b32_e32 v61, 1, v60
	v_lshlrev_b32_e32 v62, 30, v60
	v_lshlrev_b32_e32 v63, 29, v60
	;; [unrolled: 1-line block ×4, first 2 shown]
	v_add_co_u32 v61, s0, v61, -1
	s_delay_alu instid0(VALU_DEP_1)
	v_cndmask_b32_e64 v65, 0, 1, s0
	v_not_b32_e32 v69, v62
	v_cmp_gt_i32_e64 s0, 0, v62
	v_not_b32_e32 v62, v63
	v_lshlrev_b32_e32 v67, 26, v60
	v_cmp_ne_u32_e32 vcc_lo, 0, v65
	v_ashrrev_i32_e32 v69, 31, v69
	v_lshlrev_b32_e32 v68, 25, v60
	v_ashrrev_i32_e32 v62, 31, v62
	v_lshlrev_b32_e32 v65, 24, v60
	v_xor_b32_e32 v61, vcc_lo, v61
	v_cmp_gt_i32_e32 vcc_lo, 0, v63
	v_not_b32_e32 v63, v64
	v_xor_b32_e32 v69, s0, v69
	v_cmp_gt_i32_e64 s0, 0, v64
	v_and_b32_e32 v61, exec_lo, v61
	v_not_b32_e32 v64, v66
	v_ashrrev_i32_e32 v63, 31, v63
	v_xor_b32_e32 v62, vcc_lo, v62
	v_cmp_gt_i32_e32 vcc_lo, 0, v66
	v_and_b32_e32 v61, v61, v69
	v_not_b32_e32 v66, v67
	v_ashrrev_i32_e32 v64, 31, v64
	v_xor_b32_e32 v63, s0, v63
	v_cmp_gt_i32_e64 s0, 0, v67
	v_and_b32_e32 v61, v61, v62
	v_not_b32_e32 v62, v68
	v_ashrrev_i32_e32 v66, 31, v66
	v_xor_b32_e32 v64, vcc_lo, v64
	v_cmp_gt_i32_e32 vcc_lo, 0, v68
	v_and_b32_e32 v61, v61, v63
	v_not_b32_e32 v63, v65
	v_ashrrev_i32_e32 v62, 31, v62
	v_xor_b32_e32 v66, s0, v66
	v_mul_u32_u24_e32 v60, 9, v60
	v_and_b32_e32 v61, v61, v64
	v_cmp_gt_i32_e64 s0, 0, v65
	v_ashrrev_i32_e32 v63, 31, v63
	v_xor_b32_e32 v64, vcc_lo, v62
	v_add_lshl_u32 v62, v3, v60, 2
	v_and_b32_e32 v61, v61, v66
	s_delay_alu instid0(VALU_DEP_4) | instskip(SKIP_2) | instid1(VALU_DEP_1)
	v_xor_b32_e32 v63, s0, v63
	ds_load_b32 v60, v62 offset:32
	v_and_b32_e32 v61, v61, v64
	; wave barrier
	v_and_b32_e32 v63, v61, v63
	s_delay_alu instid0(VALU_DEP_1) | instskip(SKIP_1) | instid1(VALU_DEP_2)
	v_mbcnt_lo_u32_b32 v61, v63, 0
	v_cmp_ne_u32_e64 s0, 0, v63
	v_cmp_eq_u32_e32 vcc_lo, 0, v61
	s_delay_alu instid0(VALU_DEP_2) | instskip(NEXT) | instid1(SALU_CYCLE_1)
	s_and_b32 s3, s0, vcc_lo
	s_and_saveexec_b32 s0, s3
	s_cbranch_execz .LBB38_243
; %bb.242:
	s_waitcnt lgkmcnt(0)
	v_bcnt_u32_b32 v63, v63, v60
	ds_store_b32 v62, v63 offset:32
.LBB38_243:
	s_or_b32 exec_lo, exec_lo, s0
	v_xor_b32_e32 v59, 0x7f, v59
	; wave barrier
	s_delay_alu instid0(VALU_DEP_1) | instskip(NEXT) | instid1(VALU_DEP_1)
	v_and_b32_e32 v63, 0xff, v59
	v_lshrrev_b32_e32 v63, s60, v63
	s_delay_alu instid0(VALU_DEP_1) | instskip(NEXT) | instid1(VALU_DEP_1)
	v_and_b32_e32 v63, s1, v63
	v_and_b32_e32 v64, 1, v63
	v_lshlrev_b32_e32 v65, 30, v63
	v_lshlrev_b32_e32 v66, 29, v63
	v_lshlrev_b32_e32 v67, 28, v63
	v_lshlrev_b32_e32 v69, 27, v63
	v_add_co_u32 v64, s0, v64, -1
	s_delay_alu instid0(VALU_DEP_1)
	v_cndmask_b32_e64 v68, 0, 1, s0
	v_not_b32_e32 v72, v65
	v_cmp_gt_i32_e64 s0, 0, v65
	v_not_b32_e32 v65, v66
	v_lshlrev_b32_e32 v70, 26, v63
	v_cmp_ne_u32_e32 vcc_lo, 0, v68
	v_ashrrev_i32_e32 v72, 31, v72
	v_lshlrev_b32_e32 v71, 25, v63
	v_ashrrev_i32_e32 v65, 31, v65
	v_lshlrev_b32_e32 v68, 24, v63
	v_xor_b32_e32 v64, vcc_lo, v64
	v_cmp_gt_i32_e32 vcc_lo, 0, v66
	v_not_b32_e32 v66, v67
	v_xor_b32_e32 v72, s0, v72
	v_cmp_gt_i32_e64 s0, 0, v67
	v_and_b32_e32 v64, exec_lo, v64
	v_not_b32_e32 v67, v69
	v_ashrrev_i32_e32 v66, 31, v66
	v_xor_b32_e32 v65, vcc_lo, v65
	v_cmp_gt_i32_e32 vcc_lo, 0, v69
	v_and_b32_e32 v64, v64, v72
	v_not_b32_e32 v69, v70
	v_ashrrev_i32_e32 v67, 31, v67
	v_xor_b32_e32 v66, s0, v66
	v_cmp_gt_i32_e64 s0, 0, v70
	v_and_b32_e32 v64, v64, v65
	v_not_b32_e32 v65, v71
	v_ashrrev_i32_e32 v69, 31, v69
	v_xor_b32_e32 v67, vcc_lo, v67
	v_cmp_gt_i32_e32 vcc_lo, 0, v71
	v_and_b32_e32 v64, v64, v66
	v_not_b32_e32 v66, v68
	v_ashrrev_i32_e32 v65, 31, v65
	v_xor_b32_e32 v69, s0, v69
	v_mul_u32_u24_e32 v63, 9, v63
	v_and_b32_e32 v64, v64, v67
	v_cmp_gt_i32_e64 s0, 0, v68
	v_ashrrev_i32_e32 v66, 31, v66
	v_xor_b32_e32 v67, vcc_lo, v65
	v_add_lshl_u32 v65, v3, v63, 2
	v_and_b32_e32 v64, v64, v69
	s_delay_alu instid0(VALU_DEP_4) | instskip(SKIP_2) | instid1(VALU_DEP_1)
	v_xor_b32_e32 v66, s0, v66
	ds_load_b32 v63, v65 offset:32
	v_and_b32_e32 v64, v64, v67
	; wave barrier
	v_and_b32_e32 v66, v64, v66
	s_delay_alu instid0(VALU_DEP_1) | instskip(SKIP_1) | instid1(VALU_DEP_2)
	v_mbcnt_lo_u32_b32 v64, v66, 0
	v_cmp_ne_u32_e64 s0, 0, v66
	v_cmp_eq_u32_e32 vcc_lo, 0, v64
	s_delay_alu instid0(VALU_DEP_2) | instskip(NEXT) | instid1(SALU_CYCLE_1)
	s_and_b32 s3, s0, vcc_lo
	s_and_saveexec_b32 s0, s3
	s_cbranch_execz .LBB38_245
; %bb.244:
	s_waitcnt lgkmcnt(0)
	v_bcnt_u32_b32 v66, v66, v63
	ds_store_b32 v65, v66 offset:32
.LBB38_245:
	s_or_b32 exec_lo, exec_lo, s0
	v_xor_b32_e32 v54, 0x7f, v54
	; wave barrier
	s_delay_alu instid0(VALU_DEP_1) | instskip(NEXT) | instid1(VALU_DEP_1)
	v_and_b32_e32 v66, 0xff, v54
	v_lshrrev_b32_e32 v66, s60, v66
	s_delay_alu instid0(VALU_DEP_1) | instskip(NEXT) | instid1(VALU_DEP_1)
	v_and_b32_e32 v66, s1, v66
	v_and_b32_e32 v67, 1, v66
	v_lshlrev_b32_e32 v68, 30, v66
	v_lshlrev_b32_e32 v69, 29, v66
	;; [unrolled: 1-line block ×4, first 2 shown]
	v_add_co_u32 v67, s0, v67, -1
	s_delay_alu instid0(VALU_DEP_1)
	v_cndmask_b32_e64 v71, 0, 1, s0
	v_not_b32_e32 v75, v68
	v_cmp_gt_i32_e64 s0, 0, v68
	v_not_b32_e32 v68, v69
	v_lshlrev_b32_e32 v73, 26, v66
	v_cmp_ne_u32_e32 vcc_lo, 0, v71
	v_ashrrev_i32_e32 v75, 31, v75
	v_lshlrev_b32_e32 v74, 25, v66
	v_ashrrev_i32_e32 v68, 31, v68
	v_lshlrev_b32_e32 v71, 24, v66
	v_xor_b32_e32 v67, vcc_lo, v67
	v_cmp_gt_i32_e32 vcc_lo, 0, v69
	v_not_b32_e32 v69, v70
	v_xor_b32_e32 v75, s0, v75
	v_cmp_gt_i32_e64 s0, 0, v70
	v_and_b32_e32 v67, exec_lo, v67
	v_not_b32_e32 v70, v72
	v_ashrrev_i32_e32 v69, 31, v69
	v_xor_b32_e32 v68, vcc_lo, v68
	v_cmp_gt_i32_e32 vcc_lo, 0, v72
	v_and_b32_e32 v67, v67, v75
	v_not_b32_e32 v72, v73
	v_ashrrev_i32_e32 v70, 31, v70
	v_xor_b32_e32 v69, s0, v69
	v_cmp_gt_i32_e64 s0, 0, v73
	v_and_b32_e32 v67, v67, v68
	v_not_b32_e32 v68, v74
	v_ashrrev_i32_e32 v72, 31, v72
	v_xor_b32_e32 v70, vcc_lo, v70
	v_cmp_gt_i32_e32 vcc_lo, 0, v74
	v_and_b32_e32 v67, v67, v69
	v_not_b32_e32 v69, v71
	v_ashrrev_i32_e32 v68, 31, v68
	v_xor_b32_e32 v72, s0, v72
	v_mul_u32_u24_e32 v66, 9, v66
	v_and_b32_e32 v67, v67, v70
	v_cmp_gt_i32_e64 s0, 0, v71
	v_ashrrev_i32_e32 v69, 31, v69
	v_xor_b32_e32 v70, vcc_lo, v68
	v_add_lshl_u32 v68, v3, v66, 2
	v_and_b32_e32 v67, v67, v72
	s_delay_alu instid0(VALU_DEP_4) | instskip(SKIP_2) | instid1(VALU_DEP_1)
	v_xor_b32_e32 v69, s0, v69
	ds_load_b32 v66, v68 offset:32
	v_and_b32_e32 v67, v67, v70
	; wave barrier
	v_and_b32_e32 v69, v67, v69
	s_delay_alu instid0(VALU_DEP_1) | instskip(SKIP_1) | instid1(VALU_DEP_2)
	v_mbcnt_lo_u32_b32 v67, v69, 0
	v_cmp_ne_u32_e64 s0, 0, v69
	v_cmp_eq_u32_e32 vcc_lo, 0, v67
	s_delay_alu instid0(VALU_DEP_2) | instskip(NEXT) | instid1(SALU_CYCLE_1)
	s_and_b32 s3, s0, vcc_lo
	s_and_saveexec_b32 s0, s3
	s_cbranch_execz .LBB38_247
; %bb.246:
	s_waitcnt lgkmcnt(0)
	v_bcnt_u32_b32 v69, v69, v66
	ds_store_b32 v68, v69 offset:32
.LBB38_247:
	s_or_b32 exec_lo, exec_lo, s0
	v_xor_b32_e32 v48, 0x7f, v48
	; wave barrier
	s_delay_alu instid0(VALU_DEP_1) | instskip(NEXT) | instid1(VALU_DEP_1)
	v_and_b32_e32 v69, 0xff, v48
	v_lshrrev_b32_e32 v69, s60, v69
	s_delay_alu instid0(VALU_DEP_1) | instskip(NEXT) | instid1(VALU_DEP_1)
	v_and_b32_e32 v69, s1, v69
	v_and_b32_e32 v70, 1, v69
	v_lshlrev_b32_e32 v71, 30, v69
	v_lshlrev_b32_e32 v72, 29, v69
	;; [unrolled: 1-line block ×4, first 2 shown]
	v_add_co_u32 v70, s0, v70, -1
	s_delay_alu instid0(VALU_DEP_1)
	v_cndmask_b32_e64 v74, 0, 1, s0
	v_not_b32_e32 v78, v71
	v_cmp_gt_i32_e64 s0, 0, v71
	v_not_b32_e32 v71, v72
	v_lshlrev_b32_e32 v76, 26, v69
	v_cmp_ne_u32_e32 vcc_lo, 0, v74
	v_ashrrev_i32_e32 v78, 31, v78
	v_lshlrev_b32_e32 v77, 25, v69
	v_ashrrev_i32_e32 v71, 31, v71
	v_lshlrev_b32_e32 v74, 24, v69
	v_xor_b32_e32 v70, vcc_lo, v70
	v_cmp_gt_i32_e32 vcc_lo, 0, v72
	v_not_b32_e32 v72, v73
	v_xor_b32_e32 v78, s0, v78
	v_cmp_gt_i32_e64 s0, 0, v73
	v_and_b32_e32 v70, exec_lo, v70
	v_not_b32_e32 v73, v75
	v_ashrrev_i32_e32 v72, 31, v72
	v_xor_b32_e32 v71, vcc_lo, v71
	v_cmp_gt_i32_e32 vcc_lo, 0, v75
	v_and_b32_e32 v70, v70, v78
	v_not_b32_e32 v75, v76
	v_ashrrev_i32_e32 v73, 31, v73
	v_xor_b32_e32 v72, s0, v72
	v_cmp_gt_i32_e64 s0, 0, v76
	v_and_b32_e32 v70, v70, v71
	v_not_b32_e32 v71, v77
	v_ashrrev_i32_e32 v75, 31, v75
	v_xor_b32_e32 v73, vcc_lo, v73
	v_cmp_gt_i32_e32 vcc_lo, 0, v77
	v_and_b32_e32 v70, v70, v72
	v_not_b32_e32 v72, v74
	v_ashrrev_i32_e32 v71, 31, v71
	v_xor_b32_e32 v75, s0, v75
	v_mul_u32_u24_e32 v69, 9, v69
	v_and_b32_e32 v70, v70, v73
	v_cmp_gt_i32_e64 s0, 0, v74
	v_ashrrev_i32_e32 v73, 31, v72
	v_xor_b32_e32 v71, vcc_lo, v71
	v_add_lshl_u32 v72, v3, v69, 2
	v_and_b32_e32 v70, v70, v75
	s_delay_alu instid0(VALU_DEP_4) | instskip(NEXT) | instid1(VALU_DEP_2)
	v_xor_b32_e32 v69, s0, v73
	v_and_b32_e32 v71, v70, v71
	ds_load_b32 v70, v72 offset:32
	; wave barrier
	v_and_b32_e32 v69, v71, v69
	s_delay_alu instid0(VALU_DEP_1) | instskip(SKIP_1) | instid1(VALU_DEP_2)
	v_mbcnt_lo_u32_b32 v71, v69, 0
	v_cmp_ne_u32_e64 s0, 0, v69
	v_cmp_eq_u32_e32 vcc_lo, 0, v71
	s_delay_alu instid0(VALU_DEP_2) | instskip(NEXT) | instid1(SALU_CYCLE_1)
	s_and_b32 s3, s0, vcc_lo
	s_and_saveexec_b32 s0, s3
	s_cbranch_execz .LBB38_249
; %bb.248:
	s_waitcnt lgkmcnt(0)
	v_bcnt_u32_b32 v69, v69, v70
	ds_store_b32 v72, v69 offset:32
.LBB38_249:
	s_or_b32 exec_lo, exec_lo, s0
	v_xor_b32_e32 v69, 0x7f, v9
	; wave barrier
	s_delay_alu instid0(VALU_DEP_1) | instskip(NEXT) | instid1(VALU_DEP_1)
	v_and_b32_e32 v9, 0xff, v69
	v_lshrrev_b32_e32 v9, s60, v9
	s_delay_alu instid0(VALU_DEP_1) | instskip(NEXT) | instid1(VALU_DEP_1)
	v_and_b32_e32 v9, s1, v9
	v_and_b32_e32 v73, 1, v9
	v_lshlrev_b32_e32 v74, 30, v9
	v_lshlrev_b32_e32 v75, 29, v9
	;; [unrolled: 1-line block ×4, first 2 shown]
	v_add_co_u32 v73, s0, v73, -1
	s_delay_alu instid0(VALU_DEP_1)
	v_cndmask_b32_e64 v77, 0, 1, s0
	v_not_b32_e32 v81, v74
	v_cmp_gt_i32_e64 s0, 0, v74
	v_not_b32_e32 v74, v75
	v_lshlrev_b32_e32 v79, 26, v9
	v_cmp_ne_u32_e32 vcc_lo, 0, v77
	v_ashrrev_i32_e32 v81, 31, v81
	v_lshlrev_b32_e32 v80, 25, v9
	v_ashrrev_i32_e32 v74, 31, v74
	v_lshlrev_b32_e32 v77, 24, v9
	v_xor_b32_e32 v73, vcc_lo, v73
	v_cmp_gt_i32_e32 vcc_lo, 0, v75
	v_not_b32_e32 v75, v76
	v_xor_b32_e32 v81, s0, v81
	v_cmp_gt_i32_e64 s0, 0, v76
	v_and_b32_e32 v73, exec_lo, v73
	v_not_b32_e32 v76, v78
	v_ashrrev_i32_e32 v75, 31, v75
	v_xor_b32_e32 v74, vcc_lo, v74
	v_cmp_gt_i32_e32 vcc_lo, 0, v78
	v_and_b32_e32 v73, v73, v81
	v_not_b32_e32 v78, v79
	v_ashrrev_i32_e32 v76, 31, v76
	v_xor_b32_e32 v75, s0, v75
	v_cmp_gt_i32_e64 s0, 0, v79
	v_and_b32_e32 v73, v73, v74
	v_not_b32_e32 v74, v80
	v_ashrrev_i32_e32 v78, 31, v78
	v_xor_b32_e32 v76, vcc_lo, v76
	v_cmp_gt_i32_e32 vcc_lo, 0, v80
	v_and_b32_e32 v73, v73, v75
	v_not_b32_e32 v75, v77
	v_ashrrev_i32_e32 v74, 31, v74
	v_xor_b32_e32 v78, s0, v78
	v_mul_u32_u24_e32 v9, 9, v9
	v_and_b32_e32 v73, v73, v76
	v_cmp_gt_i32_e64 s0, 0, v77
	v_ashrrev_i32_e32 v75, 31, v75
	v_xor_b32_e32 v74, vcc_lo, v74
	v_add_lshl_u32 v76, v3, v9, 2
	v_and_b32_e32 v73, v73, v78
	s_delay_alu instid0(VALU_DEP_4) | instskip(NEXT) | instid1(VALU_DEP_2)
	v_xor_b32_e32 v9, s0, v75
	v_and_b32_e32 v73, v73, v74
	ds_load_b32 v74, v76 offset:32
	; wave barrier
	v_and_b32_e32 v9, v73, v9
	s_delay_alu instid0(VALU_DEP_1) | instskip(SKIP_1) | instid1(VALU_DEP_2)
	v_mbcnt_lo_u32_b32 v75, v9, 0
	v_cmp_ne_u32_e64 s0, 0, v9
	v_cmp_eq_u32_e32 vcc_lo, 0, v75
	s_delay_alu instid0(VALU_DEP_2) | instskip(NEXT) | instid1(SALU_CYCLE_1)
	s_and_b32 s3, s0, vcc_lo
	s_and_saveexec_b32 s0, s3
	s_cbranch_execz .LBB38_251
; %bb.250:
	s_waitcnt lgkmcnt(0)
	v_bcnt_u32_b32 v9, v9, v74
	ds_store_b32 v76, v9 offset:32
.LBB38_251:
	s_or_b32 exec_lo, exec_lo, s0
	v_xor_b32_e32 v73, 0x7f, v8
	; wave barrier
	s_delay_alu instid0(VALU_DEP_1) | instskip(NEXT) | instid1(VALU_DEP_1)
	v_and_b32_e32 v8, 0xff, v73
	v_lshrrev_b32_e32 v8, s60, v8
	s_delay_alu instid0(VALU_DEP_1) | instskip(NEXT) | instid1(VALU_DEP_1)
	v_and_b32_e32 v8, s1, v8
	v_and_b32_e32 v9, 1, v8
	v_lshlrev_b32_e32 v77, 30, v8
	v_lshlrev_b32_e32 v78, 29, v8
	;; [unrolled: 1-line block ×4, first 2 shown]
	v_add_co_u32 v9, s0, v9, -1
	s_delay_alu instid0(VALU_DEP_1)
	v_cndmask_b32_e64 v80, 0, 1, s0
	v_not_b32_e32 v84, v77
	v_cmp_gt_i32_e64 s0, 0, v77
	v_not_b32_e32 v77, v78
	v_lshlrev_b32_e32 v82, 26, v8
	v_cmp_ne_u32_e32 vcc_lo, 0, v80
	v_ashrrev_i32_e32 v84, 31, v84
	v_lshlrev_b32_e32 v83, 25, v8
	v_ashrrev_i32_e32 v77, 31, v77
	v_lshlrev_b32_e32 v80, 24, v8
	v_xor_b32_e32 v9, vcc_lo, v9
	v_cmp_gt_i32_e32 vcc_lo, 0, v78
	v_not_b32_e32 v78, v79
	v_xor_b32_e32 v84, s0, v84
	v_cmp_gt_i32_e64 s0, 0, v79
	v_and_b32_e32 v9, exec_lo, v9
	v_not_b32_e32 v79, v81
	v_ashrrev_i32_e32 v78, 31, v78
	v_xor_b32_e32 v77, vcc_lo, v77
	v_cmp_gt_i32_e32 vcc_lo, 0, v81
	v_and_b32_e32 v9, v9, v84
	v_not_b32_e32 v81, v82
	v_ashrrev_i32_e32 v79, 31, v79
	v_xor_b32_e32 v78, s0, v78
	v_cmp_gt_i32_e64 s0, 0, v82
	v_and_b32_e32 v9, v9, v77
	v_not_b32_e32 v77, v83
	v_ashrrev_i32_e32 v81, 31, v81
	v_xor_b32_e32 v79, vcc_lo, v79
	v_cmp_gt_i32_e32 vcc_lo, 0, v83
	v_and_b32_e32 v9, v9, v78
	v_not_b32_e32 v78, v80
	v_ashrrev_i32_e32 v77, 31, v77
	v_xor_b32_e32 v81, s0, v81
	v_mul_u32_u24_e32 v8, 9, v8
	v_and_b32_e32 v9, v9, v79
	v_cmp_gt_i32_e64 s0, 0, v80
	v_ashrrev_i32_e32 v78, 31, v78
	v_xor_b32_e32 v77, vcc_lo, v77
	v_add_lshl_u32 v80, v3, v8, 2
	v_and_b32_e32 v9, v9, v81
	s_delay_alu instid0(VALU_DEP_4) | instskip(SKIP_2) | instid1(VALU_DEP_1)
	v_xor_b32_e32 v8, s0, v78
	ds_load_b32 v78, v80 offset:32
	v_and_b32_e32 v9, v9, v77
	; wave barrier
	v_and_b32_e32 v8, v9, v8
	s_delay_alu instid0(VALU_DEP_1) | instskip(SKIP_1) | instid1(VALU_DEP_2)
	v_mbcnt_lo_u32_b32 v79, v8, 0
	v_cmp_ne_u32_e64 s0, 0, v8
	v_cmp_eq_u32_e32 vcc_lo, 0, v79
	s_delay_alu instid0(VALU_DEP_2) | instskip(NEXT) | instid1(SALU_CYCLE_1)
	s_and_b32 s3, s0, vcc_lo
	s_and_saveexec_b32 s0, s3
	s_cbranch_execz .LBB38_253
; %bb.252:
	s_waitcnt lgkmcnt(0)
	v_bcnt_u32_b32 v8, v8, v78
	ds_store_b32 v80, v8 offset:32
.LBB38_253:
	s_or_b32 exec_lo, exec_lo, s0
	v_xor_b32_e32 v77, 0x7f, v7
	; wave barrier
	s_delay_alu instid0(VALU_DEP_1) | instskip(NEXT) | instid1(VALU_DEP_1)
	v_and_b32_e32 v7, 0xff, v77
	v_lshrrev_b32_e32 v7, s60, v7
	s_delay_alu instid0(VALU_DEP_1) | instskip(NEXT) | instid1(VALU_DEP_1)
	v_and_b32_e32 v7, s1, v7
	v_and_b32_e32 v8, 1, v7
	v_lshlrev_b32_e32 v9, 30, v7
	v_lshlrev_b32_e32 v81, 29, v7
	;; [unrolled: 1-line block ×4, first 2 shown]
	v_add_co_u32 v8, s0, v8, -1
	s_delay_alu instid0(VALU_DEP_1)
	v_cndmask_b32_e64 v83, 0, 1, s0
	v_not_b32_e32 v87, v9
	v_cmp_gt_i32_e64 s0, 0, v9
	v_not_b32_e32 v9, v81
	v_lshlrev_b32_e32 v85, 26, v7
	v_cmp_ne_u32_e32 vcc_lo, 0, v83
	v_ashrrev_i32_e32 v87, 31, v87
	v_lshlrev_b32_e32 v86, 25, v7
	v_ashrrev_i32_e32 v9, 31, v9
	v_lshlrev_b32_e32 v83, 24, v7
	v_xor_b32_e32 v8, vcc_lo, v8
	v_cmp_gt_i32_e32 vcc_lo, 0, v81
	v_not_b32_e32 v81, v82
	v_xor_b32_e32 v87, s0, v87
	v_cmp_gt_i32_e64 s0, 0, v82
	v_and_b32_e32 v8, exec_lo, v8
	v_not_b32_e32 v82, v84
	v_ashrrev_i32_e32 v81, 31, v81
	v_xor_b32_e32 v9, vcc_lo, v9
	v_cmp_gt_i32_e32 vcc_lo, 0, v84
	v_and_b32_e32 v8, v8, v87
	v_not_b32_e32 v84, v85
	v_ashrrev_i32_e32 v82, 31, v82
	v_xor_b32_e32 v81, s0, v81
	v_cmp_gt_i32_e64 s0, 0, v85
	v_and_b32_e32 v8, v8, v9
	v_not_b32_e32 v9, v86
	v_ashrrev_i32_e32 v84, 31, v84
	v_xor_b32_e32 v82, vcc_lo, v82
	v_cmp_gt_i32_e32 vcc_lo, 0, v86
	v_and_b32_e32 v8, v8, v81
	v_not_b32_e32 v81, v83
	v_ashrrev_i32_e32 v9, 31, v9
	v_xor_b32_e32 v84, s0, v84
	v_mul_u32_u24_e32 v7, 9, v7
	v_and_b32_e32 v8, v8, v82
	v_cmp_gt_i32_e64 s0, 0, v83
	v_ashrrev_i32_e32 v81, 31, v81
	v_xor_b32_e32 v9, vcc_lo, v9
	s_delay_alu instid0(VALU_DEP_4) | instskip(SKIP_1) | instid1(VALU_DEP_4)
	v_and_b32_e32 v8, v8, v84
	v_add_lshl_u32 v84, v3, v7, 2
	v_xor_b32_e32 v7, s0, v81
	s_delay_alu instid0(VALU_DEP_3) | instskip(SKIP_2) | instid1(VALU_DEP_1)
	v_and_b32_e32 v8, v8, v9
	ds_load_b32 v82, v84 offset:32
	; wave barrier
	v_and_b32_e32 v7, v8, v7
	v_mbcnt_lo_u32_b32 v83, v7, 0
	v_cmp_ne_u32_e64 s0, 0, v7
	s_delay_alu instid0(VALU_DEP_2) | instskip(NEXT) | instid1(VALU_DEP_2)
	v_cmp_eq_u32_e32 vcc_lo, 0, v83
	s_and_b32 s3, s0, vcc_lo
	s_delay_alu instid0(SALU_CYCLE_1)
	s_and_saveexec_b32 s0, s3
	s_cbranch_execz .LBB38_255
; %bb.254:
	s_waitcnt lgkmcnt(0)
	v_bcnt_u32_b32 v7, v7, v82
	ds_store_b32 v84, v7 offset:32
.LBB38_255:
	s_or_b32 exec_lo, exec_lo, s0
	v_xor_b32_e32 v81, 0x7f, v6
	; wave barrier
	s_delay_alu instid0(VALU_DEP_1) | instskip(NEXT) | instid1(VALU_DEP_1)
	v_and_b32_e32 v6, 0xff, v81
	v_lshrrev_b32_e32 v6, s60, v6
	s_delay_alu instid0(VALU_DEP_1) | instskip(NEXT) | instid1(VALU_DEP_1)
	v_and_b32_e32 v6, s1, v6
	v_and_b32_e32 v7, 1, v6
	v_lshlrev_b32_e32 v8, 30, v6
	v_lshlrev_b32_e32 v9, 29, v6
	;; [unrolled: 1-line block ×4, first 2 shown]
	v_add_co_u32 v7, s0, v7, -1
	s_delay_alu instid0(VALU_DEP_1)
	v_cndmask_b32_e64 v86, 0, 1, s0
	v_not_b32_e32 v90, v8
	v_cmp_gt_i32_e64 s0, 0, v8
	v_not_b32_e32 v8, v9
	v_lshlrev_b32_e32 v88, 26, v6
	v_cmp_ne_u32_e32 vcc_lo, 0, v86
	v_ashrrev_i32_e32 v90, 31, v90
	v_lshlrev_b32_e32 v89, 25, v6
	v_ashrrev_i32_e32 v8, 31, v8
	v_lshlrev_b32_e32 v86, 24, v6
	v_xor_b32_e32 v7, vcc_lo, v7
	v_cmp_gt_i32_e32 vcc_lo, 0, v9
	v_not_b32_e32 v9, v85
	v_xor_b32_e32 v90, s0, v90
	v_cmp_gt_i32_e64 s0, 0, v85
	v_and_b32_e32 v7, exec_lo, v7
	v_not_b32_e32 v85, v87
	v_ashrrev_i32_e32 v9, 31, v9
	v_xor_b32_e32 v8, vcc_lo, v8
	v_cmp_gt_i32_e32 vcc_lo, 0, v87
	v_and_b32_e32 v7, v7, v90
	v_not_b32_e32 v87, v88
	v_ashrrev_i32_e32 v85, 31, v85
	v_xor_b32_e32 v9, s0, v9
	v_cmp_gt_i32_e64 s0, 0, v88
	v_and_b32_e32 v7, v7, v8
	v_not_b32_e32 v8, v89
	v_ashrrev_i32_e32 v87, 31, v87
	v_xor_b32_e32 v85, vcc_lo, v85
	v_cmp_gt_i32_e32 vcc_lo, 0, v89
	v_and_b32_e32 v7, v7, v9
	v_not_b32_e32 v9, v86
	v_ashrrev_i32_e32 v8, 31, v8
	v_xor_b32_e32 v87, s0, v87
	v_mul_u32_u24_e32 v6, 9, v6
	v_and_b32_e32 v7, v7, v85
	v_cmp_gt_i32_e64 s0, 0, v86
	v_ashrrev_i32_e32 v9, 31, v9
	v_xor_b32_e32 v8, vcc_lo, v8
	v_add_lshl_u32 v88, v3, v6, 2
	v_and_b32_e32 v7, v7, v87
	s_delay_alu instid0(VALU_DEP_4) | instskip(SKIP_2) | instid1(VALU_DEP_1)
	v_xor_b32_e32 v6, s0, v9
	ds_load_b32 v86, v88 offset:32
	v_and_b32_e32 v7, v7, v8
	; wave barrier
	v_and_b32_e32 v6, v7, v6
	s_delay_alu instid0(VALU_DEP_1) | instskip(SKIP_1) | instid1(VALU_DEP_2)
	v_mbcnt_lo_u32_b32 v87, v6, 0
	v_cmp_ne_u32_e64 s0, 0, v6
	v_cmp_eq_u32_e32 vcc_lo, 0, v87
	s_delay_alu instid0(VALU_DEP_2) | instskip(NEXT) | instid1(SALU_CYCLE_1)
	s_and_b32 s3, s0, vcc_lo
	s_and_saveexec_b32 s0, s3
	s_cbranch_execz .LBB38_257
; %bb.256:
	s_waitcnt lgkmcnt(0)
	v_bcnt_u32_b32 v6, v6, v86
	ds_store_b32 v88, v6 offset:32
.LBB38_257:
	s_or_b32 exec_lo, exec_lo, s0
	v_xor_b32_e32 v85, 0x7f, v5
	; wave barrier
	s_delay_alu instid0(VALU_DEP_1) | instskip(NEXT) | instid1(VALU_DEP_1)
	v_and_b32_e32 v5, 0xff, v85
	v_lshrrev_b32_e32 v5, s60, v5
	s_delay_alu instid0(VALU_DEP_1) | instskip(NEXT) | instid1(VALU_DEP_1)
	v_and_b32_e32 v5, s1, v5
	v_and_b32_e32 v6, 1, v5
	v_lshlrev_b32_e32 v7, 30, v5
	v_lshlrev_b32_e32 v8, 29, v5
	;; [unrolled: 1-line block ×4, first 2 shown]
	v_add_co_u32 v6, s0, v6, -1
	s_delay_alu instid0(VALU_DEP_1)
	v_cndmask_b32_e64 v89, 0, 1, s0
	v_not_b32_e32 v93, v7
	v_cmp_gt_i32_e64 s0, 0, v7
	v_not_b32_e32 v7, v8
	v_lshlrev_b32_e32 v91, 26, v5
	v_cmp_ne_u32_e32 vcc_lo, 0, v89
	v_ashrrev_i32_e32 v93, 31, v93
	v_lshlrev_b32_e32 v92, 25, v5
	v_ashrrev_i32_e32 v7, 31, v7
	v_lshlrev_b32_e32 v89, 24, v5
	v_xor_b32_e32 v6, vcc_lo, v6
	v_cmp_gt_i32_e32 vcc_lo, 0, v8
	v_not_b32_e32 v8, v9
	v_xor_b32_e32 v93, s0, v93
	v_cmp_gt_i32_e64 s0, 0, v9
	v_and_b32_e32 v6, exec_lo, v6
	v_not_b32_e32 v9, v90
	v_ashrrev_i32_e32 v8, 31, v8
	v_xor_b32_e32 v7, vcc_lo, v7
	v_cmp_gt_i32_e32 vcc_lo, 0, v90
	v_and_b32_e32 v6, v6, v93
	v_not_b32_e32 v90, v91
	v_ashrrev_i32_e32 v9, 31, v9
	v_xor_b32_e32 v8, s0, v8
	v_cmp_gt_i32_e64 s0, 0, v91
	v_and_b32_e32 v6, v6, v7
	v_not_b32_e32 v7, v92
	v_ashrrev_i32_e32 v90, 31, v90
	v_xor_b32_e32 v9, vcc_lo, v9
	v_cmp_gt_i32_e32 vcc_lo, 0, v92
	v_and_b32_e32 v6, v6, v8
	v_not_b32_e32 v8, v89
	v_ashrrev_i32_e32 v7, 31, v7
	v_xor_b32_e32 v90, s0, v90
	v_mul_u32_u24_e32 v5, 9, v5
	v_and_b32_e32 v6, v6, v9
	v_cmp_gt_i32_e64 s0, 0, v89
	v_ashrrev_i32_e32 v8, 31, v8
	v_xor_b32_e32 v7, vcc_lo, v7
	v_add_lshl_u32 v92, v3, v5, 2
	v_and_b32_e32 v6, v6, v90
	s_delay_alu instid0(VALU_DEP_4) | instskip(SKIP_2) | instid1(VALU_DEP_1)
	v_xor_b32_e32 v5, s0, v8
	ds_load_b32 v90, v92 offset:32
	v_and_b32_e32 v6, v6, v7
	; wave barrier
	v_and_b32_e32 v5, v6, v5
	s_delay_alu instid0(VALU_DEP_1) | instskip(SKIP_1) | instid1(VALU_DEP_2)
	v_mbcnt_lo_u32_b32 v91, v5, 0
	v_cmp_ne_u32_e64 s0, 0, v5
	v_cmp_eq_u32_e32 vcc_lo, 0, v91
	s_delay_alu instid0(VALU_DEP_2) | instskip(NEXT) | instid1(SALU_CYCLE_1)
	s_and_b32 s3, s0, vcc_lo
	s_and_saveexec_b32 s0, s3
	s_cbranch_execz .LBB38_259
; %bb.258:
	s_waitcnt lgkmcnt(0)
	v_bcnt_u32_b32 v5, v5, v90
	ds_store_b32 v92, v5 offset:32
.LBB38_259:
	s_or_b32 exec_lo, exec_lo, s0
	v_xor_b32_e32 v89, 0x7f, v4
	; wave barrier
	s_delay_alu instid0(VALU_DEP_1) | instskip(NEXT) | instid1(VALU_DEP_1)
	v_and_b32_e32 v4, 0xff, v89
	v_lshrrev_b32_e32 v4, s60, v4
	s_delay_alu instid0(VALU_DEP_1) | instskip(NEXT) | instid1(VALU_DEP_1)
	v_and_b32_e32 v4, s1, v4
	v_and_b32_e32 v5, 1, v4
	v_lshlrev_b32_e32 v6, 30, v4
	v_lshlrev_b32_e32 v7, 29, v4
	;; [unrolled: 1-line block ×4, first 2 shown]
	v_add_co_u32 v5, s0, v5, -1
	s_delay_alu instid0(VALU_DEP_1)
	v_cndmask_b32_e64 v9, 0, 1, s0
	v_not_b32_e32 v96, v6
	v_cmp_gt_i32_e64 s0, 0, v6
	v_not_b32_e32 v6, v7
	v_lshlrev_b32_e32 v94, 26, v4
	v_cmp_ne_u32_e32 vcc_lo, 0, v9
	v_ashrrev_i32_e32 v96, 31, v96
	v_lshlrev_b32_e32 v95, 25, v4
	v_ashrrev_i32_e32 v6, 31, v6
	v_lshlrev_b32_e32 v9, 24, v4
	v_xor_b32_e32 v5, vcc_lo, v5
	v_cmp_gt_i32_e32 vcc_lo, 0, v7
	v_not_b32_e32 v7, v8
	v_xor_b32_e32 v96, s0, v96
	v_cmp_gt_i32_e64 s0, 0, v8
	v_and_b32_e32 v5, exec_lo, v5
	v_not_b32_e32 v8, v93
	v_ashrrev_i32_e32 v7, 31, v7
	v_xor_b32_e32 v6, vcc_lo, v6
	v_cmp_gt_i32_e32 vcc_lo, 0, v93
	v_and_b32_e32 v5, v5, v96
	v_not_b32_e32 v93, v94
	v_ashrrev_i32_e32 v8, 31, v8
	v_xor_b32_e32 v7, s0, v7
	v_cmp_gt_i32_e64 s0, 0, v94
	v_and_b32_e32 v5, v5, v6
	v_not_b32_e32 v6, v95
	v_ashrrev_i32_e32 v93, 31, v93
	v_xor_b32_e32 v8, vcc_lo, v8
	v_cmp_gt_i32_e32 vcc_lo, 0, v95
	v_and_b32_e32 v5, v5, v7
	v_not_b32_e32 v7, v9
	v_ashrrev_i32_e32 v6, 31, v6
	v_xor_b32_e32 v93, s0, v93
	v_mul_u32_u24_e32 v4, 9, v4
	v_and_b32_e32 v5, v5, v8
	v_cmp_gt_i32_e64 s0, 0, v9
	v_ashrrev_i32_e32 v7, 31, v7
	v_xor_b32_e32 v6, vcc_lo, v6
	v_add_lshl_u32 v96, v3, v4, 2
	v_and_b32_e32 v5, v5, v93
	s_delay_alu instid0(VALU_DEP_4) | instskip(SKIP_2) | instid1(VALU_DEP_1)
	v_xor_b32_e32 v4, s0, v7
	ds_load_b32 v94, v96 offset:32
	v_and_b32_e32 v5, v5, v6
	; wave barrier
	v_and_b32_e32 v4, v5, v4
	s_delay_alu instid0(VALU_DEP_1) | instskip(SKIP_1) | instid1(VALU_DEP_2)
	v_mbcnt_lo_u32_b32 v95, v4, 0
	v_cmp_ne_u32_e64 s0, 0, v4
	v_cmp_eq_u32_e32 vcc_lo, 0, v95
	s_delay_alu instid0(VALU_DEP_2) | instskip(NEXT) | instid1(SALU_CYCLE_1)
	s_and_b32 s3, s0, vcc_lo
	s_and_saveexec_b32 s0, s3
	s_cbranch_execz .LBB38_261
; %bb.260:
	s_waitcnt lgkmcnt(0)
	v_bcnt_u32_b32 v4, v4, v94
	ds_store_b32 v96, v4 offset:32
.LBB38_261:
	s_or_b32 exec_lo, exec_lo, s0
	v_xor_b32_e32 v93, 0x7f, v2
	; wave barrier
	v_add_nc_u32_e32 v100, 32, v14
	s_delay_alu instid0(VALU_DEP_2) | instskip(NEXT) | instid1(VALU_DEP_1)
	v_and_b32_e32 v2, 0xff, v93
	v_lshrrev_b32_e32 v2, s60, v2
	s_delay_alu instid0(VALU_DEP_1) | instskip(NEXT) | instid1(VALU_DEP_1)
	v_and_b32_e32 v2, s1, v2
	v_and_b32_e32 v4, 1, v2
	v_lshlrev_b32_e32 v5, 30, v2
	v_lshlrev_b32_e32 v6, 29, v2
	;; [unrolled: 1-line block ×4, first 2 shown]
	v_add_co_u32 v4, s0, v4, -1
	s_delay_alu instid0(VALU_DEP_1)
	v_cndmask_b32_e64 v8, 0, 1, s0
	v_not_b32_e32 v99, v5
	v_cmp_gt_i32_e64 s0, 0, v5
	v_not_b32_e32 v5, v6
	v_lshlrev_b32_e32 v97, 26, v2
	v_cmp_ne_u32_e32 vcc_lo, 0, v8
	v_ashrrev_i32_e32 v99, 31, v99
	v_lshlrev_b32_e32 v98, 25, v2
	v_ashrrev_i32_e32 v5, 31, v5
	v_lshlrev_b32_e32 v8, 24, v2
	v_xor_b32_e32 v4, vcc_lo, v4
	v_cmp_gt_i32_e32 vcc_lo, 0, v6
	v_not_b32_e32 v6, v7
	v_xor_b32_e32 v99, s0, v99
	v_cmp_gt_i32_e64 s0, 0, v7
	v_and_b32_e32 v4, exec_lo, v4
	v_not_b32_e32 v7, v9
	v_ashrrev_i32_e32 v6, 31, v6
	v_xor_b32_e32 v5, vcc_lo, v5
	v_cmp_gt_i32_e32 vcc_lo, 0, v9
	v_and_b32_e32 v4, v4, v99
	v_not_b32_e32 v9, v97
	v_ashrrev_i32_e32 v7, 31, v7
	v_xor_b32_e32 v6, s0, v6
	v_cmp_gt_i32_e64 s0, 0, v97
	v_and_b32_e32 v4, v4, v5
	v_not_b32_e32 v5, v98
	v_ashrrev_i32_e32 v9, 31, v9
	v_xor_b32_e32 v7, vcc_lo, v7
	v_cmp_gt_i32_e32 vcc_lo, 0, v98
	v_and_b32_e32 v4, v4, v6
	v_not_b32_e32 v6, v8
	v_ashrrev_i32_e32 v5, 31, v5
	v_xor_b32_e32 v9, s0, v9
	v_mul_u32_u24_e32 v2, 9, v2
	v_and_b32_e32 v4, v4, v7
	v_cmp_gt_i32_e64 s0, 0, v8
	v_ashrrev_i32_e32 v6, 31, v6
	v_xor_b32_e32 v5, vcc_lo, v5
	v_add_lshl_u32 v99, v3, v2, 2
	v_and_b32_e32 v4, v4, v9
	s_delay_alu instid0(VALU_DEP_4) | instskip(SKIP_2) | instid1(VALU_DEP_1)
	v_xor_b32_e32 v2, s0, v6
	ds_load_b32 v97, v99 offset:32
	v_and_b32_e32 v3, v4, v5
	; wave barrier
	v_and_b32_e32 v2, v3, v2
	s_delay_alu instid0(VALU_DEP_1) | instskip(SKIP_1) | instid1(VALU_DEP_2)
	v_mbcnt_lo_u32_b32 v98, v2, 0
	v_cmp_ne_u32_e64 s0, 0, v2
	v_cmp_eq_u32_e32 vcc_lo, 0, v98
	s_delay_alu instid0(VALU_DEP_2) | instskip(NEXT) | instid1(SALU_CYCLE_1)
	s_and_b32 s3, s0, vcc_lo
	s_and_saveexec_b32 s0, s3
	s_cbranch_execz .LBB38_263
; %bb.262:
	s_waitcnt lgkmcnt(0)
	v_bcnt_u32_b32 v2, v2, v97
	ds_store_b32 v99, v2 offset:32
.LBB38_263:
	s_or_b32 exec_lo, exec_lo, s0
	; wave barrier
	s_waitcnt lgkmcnt(0)
	s_barrier
	buffer_gl0_inv
	ds_load_2addr_b32 v[8:9], v14 offset0:8 offset1:9
	ds_load_2addr_b32 v[6:7], v100 offset0:2 offset1:3
	ds_load_2addr_b32 v[4:5], v100 offset0:4 offset1:5
	ds_load_2addr_b32 v[2:3], v100 offset0:6 offset1:7
	ds_load_b32 v101, v100 offset:32
	v_min_u32_e32 v12, 0xe0, v12
	s_mov_b32 s0, exec_lo
	s_delay_alu instid0(VALU_DEP_1) | instskip(SKIP_3) | instid1(VALU_DEP_1)
	v_or_b32_e32 v104, 31, v12
	s_waitcnt lgkmcnt(3)
	v_add3_u32 v102, v9, v8, v6
	s_waitcnt lgkmcnt(2)
	v_add3_u32 v102, v102, v7, v4
	s_waitcnt lgkmcnt(1)
	s_delay_alu instid0(VALU_DEP_1) | instskip(SKIP_1) | instid1(VALU_DEP_1)
	v_add3_u32 v102, v102, v5, v2
	s_waitcnt lgkmcnt(0)
	v_add3_u32 v101, v102, v3, v101
	v_and_b32_e32 v102, 15, v51
	s_delay_alu instid0(VALU_DEP_2) | instskip(NEXT) | instid1(VALU_DEP_2)
	v_mov_b32_dpp v103, v101 row_shr:1 row_mask:0xf bank_mask:0xf
	v_cmp_ne_u32_e32 vcc_lo, 0, v102
	s_delay_alu instid0(VALU_DEP_2) | instskip(SKIP_1) | instid1(VALU_DEP_2)
	v_cndmask_b32_e32 v103, 0, v103, vcc_lo
	v_cmp_lt_u32_e32 vcc_lo, 1, v102
	v_add_nc_u32_e32 v101, v103, v101
	s_delay_alu instid0(VALU_DEP_1) | instskip(NEXT) | instid1(VALU_DEP_1)
	v_mov_b32_dpp v103, v101 row_shr:2 row_mask:0xf bank_mask:0xf
	v_cndmask_b32_e32 v103, 0, v103, vcc_lo
	v_cmp_lt_u32_e32 vcc_lo, 3, v102
	s_delay_alu instid0(VALU_DEP_2) | instskip(NEXT) | instid1(VALU_DEP_1)
	v_add_nc_u32_e32 v101, v101, v103
	v_mov_b32_dpp v103, v101 row_shr:4 row_mask:0xf bank_mask:0xf
	s_delay_alu instid0(VALU_DEP_1) | instskip(SKIP_1) | instid1(VALU_DEP_2)
	v_cndmask_b32_e32 v103, 0, v103, vcc_lo
	v_cmp_lt_u32_e32 vcc_lo, 7, v102
	v_add_nc_u32_e32 v101, v101, v103
	s_delay_alu instid0(VALU_DEP_1) | instskip(NEXT) | instid1(VALU_DEP_1)
	v_mov_b32_dpp v103, v101 row_shr:8 row_mask:0xf bank_mask:0xf
	v_cndmask_b32_e32 v102, 0, v103, vcc_lo
	v_bfe_i32 v103, v51, 4, 1
	s_delay_alu instid0(VALU_DEP_2) | instskip(SKIP_4) | instid1(VALU_DEP_2)
	v_add_nc_u32_e32 v102, v101, v102
	ds_swizzle_b32 v101, v102 offset:swizzle(BROADCAST,32,15)
	s_waitcnt lgkmcnt(0)
	v_and_b32_e32 v103, v103, v101
	v_lshrrev_b32_e32 v101, 5, v1
	v_add_nc_u32_e32 v12, v102, v103
	v_cmpx_eq_u32_e64 v104, v1
	s_cbranch_execz .LBB38_265
; %bb.264:
	s_delay_alu instid0(VALU_DEP_3)
	v_lshlrev_b32_e32 v102, 2, v101
	ds_store_b32 v102, v12
.LBB38_265:
	s_or_b32 exec_lo, exec_lo, s0
	s_delay_alu instid0(SALU_CYCLE_1)
	s_mov_b32 s0, exec_lo
	s_waitcnt lgkmcnt(0)
	s_barrier
	buffer_gl0_inv
	v_cmpx_gt_u32_e32 8, v1
	s_cbranch_execz .LBB38_267
; %bb.266:
	v_lshlrev_b32_e32 v102, 2, v1
	ds_load_b32 v103, v102
	s_waitcnt lgkmcnt(0)
	v_mov_b32_dpp v105, v103 row_shr:1 row_mask:0xf bank_mask:0xf
	v_and_b32_e32 v104, 7, v51
	s_delay_alu instid0(VALU_DEP_1) | instskip(NEXT) | instid1(VALU_DEP_3)
	v_cmp_ne_u32_e32 vcc_lo, 0, v104
	v_cndmask_b32_e32 v105, 0, v105, vcc_lo
	v_cmp_lt_u32_e32 vcc_lo, 1, v104
	s_delay_alu instid0(VALU_DEP_2) | instskip(NEXT) | instid1(VALU_DEP_1)
	v_add_nc_u32_e32 v103, v105, v103
	v_mov_b32_dpp v105, v103 row_shr:2 row_mask:0xf bank_mask:0xf
	s_delay_alu instid0(VALU_DEP_1) | instskip(SKIP_1) | instid1(VALU_DEP_2)
	v_cndmask_b32_e32 v105, 0, v105, vcc_lo
	v_cmp_lt_u32_e32 vcc_lo, 3, v104
	v_add_nc_u32_e32 v103, v103, v105
	s_delay_alu instid0(VALU_DEP_1) | instskip(NEXT) | instid1(VALU_DEP_1)
	v_mov_b32_dpp v105, v103 row_shr:4 row_mask:0xf bank_mask:0xf
	v_cndmask_b32_e32 v104, 0, v105, vcc_lo
	s_delay_alu instid0(VALU_DEP_1)
	v_add_nc_u32_e32 v103, v103, v104
	ds_store_b32 v102, v103
.LBB38_267:
	s_or_b32 exec_lo, exec_lo, s0
	v_mov_b32_e32 v102, 0
	s_mov_b32 s0, exec_lo
	s_waitcnt lgkmcnt(0)
	s_barrier
	buffer_gl0_inv
	v_cmpx_lt_u32_e32 31, v1
	s_cbranch_execz .LBB38_269
; %bb.268:
	v_lshl_add_u32 v101, v101, 2, -4
	ds_load_b32 v102, v101
.LBB38_269:
	s_or_b32 exec_lo, exec_lo, s0
	v_add_nc_u32_e32 v101, -1, v51
	s_mov_b32 s0, 0
	s_mov_b32 s3, exec_lo
	s_waitcnt lgkmcnt(0)
	v_add_nc_u32_e32 v12, v102, v12
	v_cmp_gt_i32_e32 vcc_lo, 0, v101
	v_cndmask_b32_e32 v101, v101, v51, vcc_lo
	v_cmp_eq_u32_e32 vcc_lo, 0, v51
	s_delay_alu instid0(VALU_DEP_2) | instskip(SKIP_4) | instid1(VALU_DEP_2)
	v_lshlrev_b32_e32 v101, 2, v101
	ds_bpermute_b32 v12, v101, v12
	s_waitcnt lgkmcnt(0)
	v_cndmask_b32_e32 v12, v12, v102, vcc_lo
	v_cmp_ne_u32_e32 vcc_lo, 0, v1
	v_cndmask_b32_e32 v12, 0, v12, vcc_lo
	s_delay_alu instid0(VALU_DEP_1) | instskip(NEXT) | instid1(VALU_DEP_1)
	v_add_nc_u32_e32 v8, v12, v8
	v_add_nc_u32_e32 v9, v8, v9
	s_delay_alu instid0(VALU_DEP_1) | instskip(NEXT) | instid1(VALU_DEP_1)
	v_add_nc_u32_e32 v6, v9, v6
	v_add_nc_u32_e32 v7, v6, v7
	;; [unrolled: 3-line block ×4, first 2 shown]
	ds_store_2addr_b32 v14, v12, v8 offset0:8 offset1:9
	ds_store_2addr_b32 v100, v9, v6 offset0:2 offset1:3
	;; [unrolled: 1-line block ×4, first 2 shown]
	ds_store_b32 v100, v3 offset:32
	v_mov_b32_e32 v2, 0x1600
	s_waitcnt lgkmcnt(0)
	s_barrier
	buffer_gl0_inv
	ds_load_b32 v4, v19 offset:32
	ds_load_b32 v5, v23 offset:32
	;; [unrolled: 1-line block ×23, first 2 shown]
	v_add_nc_u32_e32 v14, 1, v1
	s_delay_alu instid0(VALU_DEP_1)
	v_cmpx_ne_u32_e32 0x100, v14
	s_cbranch_execz .LBB38_271
; %bb.270:
	v_mul_u32_u24_e32 v2, 9, v14
	s_delay_alu instid0(VALU_DEP_1)
	v_lshlrev_b32_e32 v2, 2, v2
	ds_load_b32 v2, v2 offset:32
.LBB38_271:
	s_or_b32 exec_lo, exec_lo, s3
	s_waitcnt lgkmcnt(1)
	v_add_nc_u32_e32 v58, v15, v13
	v_add3_u32 v47, v18, v17, v4
	v_add3_u32 v43, v22, v21, v5
	v_mov_b32_e32 v5, 0
	v_lshl_add_u32 v4, s15, 8, v1
	v_add3_u32 v39, v26, v25, v6
	v_add3_u32 v35, v30, v29, v7
	;; [unrolled: 1-line block ×3, first 2 shown]
	s_waitcnt lgkmcnt(0)
	v_sub_nc_u32_e32 v52, v2, v3
	v_lshlrev_b64 v[6:7], 2, v[4:5]
	v_add3_u32 v33, v34, v33, v8
	v_add3_u32 v31, v38, v37, v9
	v_add3_u32 v30, v42, v41, v12
	v_add3_u32 v29, v46, v45, v19
	v_add3_u32 v26, v57, v56, v53
	v_add_co_u32 v6, vcc_lo, s66, v6
	v_add3_u32 v25, v61, v60, v62
	v_add3_u32 v23, v64, v63, v65
	;; [unrolled: 1-line block ×11, first 2 shown]
	s_barrier
	buffer_gl0_inv
	ds_store_b8 v58, v11 offset:2048
	ds_store_b8 v47, v0 offset:2048
	;; [unrolled: 1-line block ×15, first 2 shown]
	v_add_co_ci_u32_e32 v7, vcc_lo, s67, v7, vcc_lo
	v_or_b32_e32 v2, 2.0, v52
	v_mov_b32_e32 v0, 0
	ds_store_b8 v19, v69 offset:2048
	ds_store_b8 v18, v73 offset:2048
	;; [unrolled: 1-line block ×7, first 2 shown]
	s_waitcnt lgkmcnt(0)
	s_barrier
	buffer_gl0_inv
	global_store_b32 v[6:7], v2, off
                                        ; implicit-def: $sgpr3
	s_branch .LBB38_274
	.p2align	6
.LBB38_272:                             ;   in Loop: Header=BB38_274 Depth=1
	s_or_b32 exec_lo, exec_lo, s4
.LBB38_273:                             ;   in Loop: Header=BB38_274 Depth=1
	s_delay_alu instid0(SALU_CYCLE_1) | instskip(SKIP_2) | instid1(VALU_DEP_2)
	s_or_b32 exec_lo, exec_lo, s3
	v_and_b32_e32 v4, 0x3fffffff, v4
	v_cmp_eq_u32_e64 s3, 0x80000000, v2
	v_add_nc_u32_e32 v0, v4, v0
	s_delay_alu instid0(VALU_DEP_2) | instskip(NEXT) | instid1(SALU_CYCLE_1)
	s_and_b32 s4, exec_lo, s3
	s_or_b32 s0, s4, s0
	s_delay_alu instid0(SALU_CYCLE_1)
	s_and_not1_b32 exec_lo, exec_lo, s0
	s_cbranch_execz .LBB38_279
.LBB38_274:                             ; =>This Loop Header: Depth=1
                                        ;     Child Loop BB38_277 Depth 2
	s_or_b32 s3, s3, exec_lo
	s_cmp_eq_u32 s63, 0
	s_cbranch_scc1 .LBB38_278
; %bb.275:                              ;   in Loop: Header=BB38_274 Depth=1
	s_add_i32 s63, s63, -1
	s_mov_b32 s3, exec_lo
	v_lshl_add_u32 v4, s63, 8, v1
	s_delay_alu instid0(VALU_DEP_1) | instskip(NEXT) | instid1(VALU_DEP_1)
	v_lshlrev_b64 v[8:9], 2, v[4:5]
	v_add_co_u32 v8, vcc_lo, s66, v8
	s_delay_alu instid0(VALU_DEP_2) | instskip(SKIP_3) | instid1(VALU_DEP_1)
	v_add_co_ci_u32_e32 v9, vcc_lo, s67, v9, vcc_lo
	global_load_b32 v4, v[8:9], off glc
	s_waitcnt vmcnt(0)
	v_and_b32_e32 v2, -2.0, v4
	v_cmpx_eq_u32_e32 0, v2
	s_cbranch_execz .LBB38_273
; %bb.276:                              ;   in Loop: Header=BB38_274 Depth=1
	s_mov_b32 s4, 0
.LBB38_277:                             ;   Parent Loop BB38_274 Depth=1
                                        ; =>  This Inner Loop Header: Depth=2
	global_load_b32 v4, v[8:9], off glc
	s_waitcnt vmcnt(0)
	v_and_b32_e32 v2, -2.0, v4
	s_delay_alu instid0(VALU_DEP_1) | instskip(SKIP_1) | instid1(SALU_CYCLE_1)
	v_cmp_ne_u32_e32 vcc_lo, 0, v2
	s_or_b32 s4, vcc_lo, s4
	s_and_not1_b32 exec_lo, exec_lo, s4
	s_cbranch_execnz .LBB38_277
	s_branch .LBB38_272
.LBB38_278:                             ;   in Loop: Header=BB38_274 Depth=1
                                        ; implicit-def: $sgpr63
	s_and_b32 s4, exec_lo, s3
	s_delay_alu instid0(SALU_CYCLE_1) | instskip(NEXT) | instid1(SALU_CYCLE_1)
	s_or_b32 s0, s4, s0
	s_and_not1_b32 exec_lo, exec_lo, s0
	s_cbranch_execnz .LBB38_274
.LBB38_279:
	s_or_b32 exec_lo, exec_lo, s0
	v_add_nc_u32_e32 v2, v0, v52
	v_lshlrev_b32_e32 v53, 3, v1
	v_lshlrev_b32_e32 v9, 3, v51
	s_lshl_b64 s[4:5], s[64:65], 3
	v_lshlrev_b32_e32 v10, 3, v10
	v_or_b32_e32 v2, 0x80000000, v2
	v_add_nc_u32_e32 v5, 0x1100, v1
	v_or_b32_e32 v8, 0x1400, v1
	v_lshlrev_b32_e32 v58, 3, v58
	v_lshlrev_b32_e32 v47, 3, v47
	global_store_b32 v[6:7], v2, off
	global_load_b64 v[36:37], v53, s[56:57]
	v_sub_co_u32 v2, s0, v0, v3
	s_delay_alu instid0(VALU_DEP_1) | instskip(SKIP_3) | instid1(VALU_DEP_1)
	v_sub_co_ci_u32_e64 v4, null, 0, 0, s0
	s_add_u32 s0, s52, s4
	s_addc_u32 s3, s53, s5
	v_add_co_u32 v11, s0, s0, v9
	v_add_co_ci_u32_e64 v16, null, s3, 0, s0
	v_or_b32_e32 v0, 0x1000, v1
	s_delay_alu instid0(VALU_DEP_3) | instskip(NEXT) | instid1(VALU_DEP_3)
	v_add_co_u32 v54, vcc_lo, v11, v10
	v_add_co_ci_u32_e32 v55, vcc_lo, 0, v16, vcc_lo
	v_add_nc_u32_e32 v6, 0x1200, v1
	v_add_nc_u32_e32 v7, 0x1300, v1
	;; [unrolled: 1-line block ×3, first 2 shown]
	v_lshlrev_b32_e32 v43, 3, v43
	v_lshlrev_b32_e32 v39, 3, v39
	v_lshlrev_b32_e32 v35, 3, v35
	v_lshlrev_b32_e32 v33, 3, v33
	v_lshlrev_b32_e32 v31, 3, v31
	v_lshlrev_b32_e32 v30, 3, v30
	v_lshlrev_b32_e32 v29, 3, v29
	v_lshlrev_b32_e32 v27, 3, v27
	v_lshlrev_b32_e32 v26, 3, v26
	v_lshlrev_b32_e32 v25, 3, v25
	v_lshlrev_b32_e32 v23, 3, v23
	v_lshlrev_b32_e32 v22, 3, v22
	v_lshlrev_b32_e32 v21, 3, v21
	v_lshlrev_b32_e32 v19, 3, v19
	v_lshlrev_b32_e32 v18, 3, v18
	v_lshlrev_b32_e32 v17, 3, v17
	v_lshlrev_b32_e32 v15, 3, v15
	v_lshlrev_b32_e32 v14, 3, v14
	v_lshlrev_b32_e32 v13, 3, v13
	v_lshlrev_b32_e32 v12, 3, v12
	s_add_i32 s2, s2, -1
	s_delay_alu instid0(SALU_CYCLE_1)
	s_cmp_eq_u32 s15, s2
	s_cselect_b32 s2, -1, 0
	s_waitcnt vmcnt(0)
	v_add_co_u32 v10, vcc_lo, v2, v36
	v_add_co_ci_u32_e32 v11, vcc_lo, v4, v37, vcc_lo
	v_add_co_u32 v56, vcc_lo, 0x1000, v54
	v_add_co_ci_u32_e32 v57, vcc_lo, 0, v55, vcc_lo
	ds_store_b64 v53, v[10:11]
	s_waitcnt lgkmcnt(0)
	s_waitcnt_vscnt null, 0x0
	s_barrier
	buffer_gl0_inv
	ds_load_u8 v2, v1 offset:2304
	ds_load_u8 v4, v1 offset:2560
	;; [unrolled: 1-line block ×22, first 2 shown]
	s_waitcnt lgkmcnt(19)
	v_and_b32_e32 v59, 0xff, v10
	v_xor_b32_e32 v103, 0x7f, v10
	s_waitcnt lgkmcnt(18)
	v_and_b32_e32 v10, 0xff, v11
	v_xor_b32_e32 v104, 0x7f, v11
	s_waitcnt lgkmcnt(17)
	v_and_b32_e32 v11, 0xff, v16
	v_xor_b32_e32 v105, 0x7f, v16
	s_waitcnt lgkmcnt(16)
	v_and_b32_e32 v16, 0xff, v20
	v_xor_b32_e32 v106, 0x7f, v20
	s_waitcnt lgkmcnt(15)
	v_and_b32_e32 v20, 0xff, v24
	v_xor_b32_e32 v107, 0x7f, v24
	s_waitcnt lgkmcnt(14)
	v_and_b32_e32 v24, 0xff, v28
	v_xor_b32_e32 v108, 0x7f, v28
	s_waitcnt lgkmcnt(13)
	v_and_b32_e32 v28, 0xff, v32
	v_xor_b32_e32 v109, 0x7f, v32
	s_waitcnt lgkmcnt(12)
	v_and_b32_e32 v32, 0xff, v34
	v_xor_b32_e32 v110, 0x7f, v34
	s_waitcnt lgkmcnt(11)
	v_and_b32_e32 v34, 0xff, v36
	v_xor_b32_e32 v111, 0x7f, v36
	s_waitcnt lgkmcnt(10)
	v_and_b32_e32 v36, 0xff, v37
	v_xor_b32_e32 v112, 0x7f, v37
	s_waitcnt lgkmcnt(9)
	v_and_b32_e32 v37, 0xff, v38
	v_xor_b32_e32 v113, 0x7f, v38
	s_waitcnt lgkmcnt(8)
	v_and_b32_e32 v38, 0xff, v40
	v_xor_b32_e32 v114, 0x7f, v40
	s_waitcnt lgkmcnt(7)
	v_and_b32_e32 v40, 0xff, v41
	v_xor_b32_e32 v115, 0x7f, v41
	s_waitcnt lgkmcnt(6)
	v_and_b32_e32 v41, 0xff, v42
	v_xor_b32_e32 v116, 0x7f, v42
	s_waitcnt lgkmcnt(5)
	v_and_b32_e32 v42, 0xff, v44
	v_xor_b32_e32 v117, 0x7f, v44
	s_waitcnt lgkmcnt(4)
	v_and_b32_e32 v44, 0xff, v45
	v_xor_b32_e32 v118, 0x7f, v45
	s_waitcnt lgkmcnt(3)
	v_and_b32_e32 v45, 0xff, v46
	v_xor_b32_e32 v119, 0x7f, v46
	s_waitcnt lgkmcnt(2)
	v_and_b32_e32 v46, 0xff, v48
	v_xor_b32_e32 v120, 0x7f, v48
	s_waitcnt lgkmcnt(1)
	v_and_b32_e32 v48, 0xff, v49
	v_lshrrev_b32_e32 v10, s60, v10
	v_lshrrev_b32_e32 v11, s60, v11
	;; [unrolled: 1-line block ×6, first 2 shown]
	v_and_b32_e32 v50, 0xff, v2
	v_and_b32_e32 v51, 0xff, v4
	v_lshrrev_b32_e32 v24, s60, v24
	v_lshrrev_b32_e32 v28, s60, v28
	;; [unrolled: 1-line block ×12, first 2 shown]
	v_and_b32_e32 v10, s1, v10
	v_and_b32_e32 v65, s1, v46
	;; [unrolled: 1-line block ×6, first 2 shown]
	v_xor_b32_e32 v121, 0x7f, v49
	v_lshrrev_b32_e32 v49, s60, v50
	v_lshrrev_b32_e32 v50, s60, v51
	;; [unrolled: 1-line block ×3, first 2 shown]
	v_and_b32_e32 v24, s1, v24
	v_and_b32_e32 v28, s1, v28
	;; [unrolled: 1-line block ×12, first 2 shown]
	v_lshlrev_b32_e32 v44, 3, v10
	v_lshlrev_b32_e32 v10, 3, v65
	;; [unrolled: 1-line block ×18, first 2 shown]
	ds_load_b64 v[59:60], v10
	ds_load_b64 v[61:62], v11
	s_waitcnt lgkmcnt(2)
	v_and_b32_e32 v71, 0xff, v67
	v_xor_b32_e32 v122, 0x7f, v67
	ds_load_b64 v[63:64], v44
	ds_load_b64 v[65:66], v45
	;; [unrolled: 1-line block ×4, first 2 shown]
	v_and_b32_e32 v49, s1, v49
	v_and_b32_e32 v50, s1, v50
	v_lshrrev_b32_e32 v79, s60, v71
	ds_load_b64 v[71:72], v38
	ds_load_b64 v[73:74], v40
	ds_load_b64 v[75:76], v41
	ds_load_b64 v[77:78], v42
	v_and_b32_e32 v51, s1, v51
	v_lshlrev_b32_e32 v49, 3, v49
	v_lshlrev_b32_e32 v50, 3, v50
	v_and_b32_e32 v87, s1, v79
	ds_load_b64 v[79:80], v20
	ds_load_b64 v[81:82], v24
	;; [unrolled: 1-line block ×4, first 2 shown]
	v_lshlrev_b32_e32 v51, 3, v51
	v_xor_b32_e32 v2, 0x7f, v2
	v_xor_b32_e32 v4, 0x7f, v4
	v_lshlrev_b32_e32 v123, 3, v87
	ds_load_b64 v[87:88], v16
	ds_load_b64 v[89:90], v34
	ds_load_b64 v[91:92], v36
	ds_load_b64 v[93:94], v37
	ds_load_b64 v[95:96], v123
	ds_load_b64 v[97:98], v49
	ds_load_b64 v[99:100], v50
	ds_load_b64 v[101:102], v51
	s_waitcnt lgkmcnt(19)
	v_add_co_u32 v63, vcc_lo, s50, v63
	v_add_co_ci_u32_e32 v64, vcc_lo, s51, v64, vcc_lo
	s_waitcnt lgkmcnt(18)
	v_add_co_u32 v65, vcc_lo, s50, v65
	v_add_co_ci_u32_e32 v66, vcc_lo, s51, v66, vcc_lo
	;; [unrolled: 3-line block ×16, first 2 shown]
	v_add_co_u32 v124, vcc_lo, s50, v59
	v_add_co_ci_u32_e32 v125, vcc_lo, s51, v60, vcc_lo
	v_add_co_u32 v126, vcc_lo, s50, v61
	v_add_co_ci_u32_e32 v127, vcc_lo, s51, v62, vcc_lo
	;; [unrolled: 2-line block ×19, first 2 shown]
	s_waitcnt lgkmcnt(3)
	v_add_co_u32 v93, vcc_lo, s50, v95
	v_add_co_ci_u32_e32 v94, vcc_lo, s51, v96, vcc_lo
	s_waitcnt lgkmcnt(2)
	v_add_co_u32 v95, vcc_lo, s50, v97
	v_add_co_ci_u32_e32 v96, vcc_lo, s51, v98, vcc_lo
	;; [unrolled: 3-line block ×4, first 2 shown]
	v_add_co_u32 v93, vcc_lo, v93, v1
	v_add_co_ci_u32_e32 v94, vcc_lo, 0, v94, vcc_lo
	v_add_co_u32 v95, vcc_lo, v95, v1
	v_add_co_ci_u32_e32 v96, vcc_lo, 0, v96, vcc_lo
	;; [unrolled: 2-line block ×5, first 2 shown]
	s_clause 0x15
	global_store_b8 v[93:94], v122, off
	global_store_b8 v[95:96], v2, off offset:256
	global_store_b8 v[97:98], v4, off offset:512
	;; [unrolled: 1-line block ×15, first 2 shown]
	global_store_b8 v[83:84], v116, off
	global_store_b8 v[85:86], v117, off
	;; [unrolled: 1-line block ×6, first 2 shown]
	s_clause 0x15
	global_load_b64 v[59:60], v[54:55], off
	global_load_b64 v[61:62], v[54:55], off offset:256
	global_load_b64 v[63:64], v[54:55], off offset:512
	;; [unrolled: 1-line block ×15, first 2 shown]
	global_load_b64 v[89:90], v[56:57], off
	global_load_b64 v[91:92], v[56:57], off offset:256
	global_load_b64 v[93:94], v[56:57], off offset:512
	;; [unrolled: 1-line block ×5, first 2 shown]
	v_dual_mov_b32 v2, 0 :: v_dual_lshlrev_b32 v115, 3, v6
	v_lshlrev_b32_e32 v116, 3, v7
	v_lshlrev_b32_e32 v117, 3, v8
	;; [unrolled: 1-line block ×3, first 2 shown]
	s_delay_alu instid0(VALU_DEP_4)
	v_mov_b32_e32 v4, v2
	v_lshlrev_b32_e32 v114, 3, v5
	s_waitcnt vmcnt(0)
	s_waitcnt_vscnt null, 0x0
	s_barrier
	buffer_gl0_inv
	v_add_nc_u32_e32 v100, 0x1000, v53
	v_add_nc_u32_e32 v101, 0x1800, v53
	v_or_b32_e32 v102, 0x2000, v53
	v_add_nc_u32_e32 v103, 0x2800, v53
	v_add_nc_u32_e32 v104, 0x3000, v53
	v_add_nc_u32_e32 v105, 0x3800, v53
	v_or_b32_e32 v106, 0x4000, v53
	v_add_nc_u32_e32 v107, 0x4800, v53
	;; [unrolled: 4-line block ×3, first 2 shown]
	v_add_nc_u32_e32 v112, 0x7000, v53
	v_add_nc_u32_e32 v113, 0x7800, v53
	v_lshlrev_b32_e32 v0, 3, v0
	ds_store_b64 v58, v[59:60] offset:2048
	ds_store_b64 v47, v[61:62] offset:2048
	;; [unrolled: 1-line block ×22, first 2 shown]
	s_waitcnt lgkmcnt(0)
	s_barrier
	buffer_gl0_inv
	ds_load_2addr_stride64_b64 v[5:8], v53 offset0:4 offset1:8
	ds_load_2addr_stride64_b64 v[12:15], v53 offset0:12 offset1:16
	ds_load_b64 v[29:30], v123
	ds_load_b64 v[66:67], v49
	ds_load_b64 v[68:69], v50
	ds_load_b64 v[70:71], v51
	ds_load_2addr_stride64_b64 v[54:57], v53 offset0:20 offset1:24
	ds_load_2addr_stride64_b64 v[58:61], v53 offset0:28 offset1:32
	ds_load_b64 v[72:73], v44
	ds_load_b64 v[74:75], v45
	ds_load_b64 v[76:77], v46
	ds_load_b64 v[78:79], v48
	;; [unrolled: 6-line block ×5, first 2 shown]
	ds_load_2addr_stride64_b64 v[25:28], v53 offset0:84 offset1:88
	ds_load_b64 v[9:10], v10
	ds_load_b64 v[98:99], v11
	s_waitcnt lgkmcnt(30)
	v_lshlrev_b64 v[29:30], 3, v[29:30]
	s_waitcnt lgkmcnt(29)
	v_lshlrev_b64 v[66:67], 3, v[66:67]
	;; [unrolled: 2-line block ×6, first 2 shown]
	v_add_co_u32 v11, vcc_lo, s54, v29
	v_add_co_ci_u32_e32 v16, vcc_lo, s55, v30, vcc_lo
	v_add_co_u32 v29, vcc_lo, s54, v66
	v_add_co_ci_u32_e32 v30, vcc_lo, s55, v67, vcc_lo
	;; [unrolled: 2-line block ×4, first 2 shown]
	s_waitcnt lgkmcnt(22)
	v_lshlrev_b64 v[76:77], 3, v[76:77]
	v_add_co_u32 v67, vcc_lo, s54, v72
	v_add_co_ci_u32_e32 v68, vcc_lo, s55, v73, vcc_lo
	s_waitcnt lgkmcnt(21)
	v_lshlrev_b64 v[78:79], 3, v[78:79]
	v_add_co_u32 v69, vcc_lo, s54, v74
	v_add_co_ci_u32_e32 v70, vcc_lo, s55, v75, vcc_lo
	;; [unrolled: 4-line block ×16, first 2 shown]
	v_add_co_u32 v120, vcc_lo, s54, v9
	v_add_co_ci_u32_e32 v121, vcc_lo, s55, v10, vcc_lo
	v_add_co_u32 v98, vcc_lo, s54, v98
	v_add_co_ci_u32_e32 v99, vcc_lo, s55, v99, vcc_lo
	v_add_co_u32 v9, vcc_lo, v11, v53
	v_add_co_ci_u32_e32 v10, vcc_lo, 0, v16, vcc_lo
	v_add_co_u32 v29, vcc_lo, v29, v53
	v_add_co_ci_u32_e32 v30, vcc_lo, 0, v30, vcc_lo
	v_add_co_u32 v31, vcc_lo, v37, v100
	v_add_co_ci_u32_e32 v32, vcc_lo, 0, v42, vcc_lo
	v_add_co_u32 v33, vcc_lo, v51, v101
	v_add_co_ci_u32_e32 v34, vcc_lo, 0, v66, vcc_lo
	v_add_co_u32 v35, vcc_lo, v67, v102
	v_add_co_ci_u32_e32 v36, vcc_lo, 0, v68, vcc_lo
	v_add_co_u32 v66, vcc_lo, v69, v103
	v_add_co_ci_u32_e32 v67, vcc_lo, 0, v70, vcc_lo
	v_add_co_u32 v68, vcc_lo, v71, v104
	v_add_co_ci_u32_e32 v69, vcc_lo, 0, v72, vcc_lo
	v_add_co_u32 v70, vcc_lo, v73, v105
	v_add_co_ci_u32_e32 v71, vcc_lo, 0, v74, vcc_lo
	v_add_co_u32 v72, vcc_lo, v75, v106
	v_add_co_ci_u32_e32 v73, vcc_lo, 0, v76, vcc_lo
	v_add_co_u32 v74, vcc_lo, v77, v107
	v_add_co_ci_u32_e32 v75, vcc_lo, 0, v78, vcc_lo
	v_add_co_u32 v76, vcc_lo, v79, v108
	v_add_co_ci_u32_e32 v77, vcc_lo, 0, v80, vcc_lo
	v_add_co_u32 v78, vcc_lo, v81, v109
	v_add_co_ci_u32_e32 v79, vcc_lo, 0, v82, vcc_lo
	v_add_co_u32 v80, vcc_lo, v83, v110
	v_add_co_ci_u32_e32 v81, vcc_lo, 0, v84, vcc_lo
	v_add_co_u32 v82, vcc_lo, v85, v111
	v_add_co_ci_u32_e32 v83, vcc_lo, 0, v86, vcc_lo
	v_add_co_u32 v84, vcc_lo, v87, v112
	v_add_co_ci_u32_e32 v85, vcc_lo, 0, v88, vcc_lo
	v_add_co_u32 v86, vcc_lo, v89, v113
	v_add_co_ci_u32_e32 v87, vcc_lo, 0, v90, vcc_lo
	v_add_co_u32 v88, vcc_lo, v91, v0
	v_add_co_ci_u32_e32 v89, vcc_lo, 0, v92, vcc_lo
	v_add_co_u32 v90, vcc_lo, v93, v114
	v_add_co_ci_u32_e32 v91, vcc_lo, 0, v94, vcc_lo
	v_add_co_u32 v92, vcc_lo, v95, v115
	v_add_co_ci_u32_e32 v93, vcc_lo, 0, v119, vcc_lo
	v_add_co_u32 v94, vcc_lo, v96, v116
	v_add_co_ci_u32_e32 v95, vcc_lo, 0, v97, vcc_lo
	v_add_co_u32 v96, vcc_lo, v120, v117
	v_add_co_ci_u32_e32 v97, vcc_lo, 0, v121, vcc_lo
	v_add_co_u32 v98, vcc_lo, v98, v118
	v_add_co_ci_u32_e32 v99, vcc_lo, 0, v99, vcc_lo
	s_clause 0x15
	global_store_b64 v[9:10], v[5:6], off
	global_store_b64 v[29:30], v[7:8], off offset:2048
	global_store_b64 v[31:32], v[12:13], off
	global_store_b64 v[33:34], v[14:15], off
	;; [unrolled: 1-line block ×20, first 2 shown]
.LBB38_280:
	s_and_b32 vcc_lo, exec_lo, s2
	s_cbranch_vccnz .LBB38_282
; %bb.281:
	s_nop 0
	s_sendmsg sendmsg(MSG_DEALLOC_VGPRS)
	s_endpgm
.LBB38_282:
	ds_load_b64 v[5:6], v53
	v_lshlrev_b64 v[0:1], 3, v[1:2]
	v_add_co_u32 v2, vcc_lo, v3, v52
	v_add_co_ci_u32_e32 v3, vcc_lo, 0, v4, vcc_lo
	s_delay_alu instid0(VALU_DEP_3) | instskip(NEXT) | instid1(VALU_DEP_4)
	v_add_co_u32 v0, vcc_lo, s58, v0
	v_add_co_ci_u32_e32 v1, vcc_lo, s59, v1, vcc_lo
	s_waitcnt lgkmcnt(0)
	v_add_co_u32 v2, vcc_lo, v2, v5
	v_add_co_ci_u32_e32 v3, vcc_lo, v3, v6, vcc_lo
	global_store_b64 v[0:1], v[2:3], off
	s_nop 0
	s_sendmsg sendmsg(MSG_DEALLOC_VGPRS)
	s_endpgm
.LBB38_283:
	global_load_b64 v[5:6], v[49:50], off
	s_or_b32 exec_lo, exec_lo, s47
                                        ; implicit-def: $vgpr7_vgpr8
	s_and_saveexec_b32 s47, s2
	s_cbranch_execz .LBB38_151
.LBB38_284:
	global_load_b64 v[7:8], v[49:50], off offset:256
	s_or_b32 exec_lo, exec_lo, s47
                                        ; implicit-def: $vgpr9_vgpr10
	s_and_saveexec_b32 s2, s3
	s_cbranch_execz .LBB38_152
.LBB38_285:
	global_load_b64 v[9:10], v[49:50], off offset:512
	s_or_b32 exec_lo, exec_lo, s2
                                        ; implicit-def: $vgpr11_vgpr12
	s_and_saveexec_b32 s2, s4
	s_cbranch_execz .LBB38_153
.LBB38_286:
	global_load_b64 v[11:12], v[49:50], off offset:768
	s_or_b32 exec_lo, exec_lo, s2
                                        ; implicit-def: $vgpr13_vgpr14
	s_and_saveexec_b32 s2, s5
	s_cbranch_execz .LBB38_154
.LBB38_287:
	global_load_b64 v[13:14], v[49:50], off offset:1024
	s_or_b32 exec_lo, exec_lo, s2
                                        ; implicit-def: $vgpr15_vgpr16
	s_and_saveexec_b32 s2, s6
	s_cbranch_execz .LBB38_155
.LBB38_288:
	global_load_b64 v[15:16], v[49:50], off offset:1280
	s_or_b32 exec_lo, exec_lo, s2
                                        ; implicit-def: $vgpr17_vgpr18
	s_and_saveexec_b32 s2, s7
	s_cbranch_execz .LBB38_156
.LBB38_289:
	global_load_b64 v[17:18], v[49:50], off offset:1536
	s_or_b32 exec_lo, exec_lo, s2
                                        ; implicit-def: $vgpr19_vgpr20
	s_and_saveexec_b32 s2, s8
	s_cbranch_execz .LBB38_157
.LBB38_290:
	global_load_b64 v[19:20], v[49:50], off offset:1792
	s_or_b32 exec_lo, exec_lo, s2
                                        ; implicit-def: $vgpr21_vgpr22
	s_and_saveexec_b32 s2, s9
	s_cbranch_execz .LBB38_158
.LBB38_291:
	global_load_b64 v[21:22], v[49:50], off offset:2048
	s_or_b32 exec_lo, exec_lo, s2
                                        ; implicit-def: $vgpr23_vgpr24
	s_and_saveexec_b32 s2, s10
	s_cbranch_execz .LBB38_159
.LBB38_292:
	global_load_b64 v[23:24], v[49:50], off offset:2304
	s_or_b32 exec_lo, exec_lo, s2
                                        ; implicit-def: $vgpr25_vgpr26
	s_and_saveexec_b32 s2, s11
	s_cbranch_execz .LBB38_160
.LBB38_293:
	global_load_b64 v[25:26], v[49:50], off offset:2560
	s_or_b32 exec_lo, exec_lo, s2
                                        ; implicit-def: $vgpr27_vgpr28
	s_and_saveexec_b32 s2, s12
	s_cbranch_execz .LBB38_161
.LBB38_294:
	global_load_b64 v[27:28], v[49:50], off offset:2816
	s_or_b32 exec_lo, exec_lo, s2
                                        ; implicit-def: $vgpr29_vgpr30
	s_and_saveexec_b32 s2, s13
	s_cbranch_execz .LBB38_162
.LBB38_295:
	global_load_b64 v[29:30], v[49:50], off offset:3072
	s_or_b32 exec_lo, exec_lo, s2
                                        ; implicit-def: $vgpr31_vgpr32
	s_and_saveexec_b32 s2, s14
	s_cbranch_execz .LBB38_163
.LBB38_296:
	global_load_b64 v[31:32], v[49:50], off offset:3328
	s_or_b32 exec_lo, exec_lo, s2
                                        ; implicit-def: $vgpr33_vgpr34
	s_and_saveexec_b32 s2, s16
	s_cbranch_execz .LBB38_164
.LBB38_297:
	global_load_b64 v[33:34], v[49:50], off offset:3584
	s_or_b32 exec_lo, exec_lo, s2
                                        ; implicit-def: $vgpr35_vgpr36
	s_and_saveexec_b32 s2, s18
	s_cbranch_execz .LBB38_165
.LBB38_298:
	global_load_b64 v[35:36], v[49:50], off offset:3840
	s_or_b32 exec_lo, exec_lo, s2
                                        ; implicit-def: $vgpr37_vgpr38
	s_and_saveexec_b32 s2, s23
	s_cbranch_execz .LBB38_166
.LBB38_299:
	v_add_co_u32 v37, vcc_lo, 0x1000, v49
	v_add_co_ci_u32_e32 v38, vcc_lo, 0, v50, vcc_lo
	global_load_b64 v[37:38], v[37:38], off
	s_or_b32 exec_lo, exec_lo, s2
                                        ; implicit-def: $vgpr39_vgpr40
	s_and_saveexec_b32 s2, s21
	s_cbranch_execz .LBB38_167
.LBB38_300:
	v_add_co_u32 v39, vcc_lo, 0x1000, v49
	v_add_co_ci_u32_e32 v40, vcc_lo, 0, v50, vcc_lo
	global_load_b64 v[39:40], v[39:40], off offset:256
	s_or_b32 exec_lo, exec_lo, s2
                                        ; implicit-def: $vgpr41_vgpr42
	s_and_saveexec_b32 s2, s22
	s_cbranch_execz .LBB38_168
.LBB38_301:
	v_add_co_u32 v41, vcc_lo, 0x1000, v49
	v_add_co_ci_u32_e32 v42, vcc_lo, 0, v50, vcc_lo
	global_load_b64 v[41:42], v[41:42], off offset:512
	s_or_b32 exec_lo, exec_lo, s2
                                        ; implicit-def: $vgpr43_vgpr44
	s_and_saveexec_b32 s2, s19
	s_cbranch_execz .LBB38_169
.LBB38_302:
	v_add_co_u32 v43, vcc_lo, 0x1000, v49
	v_add_co_ci_u32_e32 v44, vcc_lo, 0, v50, vcc_lo
	global_load_b64 v[43:44], v[43:44], off offset:768
	s_or_b32 exec_lo, exec_lo, s2
                                        ; implicit-def: $vgpr45_vgpr46
	s_and_saveexec_b32 s2, s20
	s_cbranch_execz .LBB38_170
.LBB38_303:
	v_add_co_u32 v45, vcc_lo, 0x1000, v49
	v_add_co_ci_u32_e32 v46, vcc_lo, 0, v50, vcc_lo
	global_load_b64 v[45:46], v[45:46], off offset:1024
	s_or_b32 exec_lo, exec_lo, s2
                                        ; implicit-def: $vgpr47_vgpr48
	s_and_saveexec_b32 s2, s17
	s_cbranch_execz .LBB38_171
.LBB38_304:
	v_add_co_u32 v47, vcc_lo, 0x1000, v49
	v_add_co_ci_u32_e32 v48, vcc_lo, 0, v50, vcc_lo
	global_load_b64 v[47:48], v[47:48], off offset:1280
	s_or_b32 exec_lo, exec_lo, s2
                                        ; implicit-def: $vgpr115
	s_and_saveexec_b32 s2, s24
	s_cbranch_execz .LBB38_172
.LBB38_305:
	ds_load_u8 v49, v1 offset:2048
	s_waitcnt lgkmcnt(0)
	v_lshrrev_b32_e32 v49, s60, v49
	s_delay_alu instid0(VALU_DEP_1)
	v_and_b32_e32 v115, s68, v49
	s_or_b32 exec_lo, exec_lo, s2
                                        ; implicit-def: $vgpr114
	s_and_saveexec_b32 s2, s25
	s_cbranch_execz .LBB38_173
.LBB38_306:
	ds_load_u8 v49, v1 offset:2304
	s_waitcnt lgkmcnt(0)
	v_lshrrev_b32_e32 v49, s60, v49
	s_delay_alu instid0(VALU_DEP_1)
	v_and_b32_e32 v114, s68, v49
	s_or_b32 exec_lo, exec_lo, s2
                                        ; implicit-def: $vgpr113
	s_and_saveexec_b32 s2, s26
	s_cbranch_execz .LBB38_174
.LBB38_307:
	ds_load_u8 v49, v1 offset:2560
	s_waitcnt lgkmcnt(0)
	v_lshrrev_b32_e32 v49, s60, v49
	s_delay_alu instid0(VALU_DEP_1)
	v_and_b32_e32 v113, s68, v49
	s_or_b32 exec_lo, exec_lo, s2
                                        ; implicit-def: $vgpr112
	s_and_saveexec_b32 s2, s27
	s_cbranch_execz .LBB38_175
.LBB38_308:
	ds_load_u8 v49, v1 offset:2816
	s_waitcnt lgkmcnt(0)
	v_lshrrev_b32_e32 v49, s60, v49
	s_delay_alu instid0(VALU_DEP_1)
	v_and_b32_e32 v112, s68, v49
	s_or_b32 exec_lo, exec_lo, s2
                                        ; implicit-def: $vgpr111
	s_and_saveexec_b32 s2, s28
	s_cbranch_execz .LBB38_176
.LBB38_309:
	ds_load_u8 v49, v1 offset:3072
	s_waitcnt lgkmcnt(0)
	v_lshrrev_b32_e32 v49, s60, v49
	s_delay_alu instid0(VALU_DEP_1)
	v_and_b32_e32 v111, s68, v49
	s_or_b32 exec_lo, exec_lo, s2
                                        ; implicit-def: $vgpr110
	s_and_saveexec_b32 s2, s29
	s_cbranch_execz .LBB38_177
.LBB38_310:
	ds_load_u8 v49, v1 offset:3328
	s_waitcnt lgkmcnt(0)
	v_lshrrev_b32_e32 v49, s60, v49
	s_delay_alu instid0(VALU_DEP_1)
	v_and_b32_e32 v110, s68, v49
	s_or_b32 exec_lo, exec_lo, s2
                                        ; implicit-def: $vgpr109
	s_and_saveexec_b32 s2, s30
	s_cbranch_execz .LBB38_178
.LBB38_311:
	ds_load_u8 v49, v1 offset:3584
	s_waitcnt lgkmcnt(0)
	v_lshrrev_b32_e32 v49, s60, v49
	s_delay_alu instid0(VALU_DEP_1)
	v_and_b32_e32 v109, s68, v49
	s_or_b32 exec_lo, exec_lo, s2
                                        ; implicit-def: $vgpr108
	s_and_saveexec_b32 s2, s31
	s_cbranch_execz .LBB38_179
.LBB38_312:
	ds_load_u8 v49, v1 offset:3840
	s_waitcnt lgkmcnt(0)
	v_lshrrev_b32_e32 v49, s60, v49
	s_delay_alu instid0(VALU_DEP_1)
	v_and_b32_e32 v108, s68, v49
	s_or_b32 exec_lo, exec_lo, s2
                                        ; implicit-def: $vgpr107
	s_and_saveexec_b32 s2, s33
	s_cbranch_execz .LBB38_180
.LBB38_313:
	ds_load_u8 v49, v1 offset:4096
	s_waitcnt lgkmcnt(0)
	v_lshrrev_b32_e32 v49, s60, v49
	s_delay_alu instid0(VALU_DEP_1)
	v_and_b32_e32 v107, s68, v49
	s_or_b32 exec_lo, exec_lo, s2
                                        ; implicit-def: $vgpr106
	s_and_saveexec_b32 s2, s34
	s_cbranch_execz .LBB38_181
.LBB38_314:
	ds_load_u8 v49, v1 offset:4352
	s_waitcnt lgkmcnt(0)
	v_lshrrev_b32_e32 v49, s60, v49
	s_delay_alu instid0(VALU_DEP_1)
	v_and_b32_e32 v106, s68, v49
	s_or_b32 exec_lo, exec_lo, s2
                                        ; implicit-def: $vgpr105
	s_and_saveexec_b32 s2, s35
	s_cbranch_execz .LBB38_182
.LBB38_315:
	ds_load_u8 v49, v1 offset:4608
	s_waitcnt lgkmcnt(0)
	v_lshrrev_b32_e32 v49, s60, v49
	s_delay_alu instid0(VALU_DEP_1)
	v_and_b32_e32 v105, s68, v49
	s_or_b32 exec_lo, exec_lo, s2
                                        ; implicit-def: $vgpr104
	s_and_saveexec_b32 s2, s36
	s_cbranch_execz .LBB38_183
.LBB38_316:
	ds_load_u8 v49, v1 offset:4864
	s_waitcnt lgkmcnt(0)
	v_lshrrev_b32_e32 v49, s60, v49
	s_delay_alu instid0(VALU_DEP_1)
	v_and_b32_e32 v104, s68, v49
	s_or_b32 exec_lo, exec_lo, s2
                                        ; implicit-def: $vgpr103
	s_and_saveexec_b32 s2, s37
	s_cbranch_execz .LBB38_184
.LBB38_317:
	ds_load_u8 v49, v1 offset:5120
	s_waitcnt lgkmcnt(0)
	v_lshrrev_b32_e32 v49, s60, v49
	s_delay_alu instid0(VALU_DEP_1)
	v_and_b32_e32 v103, s68, v49
	s_or_b32 exec_lo, exec_lo, s2
                                        ; implicit-def: $vgpr102
	s_and_saveexec_b32 s2, s38
	s_cbranch_execz .LBB38_185
.LBB38_318:
	ds_load_u8 v49, v1 offset:5376
	s_waitcnt lgkmcnt(0)
	v_lshrrev_b32_e32 v49, s60, v49
	s_delay_alu instid0(VALU_DEP_1)
	v_and_b32_e32 v102, s68, v49
	s_or_b32 exec_lo, exec_lo, s2
                                        ; implicit-def: $vgpr101
	s_and_saveexec_b32 s2, s39
	s_cbranch_execz .LBB38_186
.LBB38_319:
	ds_load_u8 v49, v1 offset:5632
	s_waitcnt lgkmcnt(0)
	v_lshrrev_b32_e32 v49, s60, v49
	s_delay_alu instid0(VALU_DEP_1)
	v_and_b32_e32 v101, s68, v49
	s_or_b32 exec_lo, exec_lo, s2
                                        ; implicit-def: $vgpr100
	s_and_saveexec_b32 s2, s40
	s_cbranch_execz .LBB38_187
.LBB38_320:
	ds_load_u8 v49, v1 offset:5888
	s_waitcnt lgkmcnt(0)
	v_lshrrev_b32_e32 v49, s60, v49
	s_delay_alu instid0(VALU_DEP_1)
	v_and_b32_e32 v100, s68, v49
	s_or_b32 exec_lo, exec_lo, s2
                                        ; implicit-def: $vgpr99
	s_and_saveexec_b32 s2, s41
	s_cbranch_execz .LBB38_188
.LBB38_321:
	ds_load_u8 v49, v1 offset:6144
	s_waitcnt lgkmcnt(0)
	v_lshrrev_b32_e32 v49, s60, v49
	s_delay_alu instid0(VALU_DEP_1)
	v_and_b32_e32 v99, s68, v49
	s_or_b32 exec_lo, exec_lo, s2
                                        ; implicit-def: $vgpr98
	s_and_saveexec_b32 s2, s42
	s_cbranch_execz .LBB38_189
.LBB38_322:
	ds_load_u8 v49, v1 offset:6400
	s_waitcnt lgkmcnt(0)
	v_lshrrev_b32_e32 v49, s60, v49
	s_delay_alu instid0(VALU_DEP_1)
	v_and_b32_e32 v98, s68, v49
	s_or_b32 exec_lo, exec_lo, s2
                                        ; implicit-def: $vgpr97
	s_and_saveexec_b32 s2, s43
	s_cbranch_execz .LBB38_190
.LBB38_323:
	ds_load_u8 v49, v1 offset:6656
	s_waitcnt lgkmcnt(0)
	v_lshrrev_b32_e32 v49, s60, v49
	s_delay_alu instid0(VALU_DEP_1)
	v_and_b32_e32 v97, s68, v49
	s_or_b32 exec_lo, exec_lo, s2
                                        ; implicit-def: $vgpr96
	s_and_saveexec_b32 s2, s44
	s_cbranch_execz .LBB38_191
.LBB38_324:
	ds_load_u8 v49, v1 offset:6912
	s_waitcnt lgkmcnt(0)
	v_lshrrev_b32_e32 v49, s60, v49
	s_delay_alu instid0(VALU_DEP_1)
	v_and_b32_e32 v96, s68, v49
	s_or_b32 exec_lo, exec_lo, s2
                                        ; implicit-def: $vgpr50
	s_and_saveexec_b32 s2, s45
	s_cbranch_execz .LBB38_192
.LBB38_325:
	ds_load_u8 v49, v1 offset:7168
	s_waitcnt lgkmcnt(0)
	v_lshrrev_b32_e32 v49, s60, v49
	s_delay_alu instid0(VALU_DEP_1)
	v_and_b32_e32 v50, s68, v49
	s_or_b32 exec_lo, exec_lo, s2
                                        ; implicit-def: $vgpr49
	s_and_saveexec_b32 s2, s46
	s_cbranch_execnz .LBB38_193
	s_branch .LBB38_194
.LBB38_326:
	v_lshlrev_b32_e32 v5, 3, v115
	ds_load_b64 v[5:6], v5
	ds_load_b64 v[7:8], v53 offset:2048
	s_waitcnt lgkmcnt(1)
	v_lshlrev_b64 v[5:6], 3, v[5:6]
	s_delay_alu instid0(VALU_DEP_1) | instskip(NEXT) | instid1(VALU_DEP_2)
	v_add_co_u32 v5, vcc_lo, s54, v5
	v_add_co_ci_u32_e32 v6, vcc_lo, s55, v6, vcc_lo
	s_delay_alu instid0(VALU_DEP_2) | instskip(NEXT) | instid1(VALU_DEP_2)
	v_add_co_u32 v5, vcc_lo, v5, v53
	v_add_co_ci_u32_e32 v6, vcc_lo, 0, v6, vcc_lo
	s_waitcnt lgkmcnt(0)
	global_store_b64 v[5:6], v[7:8], off
	s_or_b32 exec_lo, exec_lo, s2
	s_and_saveexec_b32 s2, s25
	s_cbranch_execz .LBB38_196
.LBB38_327:
	v_lshlrev_b32_e32 v5, 3, v114
	v_lshlrev_b32_e32 v9, 3, v1
	ds_load_b64 v[5:6], v5
	ds_load_b64 v[7:8], v9 offset:4096
	s_waitcnt lgkmcnt(1)
	v_lshlrev_b64 v[5:6], 3, v[5:6]
	s_delay_alu instid0(VALU_DEP_1) | instskip(NEXT) | instid1(VALU_DEP_2)
	v_add_co_u32 v5, vcc_lo, s54, v5
	v_add_co_ci_u32_e32 v6, vcc_lo, s55, v6, vcc_lo
	s_delay_alu instid0(VALU_DEP_2) | instskip(NEXT) | instid1(VALU_DEP_2)
	v_add_co_u32 v5, vcc_lo, v5, v9
	v_add_co_ci_u32_e32 v6, vcc_lo, 0, v6, vcc_lo
	s_waitcnt lgkmcnt(0)
	global_store_b64 v[5:6], v[7:8], off offset:2048
	s_or_b32 exec_lo, exec_lo, s2
	s_and_saveexec_b32 s2, s26
	s_cbranch_execz .LBB38_197
.LBB38_328:
	v_lshlrev_b32_e32 v5, 3, v113
	v_lshlrev_b32_e32 v7, 3, v1
	;; [unrolled: 1-line block ×3, first 2 shown]
	ds_load_b64 v[5:6], v5
	ds_load_b64 v[7:8], v7 offset:6144
	s_waitcnt lgkmcnt(1)
	v_lshlrev_b64 v[5:6], 3, v[5:6]
	s_delay_alu instid0(VALU_DEP_1) | instskip(NEXT) | instid1(VALU_DEP_2)
	v_add_co_u32 v5, vcc_lo, s54, v5
	v_add_co_ci_u32_e32 v6, vcc_lo, s55, v6, vcc_lo
	s_delay_alu instid0(VALU_DEP_2) | instskip(NEXT) | instid1(VALU_DEP_2)
	v_add_co_u32 v5, vcc_lo, v5, v9
	v_add_co_ci_u32_e32 v6, vcc_lo, 0, v6, vcc_lo
	s_waitcnt lgkmcnt(0)
	global_store_b64 v[5:6], v[7:8], off
	s_or_b32 exec_lo, exec_lo, s2
	s_and_saveexec_b32 s2, s27
	s_cbranch_execz .LBB38_198
.LBB38_329:
	v_lshlrev_b32_e32 v5, 3, v112
	v_lshlrev_b32_e32 v7, 3, v1
	;; [unrolled: 1-line block ×3, first 2 shown]
	ds_load_b64 v[5:6], v5
	ds_load_b64 v[7:8], v7 offset:8192
	s_waitcnt lgkmcnt(1)
	v_lshlrev_b64 v[5:6], 3, v[5:6]
	s_delay_alu instid0(VALU_DEP_1) | instskip(NEXT) | instid1(VALU_DEP_2)
	v_add_co_u32 v5, vcc_lo, s54, v5
	v_add_co_ci_u32_e32 v6, vcc_lo, s55, v6, vcc_lo
	s_delay_alu instid0(VALU_DEP_2) | instskip(NEXT) | instid1(VALU_DEP_2)
	v_add_co_u32 v5, vcc_lo, v5, v9
	v_add_co_ci_u32_e32 v6, vcc_lo, 0, v6, vcc_lo
	s_waitcnt lgkmcnt(0)
	global_store_b64 v[5:6], v[7:8], off
	s_or_b32 exec_lo, exec_lo, s2
	s_and_saveexec_b32 s2, s28
	s_cbranch_execz .LBB38_199
.LBB38_330:
	v_lshlrev_b32_e32 v5, 3, v111
	v_lshlrev_b32_e32 v7, 3, v1
	;; [unrolled: 1-line block ×3, first 2 shown]
	ds_load_b64 v[5:6], v5
	ds_load_b64 v[7:8], v7 offset:10240
	s_waitcnt lgkmcnt(1)
	v_lshlrev_b64 v[5:6], 3, v[5:6]
	s_delay_alu instid0(VALU_DEP_1) | instskip(NEXT) | instid1(VALU_DEP_2)
	v_add_co_u32 v5, vcc_lo, s54, v5
	v_add_co_ci_u32_e32 v6, vcc_lo, s55, v6, vcc_lo
	s_delay_alu instid0(VALU_DEP_2) | instskip(NEXT) | instid1(VALU_DEP_2)
	v_add_co_u32 v5, vcc_lo, v5, v9
	v_add_co_ci_u32_e32 v6, vcc_lo, 0, v6, vcc_lo
	s_waitcnt lgkmcnt(0)
	global_store_b64 v[5:6], v[7:8], off
	s_or_b32 exec_lo, exec_lo, s2
	s_and_saveexec_b32 s2, s29
	s_cbranch_execz .LBB38_200
.LBB38_331:
	v_lshlrev_b32_e32 v5, 3, v110
	v_lshlrev_b32_e32 v7, 3, v1
	;; [unrolled: 1-line block ×3, first 2 shown]
	ds_load_b64 v[5:6], v5
	ds_load_b64 v[7:8], v7 offset:12288
	s_waitcnt lgkmcnt(1)
	v_lshlrev_b64 v[5:6], 3, v[5:6]
	s_delay_alu instid0(VALU_DEP_1) | instskip(NEXT) | instid1(VALU_DEP_2)
	v_add_co_u32 v5, vcc_lo, s54, v5
	v_add_co_ci_u32_e32 v6, vcc_lo, s55, v6, vcc_lo
	s_delay_alu instid0(VALU_DEP_2) | instskip(NEXT) | instid1(VALU_DEP_2)
	v_add_co_u32 v5, vcc_lo, v5, v9
	v_add_co_ci_u32_e32 v6, vcc_lo, 0, v6, vcc_lo
	s_waitcnt lgkmcnt(0)
	global_store_b64 v[5:6], v[7:8], off
	s_or_b32 exec_lo, exec_lo, s2
	s_and_saveexec_b32 s2, s30
	s_cbranch_execz .LBB38_201
.LBB38_332:
	v_lshlrev_b32_e32 v5, 3, v109
	v_lshlrev_b32_e32 v7, 3, v1
	;; [unrolled: 1-line block ×3, first 2 shown]
	ds_load_b64 v[5:6], v5
	ds_load_b64 v[7:8], v7 offset:14336
	s_waitcnt lgkmcnt(1)
	v_lshlrev_b64 v[5:6], 3, v[5:6]
	s_delay_alu instid0(VALU_DEP_1) | instskip(NEXT) | instid1(VALU_DEP_2)
	v_add_co_u32 v5, vcc_lo, s54, v5
	v_add_co_ci_u32_e32 v6, vcc_lo, s55, v6, vcc_lo
	s_delay_alu instid0(VALU_DEP_2) | instskip(NEXT) | instid1(VALU_DEP_2)
	v_add_co_u32 v5, vcc_lo, v5, v9
	v_add_co_ci_u32_e32 v6, vcc_lo, 0, v6, vcc_lo
	s_waitcnt lgkmcnt(0)
	global_store_b64 v[5:6], v[7:8], off
	s_or_b32 exec_lo, exec_lo, s2
	s_and_saveexec_b32 s2, s31
	s_cbranch_execz .LBB38_202
.LBB38_333:
	v_lshlrev_b32_e32 v5, 3, v108
	v_lshlrev_b32_e32 v7, 3, v1
	v_lshlrev_b32_e32 v9, 3, v81
	ds_load_b64 v[5:6], v5
	ds_load_b64 v[7:8], v7 offset:16384
	s_waitcnt lgkmcnt(1)
	v_lshlrev_b64 v[5:6], 3, v[5:6]
	s_delay_alu instid0(VALU_DEP_1) | instskip(NEXT) | instid1(VALU_DEP_2)
	v_add_co_u32 v5, vcc_lo, s54, v5
	v_add_co_ci_u32_e32 v6, vcc_lo, s55, v6, vcc_lo
	s_delay_alu instid0(VALU_DEP_2) | instskip(NEXT) | instid1(VALU_DEP_2)
	v_add_co_u32 v5, vcc_lo, v5, v9
	v_add_co_ci_u32_e32 v6, vcc_lo, 0, v6, vcc_lo
	s_waitcnt lgkmcnt(0)
	global_store_b64 v[5:6], v[7:8], off
	s_or_b32 exec_lo, exec_lo, s2
	s_and_saveexec_b32 s2, s33
	s_cbranch_execz .LBB38_203
.LBB38_334:
	v_lshlrev_b32_e32 v5, 3, v107
	v_lshlrev_b32_e32 v7, 3, v1
	;; [unrolled: 1-line block ×3, first 2 shown]
	ds_load_b64 v[5:6], v5
	ds_load_b64 v[7:8], v7 offset:18432
	s_waitcnt lgkmcnt(1)
	v_lshlrev_b64 v[5:6], 3, v[5:6]
	s_delay_alu instid0(VALU_DEP_1) | instskip(NEXT) | instid1(VALU_DEP_2)
	v_add_co_u32 v5, vcc_lo, s54, v5
	v_add_co_ci_u32_e32 v6, vcc_lo, s55, v6, vcc_lo
	s_delay_alu instid0(VALU_DEP_2) | instskip(NEXT) | instid1(VALU_DEP_2)
	v_add_co_u32 v5, vcc_lo, v5, v9
	v_add_co_ci_u32_e32 v6, vcc_lo, 0, v6, vcc_lo
	s_waitcnt lgkmcnt(0)
	global_store_b64 v[5:6], v[7:8], off
	s_or_b32 exec_lo, exec_lo, s2
	s_and_saveexec_b32 s2, s34
	s_cbranch_execz .LBB38_204
.LBB38_335:
	v_lshlrev_b32_e32 v5, 3, v106
	v_lshlrev_b32_e32 v7, 3, v1
	;; [unrolled: 1-line block ×3, first 2 shown]
	ds_load_b64 v[5:6], v5
	ds_load_b64 v[7:8], v7 offset:20480
	s_waitcnt lgkmcnt(1)
	v_lshlrev_b64 v[5:6], 3, v[5:6]
	s_delay_alu instid0(VALU_DEP_1) | instskip(NEXT) | instid1(VALU_DEP_2)
	v_add_co_u32 v5, vcc_lo, s54, v5
	v_add_co_ci_u32_e32 v6, vcc_lo, s55, v6, vcc_lo
	s_delay_alu instid0(VALU_DEP_2) | instskip(NEXT) | instid1(VALU_DEP_2)
	v_add_co_u32 v5, vcc_lo, v5, v9
	v_add_co_ci_u32_e32 v6, vcc_lo, 0, v6, vcc_lo
	s_waitcnt lgkmcnt(0)
	global_store_b64 v[5:6], v[7:8], off
	s_or_b32 exec_lo, exec_lo, s2
	s_and_saveexec_b32 s2, s35
	s_cbranch_execz .LBB38_205
.LBB38_336:
	v_lshlrev_b32_e32 v5, 3, v105
	v_lshlrev_b32_e32 v7, 3, v1
	;; [unrolled: 1-line block ×3, first 2 shown]
	ds_load_b64 v[5:6], v5
	ds_load_b64 v[7:8], v7 offset:22528
	s_waitcnt lgkmcnt(1)
	v_lshlrev_b64 v[5:6], 3, v[5:6]
	s_delay_alu instid0(VALU_DEP_1) | instskip(NEXT) | instid1(VALU_DEP_2)
	v_add_co_u32 v5, vcc_lo, s54, v5
	v_add_co_ci_u32_e32 v6, vcc_lo, s55, v6, vcc_lo
	s_delay_alu instid0(VALU_DEP_2) | instskip(NEXT) | instid1(VALU_DEP_2)
	v_add_co_u32 v5, vcc_lo, v5, v9
	v_add_co_ci_u32_e32 v6, vcc_lo, 0, v6, vcc_lo
	s_waitcnt lgkmcnt(0)
	global_store_b64 v[5:6], v[7:8], off
	s_or_b32 exec_lo, exec_lo, s2
	s_and_saveexec_b32 s2, s36
	s_cbranch_execz .LBB38_206
.LBB38_337:
	v_lshlrev_b32_e32 v5, 3, v104
	v_lshlrev_b32_e32 v7, 3, v1
	;; [unrolled: 1-line block ×3, first 2 shown]
	ds_load_b64 v[5:6], v5
	ds_load_b64 v[7:8], v7 offset:24576
	s_waitcnt lgkmcnt(1)
	v_lshlrev_b64 v[5:6], 3, v[5:6]
	s_delay_alu instid0(VALU_DEP_1) | instskip(NEXT) | instid1(VALU_DEP_2)
	v_add_co_u32 v5, vcc_lo, s54, v5
	v_add_co_ci_u32_e32 v6, vcc_lo, s55, v6, vcc_lo
	s_delay_alu instid0(VALU_DEP_2) | instskip(NEXT) | instid1(VALU_DEP_2)
	v_add_co_u32 v5, vcc_lo, v5, v9
	v_add_co_ci_u32_e32 v6, vcc_lo, 0, v6, vcc_lo
	s_waitcnt lgkmcnt(0)
	global_store_b64 v[5:6], v[7:8], off
	s_or_b32 exec_lo, exec_lo, s2
	s_and_saveexec_b32 s2, s37
	s_cbranch_execz .LBB38_207
.LBB38_338:
	v_lshlrev_b32_e32 v5, 3, v103
	v_lshlrev_b32_e32 v7, 3, v1
	;; [unrolled: 1-line block ×3, first 2 shown]
	ds_load_b64 v[5:6], v5
	ds_load_b64 v[7:8], v7 offset:26624
	s_waitcnt lgkmcnt(1)
	v_lshlrev_b64 v[5:6], 3, v[5:6]
	s_delay_alu instid0(VALU_DEP_1) | instskip(NEXT) | instid1(VALU_DEP_2)
	v_add_co_u32 v5, vcc_lo, s54, v5
	v_add_co_ci_u32_e32 v6, vcc_lo, s55, v6, vcc_lo
	s_delay_alu instid0(VALU_DEP_2) | instskip(NEXT) | instid1(VALU_DEP_2)
	v_add_co_u32 v5, vcc_lo, v5, v9
	v_add_co_ci_u32_e32 v6, vcc_lo, 0, v6, vcc_lo
	s_waitcnt lgkmcnt(0)
	global_store_b64 v[5:6], v[7:8], off
	s_or_b32 exec_lo, exec_lo, s2
	s_and_saveexec_b32 s2, s38
	s_cbranch_execz .LBB38_208
.LBB38_339:
	v_lshlrev_b32_e32 v5, 3, v102
	v_lshlrev_b32_e32 v7, 3, v1
	;; [unrolled: 1-line block ×3, first 2 shown]
	ds_load_b64 v[5:6], v5
	ds_load_b64 v[7:8], v7 offset:28672
	s_waitcnt lgkmcnt(1)
	v_lshlrev_b64 v[5:6], 3, v[5:6]
	s_delay_alu instid0(VALU_DEP_1) | instskip(NEXT) | instid1(VALU_DEP_2)
	v_add_co_u32 v5, vcc_lo, s54, v5
	v_add_co_ci_u32_e32 v6, vcc_lo, s55, v6, vcc_lo
	s_delay_alu instid0(VALU_DEP_2) | instskip(NEXT) | instid1(VALU_DEP_2)
	v_add_co_u32 v5, vcc_lo, v5, v9
	v_add_co_ci_u32_e32 v6, vcc_lo, 0, v6, vcc_lo
	s_waitcnt lgkmcnt(0)
	global_store_b64 v[5:6], v[7:8], off
	s_or_b32 exec_lo, exec_lo, s2
	s_and_saveexec_b32 s2, s39
	s_cbranch_execz .LBB38_209
.LBB38_340:
	v_lshlrev_b32_e32 v5, 3, v101
	v_lshlrev_b32_e32 v7, 3, v1
	;; [unrolled: 1-line block ×3, first 2 shown]
	ds_load_b64 v[5:6], v5
	ds_load_b64 v[7:8], v7 offset:30720
	s_waitcnt lgkmcnt(1)
	v_lshlrev_b64 v[5:6], 3, v[5:6]
	s_delay_alu instid0(VALU_DEP_1) | instskip(NEXT) | instid1(VALU_DEP_2)
	v_add_co_u32 v5, vcc_lo, s54, v5
	v_add_co_ci_u32_e32 v6, vcc_lo, s55, v6, vcc_lo
	s_delay_alu instid0(VALU_DEP_2) | instskip(NEXT) | instid1(VALU_DEP_2)
	v_add_co_u32 v5, vcc_lo, v5, v9
	v_add_co_ci_u32_e32 v6, vcc_lo, 0, v6, vcc_lo
	s_waitcnt lgkmcnt(0)
	global_store_b64 v[5:6], v[7:8], off
	s_or_b32 exec_lo, exec_lo, s2
	s_and_saveexec_b32 s2, s40
	s_cbranch_execz .LBB38_210
.LBB38_341:
	v_lshlrev_b32_e32 v5, 3, v100
	v_lshlrev_b32_e32 v7, 3, v1
	;; [unrolled: 1-line block ×3, first 2 shown]
	ds_load_b64 v[5:6], v5
	ds_load_b64 v[7:8], v7 offset:32768
	s_waitcnt lgkmcnt(1)
	v_lshlrev_b64 v[5:6], 3, v[5:6]
	s_delay_alu instid0(VALU_DEP_1) | instskip(NEXT) | instid1(VALU_DEP_2)
	v_add_co_u32 v5, vcc_lo, s54, v5
	v_add_co_ci_u32_e32 v6, vcc_lo, s55, v6, vcc_lo
	s_delay_alu instid0(VALU_DEP_2) | instskip(NEXT) | instid1(VALU_DEP_2)
	v_add_co_u32 v5, vcc_lo, v5, v9
	v_add_co_ci_u32_e32 v6, vcc_lo, 0, v6, vcc_lo
	s_waitcnt lgkmcnt(0)
	global_store_b64 v[5:6], v[7:8], off
	s_or_b32 exec_lo, exec_lo, s2
	s_and_saveexec_b32 s2, s41
	s_cbranch_execz .LBB38_211
.LBB38_342:
	v_lshlrev_b32_e32 v5, 3, v99
	v_lshlrev_b32_e32 v7, 3, v1
	;; [unrolled: 1-line block ×3, first 2 shown]
	ds_load_b64 v[5:6], v5
	ds_load_b64 v[7:8], v7 offset:34816
	s_waitcnt lgkmcnt(1)
	v_lshlrev_b64 v[5:6], 3, v[5:6]
	s_delay_alu instid0(VALU_DEP_1) | instskip(NEXT) | instid1(VALU_DEP_2)
	v_add_co_u32 v5, vcc_lo, s54, v5
	v_add_co_ci_u32_e32 v6, vcc_lo, s55, v6, vcc_lo
	s_delay_alu instid0(VALU_DEP_2) | instskip(NEXT) | instid1(VALU_DEP_2)
	v_add_co_u32 v5, vcc_lo, v5, v9
	v_add_co_ci_u32_e32 v6, vcc_lo, 0, v6, vcc_lo
	s_waitcnt lgkmcnt(0)
	global_store_b64 v[5:6], v[7:8], off
	s_or_b32 exec_lo, exec_lo, s2
	s_and_saveexec_b32 s2, s42
	s_cbranch_execz .LBB38_212
.LBB38_343:
	v_lshlrev_b32_e32 v5, 3, v98
	v_lshlrev_b32_e32 v7, 3, v1
	;; [unrolled: 1-line block ×3, first 2 shown]
	ds_load_b64 v[5:6], v5
	ds_load_b64 v[7:8], v7 offset:36864
	s_waitcnt lgkmcnt(1)
	v_lshlrev_b64 v[5:6], 3, v[5:6]
	s_delay_alu instid0(VALU_DEP_1) | instskip(NEXT) | instid1(VALU_DEP_2)
	v_add_co_u32 v5, vcc_lo, s54, v5
	v_add_co_ci_u32_e32 v6, vcc_lo, s55, v6, vcc_lo
	s_delay_alu instid0(VALU_DEP_2) | instskip(NEXT) | instid1(VALU_DEP_2)
	v_add_co_u32 v5, vcc_lo, v5, v9
	v_add_co_ci_u32_e32 v6, vcc_lo, 0, v6, vcc_lo
	s_waitcnt lgkmcnt(0)
	global_store_b64 v[5:6], v[7:8], off
	s_or_b32 exec_lo, exec_lo, s2
	s_and_saveexec_b32 s2, s43
	s_cbranch_execz .LBB38_213
.LBB38_344:
	v_lshlrev_b32_e32 v5, 3, v97
	v_lshlrev_b32_e32 v7, 3, v1
	;; [unrolled: 1-line block ×3, first 2 shown]
	ds_load_b64 v[5:6], v5
	ds_load_b64 v[7:8], v7 offset:38912
	s_waitcnt lgkmcnt(1)
	v_lshlrev_b64 v[5:6], 3, v[5:6]
	s_delay_alu instid0(VALU_DEP_1) | instskip(NEXT) | instid1(VALU_DEP_2)
	v_add_co_u32 v5, vcc_lo, s54, v5
	v_add_co_ci_u32_e32 v6, vcc_lo, s55, v6, vcc_lo
	s_delay_alu instid0(VALU_DEP_2) | instskip(NEXT) | instid1(VALU_DEP_2)
	v_add_co_u32 v5, vcc_lo, v5, v9
	v_add_co_ci_u32_e32 v6, vcc_lo, 0, v6, vcc_lo
	s_waitcnt lgkmcnt(0)
	global_store_b64 v[5:6], v[7:8], off
	s_or_b32 exec_lo, exec_lo, s2
	s_and_saveexec_b32 s2, s44
	s_cbranch_execz .LBB38_214
.LBB38_345:
	v_lshlrev_b32_e32 v5, 3, v96
	v_lshlrev_b32_e32 v7, 3, v1
	v_lshlrev_b32_e32 v9, 3, v93
	ds_load_b64 v[5:6], v5
	ds_load_b64 v[7:8], v7 offset:40960
	s_waitcnt lgkmcnt(1)
	v_lshlrev_b64 v[5:6], 3, v[5:6]
	s_delay_alu instid0(VALU_DEP_1) | instskip(NEXT) | instid1(VALU_DEP_2)
	v_add_co_u32 v5, vcc_lo, s54, v5
	v_add_co_ci_u32_e32 v6, vcc_lo, s55, v6, vcc_lo
	s_delay_alu instid0(VALU_DEP_2) | instskip(NEXT) | instid1(VALU_DEP_2)
	v_add_co_u32 v5, vcc_lo, v5, v9
	v_add_co_ci_u32_e32 v6, vcc_lo, 0, v6, vcc_lo
	s_waitcnt lgkmcnt(0)
	global_store_b64 v[5:6], v[7:8], off
	s_or_b32 exec_lo, exec_lo, s2
	s_and_saveexec_b32 s2, s45
	s_cbranch_execz .LBB38_215
.LBB38_346:
	v_lshlrev_b32_e32 v5, 3, v50
	v_lshlrev_b32_e32 v7, 3, v1
	;; [unrolled: 1-line block ×3, first 2 shown]
	ds_load_b64 v[5:6], v5
	ds_load_b64 v[7:8], v7 offset:43008
	s_waitcnt lgkmcnt(1)
	v_lshlrev_b64 v[5:6], 3, v[5:6]
	s_delay_alu instid0(VALU_DEP_1) | instskip(NEXT) | instid1(VALU_DEP_2)
	v_add_co_u32 v5, vcc_lo, s54, v5
	v_add_co_ci_u32_e32 v6, vcc_lo, s55, v6, vcc_lo
	s_delay_alu instid0(VALU_DEP_2) | instskip(NEXT) | instid1(VALU_DEP_2)
	v_add_co_u32 v5, vcc_lo, v5, v9
	v_add_co_ci_u32_e32 v6, vcc_lo, 0, v6, vcc_lo
	s_waitcnt lgkmcnt(0)
	global_store_b64 v[5:6], v[7:8], off
	s_or_b32 exec_lo, exec_lo, s2
	s_and_saveexec_b32 s2, s46
	s_cbranch_execnz .LBB38_216
	s_branch .LBB38_217
	.section	.rodata,"a",@progbits
	.p2align	6, 0x0
	.amdhsa_kernel _ZN7rocprim17ROCPRIM_304000_NS6detail25onesweep_iteration_kernelINS1_34wrapped_radix_sort_onesweep_configINS0_14default_configEaN2at4cuda3cub6detail10OpaqueTypeILi8EEEEELb1EPKaPaPKSA_PSA_mNS0_19identity_decomposerEEEvT1_T2_T3_T4_jPT5_SO_PNS1_23onesweep_lookback_stateET6_jjj
		.amdhsa_group_segment_fixed_size 47104
		.amdhsa_private_segment_fixed_size 0
		.amdhsa_kernarg_size 336
		.amdhsa_user_sgpr_count 15
		.amdhsa_user_sgpr_dispatch_ptr 0
		.amdhsa_user_sgpr_queue_ptr 0
		.amdhsa_user_sgpr_kernarg_segment_ptr 1
		.amdhsa_user_sgpr_dispatch_id 0
		.amdhsa_user_sgpr_private_segment_size 0
		.amdhsa_wavefront_size32 1
		.amdhsa_uses_dynamic_stack 0
		.amdhsa_enable_private_segment 0
		.amdhsa_system_sgpr_workgroup_id_x 1
		.amdhsa_system_sgpr_workgroup_id_y 0
		.amdhsa_system_sgpr_workgroup_id_z 0
		.amdhsa_system_sgpr_workgroup_info 0
		.amdhsa_system_vgpr_workitem_id 2
		.amdhsa_next_free_vgpr 128
		.amdhsa_next_free_sgpr 72
		.amdhsa_reserve_vcc 1
		.amdhsa_float_round_mode_32 0
		.amdhsa_float_round_mode_16_64 0
		.amdhsa_float_denorm_mode_32 3
		.amdhsa_float_denorm_mode_16_64 3
		.amdhsa_dx10_clamp 1
		.amdhsa_ieee_mode 1
		.amdhsa_fp16_overflow 0
		.amdhsa_workgroup_processor_mode 1
		.amdhsa_memory_ordered 1
		.amdhsa_forward_progress 0
		.amdhsa_shared_vgpr_count 0
		.amdhsa_exception_fp_ieee_invalid_op 0
		.amdhsa_exception_fp_denorm_src 0
		.amdhsa_exception_fp_ieee_div_zero 0
		.amdhsa_exception_fp_ieee_overflow 0
		.amdhsa_exception_fp_ieee_underflow 0
		.amdhsa_exception_fp_ieee_inexact 0
		.amdhsa_exception_int_div_zero 0
	.end_amdhsa_kernel
	.section	.text._ZN7rocprim17ROCPRIM_304000_NS6detail25onesweep_iteration_kernelINS1_34wrapped_radix_sort_onesweep_configINS0_14default_configEaN2at4cuda3cub6detail10OpaqueTypeILi8EEEEELb1EPKaPaPKSA_PSA_mNS0_19identity_decomposerEEEvT1_T2_T3_T4_jPT5_SO_PNS1_23onesweep_lookback_stateET6_jjj,"axG",@progbits,_ZN7rocprim17ROCPRIM_304000_NS6detail25onesweep_iteration_kernelINS1_34wrapped_radix_sort_onesweep_configINS0_14default_configEaN2at4cuda3cub6detail10OpaqueTypeILi8EEEEELb1EPKaPaPKSA_PSA_mNS0_19identity_decomposerEEEvT1_T2_T3_T4_jPT5_SO_PNS1_23onesweep_lookback_stateET6_jjj,comdat
.Lfunc_end38:
	.size	_ZN7rocprim17ROCPRIM_304000_NS6detail25onesweep_iteration_kernelINS1_34wrapped_radix_sort_onesweep_configINS0_14default_configEaN2at4cuda3cub6detail10OpaqueTypeILi8EEEEELb1EPKaPaPKSA_PSA_mNS0_19identity_decomposerEEEvT1_T2_T3_T4_jPT5_SO_PNS1_23onesweep_lookback_stateET6_jjj, .Lfunc_end38-_ZN7rocprim17ROCPRIM_304000_NS6detail25onesweep_iteration_kernelINS1_34wrapped_radix_sort_onesweep_configINS0_14default_configEaN2at4cuda3cub6detail10OpaqueTypeILi8EEEEELb1EPKaPaPKSA_PSA_mNS0_19identity_decomposerEEEvT1_T2_T3_T4_jPT5_SO_PNS1_23onesweep_lookback_stateET6_jjj
                                        ; -- End function
	.section	.AMDGPU.csdata,"",@progbits
; Kernel info:
; codeLenInByte = 32132
; NumSgprs: 74
; NumVgprs: 128
; ScratchSize: 0
; MemoryBound: 0
; FloatMode: 240
; IeeeMode: 1
; LDSByteSize: 47104 bytes/workgroup (compile time only)
; SGPRBlocks: 9
; VGPRBlocks: 15
; NumSGPRsForWavesPerEU: 74
; NumVGPRsForWavesPerEU: 128
; Occupancy: 4
; WaveLimiterHint : 1
; COMPUTE_PGM_RSRC2:SCRATCH_EN: 0
; COMPUTE_PGM_RSRC2:USER_SGPR: 15
; COMPUTE_PGM_RSRC2:TRAP_HANDLER: 0
; COMPUTE_PGM_RSRC2:TGID_X_EN: 1
; COMPUTE_PGM_RSRC2:TGID_Y_EN: 0
; COMPUTE_PGM_RSRC2:TGID_Z_EN: 0
; COMPUTE_PGM_RSRC2:TIDIG_COMP_CNT: 2
	.section	.text._ZN7rocprim17ROCPRIM_304000_NS6detail25onesweep_iteration_kernelINS1_34wrapped_radix_sort_onesweep_configINS0_14default_configEaN2at4cuda3cub6detail10OpaqueTypeILi8EEEEELb1EPaSC_PSA_SD_mNS0_19identity_decomposerEEEvT1_T2_T3_T4_jPT5_SK_PNS1_23onesweep_lookback_stateET6_jjj,"axG",@progbits,_ZN7rocprim17ROCPRIM_304000_NS6detail25onesweep_iteration_kernelINS1_34wrapped_radix_sort_onesweep_configINS0_14default_configEaN2at4cuda3cub6detail10OpaqueTypeILi8EEEEELb1EPaSC_PSA_SD_mNS0_19identity_decomposerEEEvT1_T2_T3_T4_jPT5_SK_PNS1_23onesweep_lookback_stateET6_jjj,comdat
	.protected	_ZN7rocprim17ROCPRIM_304000_NS6detail25onesweep_iteration_kernelINS1_34wrapped_radix_sort_onesweep_configINS0_14default_configEaN2at4cuda3cub6detail10OpaqueTypeILi8EEEEELb1EPaSC_PSA_SD_mNS0_19identity_decomposerEEEvT1_T2_T3_T4_jPT5_SK_PNS1_23onesweep_lookback_stateET6_jjj ; -- Begin function _ZN7rocprim17ROCPRIM_304000_NS6detail25onesweep_iteration_kernelINS1_34wrapped_radix_sort_onesweep_configINS0_14default_configEaN2at4cuda3cub6detail10OpaqueTypeILi8EEEEELb1EPaSC_PSA_SD_mNS0_19identity_decomposerEEEvT1_T2_T3_T4_jPT5_SK_PNS1_23onesweep_lookback_stateET6_jjj
	.globl	_ZN7rocprim17ROCPRIM_304000_NS6detail25onesweep_iteration_kernelINS1_34wrapped_radix_sort_onesweep_configINS0_14default_configEaN2at4cuda3cub6detail10OpaqueTypeILi8EEEEELb1EPaSC_PSA_SD_mNS0_19identity_decomposerEEEvT1_T2_T3_T4_jPT5_SK_PNS1_23onesweep_lookback_stateET6_jjj
	.p2align	8
	.type	_ZN7rocprim17ROCPRIM_304000_NS6detail25onesweep_iteration_kernelINS1_34wrapped_radix_sort_onesweep_configINS0_14default_configEaN2at4cuda3cub6detail10OpaqueTypeILi8EEEEELb1EPaSC_PSA_SD_mNS0_19identity_decomposerEEEvT1_T2_T3_T4_jPT5_SK_PNS1_23onesweep_lookback_stateET6_jjj,@function
_ZN7rocprim17ROCPRIM_304000_NS6detail25onesweep_iteration_kernelINS1_34wrapped_radix_sort_onesweep_configINS0_14default_configEaN2at4cuda3cub6detail10OpaqueTypeILi8EEEEELb1EPaSC_PSA_SD_mNS0_19identity_decomposerEEEvT1_T2_T3_T4_jPT5_SK_PNS1_23onesweep_lookback_stateET6_jjj: ; @_ZN7rocprim17ROCPRIM_304000_NS6detail25onesweep_iteration_kernelINS1_34wrapped_radix_sort_onesweep_configINS0_14default_configEaN2at4cuda3cub6detail10OpaqueTypeILi8EEEEELb1EPaSC_PSA_SD_mNS0_19identity_decomposerEEEvT1_T2_T3_T4_jPT5_SK_PNS1_23onesweep_lookback_stateET6_jjj
; %bb.0:
	s_clause 0x3
	s_load_b128 s[60:63], s[0:1], 0x44
	s_load_b256 s[48:55], s[0:1], 0x0
	s_load_b128 s[56:59], s[0:1], 0x28
	s_load_b64 s[66:67], s[0:1], 0x38
	v_and_b32_e32 v1, 0x3ff, v0
	v_mbcnt_lo_u32_b32 v51, -1, 0
	s_waitcnt lgkmcnt(0)
	s_mov_b32 s63, s15
	s_mul_i32 s64, s15, 0x1600
	s_cmp_ge_u32 s15, s62
	s_cbranch_scc0 .LBB39_218
; %bb.1:
	s_load_b32 s2, s[0:1], 0x20
	v_and_b32_e32 v11, 0xe0, v1
	s_mul_i32 s47, s62, 0xffffea00
	v_dual_mov_b32 v13, 0x80 :: v_dual_mov_b32 v12, 0x80
	s_mov_b32 s65, 0
	s_delay_alu instid0(VALU_DEP_2) | instskip(NEXT) | instid1(VALU_DEP_1)
	v_mul_u32_u24_e32 v10, 22, v11
	v_or_b32_e32 v14, v51, v10
	s_waitcnt lgkmcnt(0)
	s_add_i32 s47, s47, s2
	s_add_u32 s2, s48, s64
	s_addc_u32 s3, s49, 0
	v_add_co_u32 v2, s2, s2, v51
	s_delay_alu instid0(VALU_DEP_1) | instskip(SKIP_1) | instid1(VALU_DEP_3)
	v_add_co_ci_u32_e64 v3, null, s3, 0, s2
	v_cmp_gt_u32_e32 vcc_lo, s47, v14
	v_add_co_u32 v2, s2, v2, v10
	s_delay_alu instid0(VALU_DEP_1)
	v_add_co_ci_u32_e64 v3, s2, 0, v3, s2
	s_and_saveexec_b32 s2, vcc_lo
	s_cbranch_execz .LBB39_3
; %bb.2:
	global_load_u8 v12, v[2:3], off
.LBB39_3:
	s_or_b32 exec_lo, exec_lo, s2
	v_add_nc_u32_e32 v4, 32, v14
	s_delay_alu instid0(VALU_DEP_1) | instskip(NEXT) | instid1(VALU_DEP_1)
	v_cmp_gt_u32_e64 s2, s47, v4
	s_and_saveexec_b32 s3, s2
	s_cbranch_execz .LBB39_5
; %bb.4:
	global_load_u8 v13, v[2:3], off offset:32
.LBB39_5:
	s_or_b32 exec_lo, exec_lo, s3
	v_dual_mov_b32 v21, 0x80 :: v_dual_add_nc_u32 v4, 64, v14
	v_mov_b32_e32 v17, 0x80
	s_delay_alu instid0(VALU_DEP_2) | instskip(NEXT) | instid1(VALU_DEP_1)
	v_cmp_gt_u32_e64 s3, s47, v4
	s_and_saveexec_b32 s4, s3
	s_cbranch_execz .LBB39_7
; %bb.6:
	global_load_u8 v17, v[2:3], off offset:64
.LBB39_7:
	s_or_b32 exec_lo, exec_lo, s4
	v_add_nc_u32_e32 v4, 0x60, v14
	s_delay_alu instid0(VALU_DEP_1) | instskip(NEXT) | instid1(VALU_DEP_1)
	v_cmp_gt_u32_e64 s4, s47, v4
	s_and_saveexec_b32 s5, s4
	s_cbranch_execz .LBB39_9
; %bb.8:
	global_load_u8 v21, v[2:3], off offset:96
.LBB39_9:
	s_or_b32 exec_lo, exec_lo, s5
	v_dual_mov_b32 v29, 0x80 :: v_dual_add_nc_u32 v4, 0x80, v14
	v_mov_b32_e32 v25, 0x80
	s_delay_alu instid0(VALU_DEP_2) | instskip(NEXT) | instid1(VALU_DEP_1)
	v_cmp_gt_u32_e64 s5, s47, v4
	s_and_saveexec_b32 s6, s5
	s_cbranch_execz .LBB39_11
; %bb.10:
	global_load_u8 v25, v[2:3], off offset:128
.LBB39_11:
	s_or_b32 exec_lo, exec_lo, s6
	v_add_nc_u32_e32 v4, 0xa0, v14
	s_delay_alu instid0(VALU_DEP_1) | instskip(NEXT) | instid1(VALU_DEP_1)
	v_cmp_gt_u32_e64 s6, s47, v4
	s_and_saveexec_b32 s7, s6
	s_cbranch_execz .LBB39_13
; %bb.12:
	global_load_u8 v29, v[2:3], off offset:160
.LBB39_13:
	s_or_b32 exec_lo, exec_lo, s7
	v_add_nc_u32_e32 v4, 0xc0, v14
	v_mov_b32_e32 v37, 0x80
	v_mov_b32_e32 v33, 0x80
	s_delay_alu instid0(VALU_DEP_3) | instskip(NEXT) | instid1(VALU_DEP_1)
	v_cmp_gt_u32_e64 s7, s47, v4
	s_and_saveexec_b32 s8, s7
	s_cbranch_execz .LBB39_15
; %bb.14:
	global_load_u8 v33, v[2:3], off offset:192
.LBB39_15:
	s_or_b32 exec_lo, exec_lo, s8
	v_add_nc_u32_e32 v4, 0xe0, v14
	s_delay_alu instid0(VALU_DEP_1) | instskip(NEXT) | instid1(VALU_DEP_1)
	v_cmp_gt_u32_e64 s8, s47, v4
	s_and_saveexec_b32 s9, s8
	s_cbranch_execz .LBB39_17
; %bb.16:
	global_load_u8 v37, v[2:3], off offset:224
.LBB39_17:
	s_or_b32 exec_lo, exec_lo, s9
	v_add_nc_u32_e32 v4, 0x100, v14
	v_dual_mov_b32 v47, 0x80 :: v_dual_mov_b32 v42, 0x80
	s_delay_alu instid0(VALU_DEP_2) | instskip(NEXT) | instid1(VALU_DEP_1)
	v_cmp_gt_u32_e64 s9, s47, v4
	s_and_saveexec_b32 s10, s9
	s_cbranch_execz .LBB39_19
; %bb.18:
	global_load_u8 v42, v[2:3], off offset:256
.LBB39_19:
	s_or_b32 exec_lo, exec_lo, s10
	v_add_nc_u32_e32 v4, 0x120, v14
	s_delay_alu instid0(VALU_DEP_1) | instskip(NEXT) | instid1(VALU_DEP_1)
	v_cmp_gt_u32_e64 s10, s47, v4
	s_and_saveexec_b32 s11, s10
	s_cbranch_execz .LBB39_21
; %bb.20:
	global_load_u8 v47, v[2:3], off offset:288
.LBB39_21:
	s_or_b32 exec_lo, exec_lo, s11
	v_add_nc_u32_e32 v4, 0x140, v14
	v_dual_mov_b32 v58, 0x80 :: v_dual_mov_b32 v53, 0x80
	s_delay_alu instid0(VALU_DEP_2) | instskip(NEXT) | instid1(VALU_DEP_1)
	v_cmp_gt_u32_e64 s11, s47, v4
	s_and_saveexec_b32 s12, s11
	s_cbranch_execz .LBB39_23
; %bb.22:
	global_load_u8 v53, v[2:3], off offset:320
.LBB39_23:
	s_or_b32 exec_lo, exec_lo, s12
	v_add_nc_u32_e32 v4, 0x160, v14
	s_delay_alu instid0(VALU_DEP_1) | instskip(NEXT) | instid1(VALU_DEP_1)
	v_cmp_gt_u32_e64 s12, s47, v4
	s_and_saveexec_b32 s13, s12
	s_cbranch_execz .LBB39_25
; %bb.24:
	global_load_u8 v58, v[2:3], off offset:352
.LBB39_25:
	s_or_b32 exec_lo, exec_lo, s13
	v_add_nc_u32_e32 v4, 0x180, v14
	v_mov_b32_e32 v50, 0x80
	v_mov_b32_e32 v56, 0x80
	s_delay_alu instid0(VALU_DEP_3) | instskip(NEXT) | instid1(VALU_DEP_1)
	v_cmp_gt_u32_e64 s13, s47, v4
	s_and_saveexec_b32 s14, s13
	s_cbranch_execz .LBB39_27
; %bb.26:
	global_load_u8 v56, v[2:3], off offset:384
.LBB39_27:
	s_or_b32 exec_lo, exec_lo, s14
	v_add_nc_u32_e32 v4, 0x1a0, v14
	s_delay_alu instid0(VALU_DEP_1) | instskip(NEXT) | instid1(VALU_DEP_1)
	v_cmp_gt_u32_e64 s14, s47, v4
	s_and_saveexec_b32 s16, s14
	s_cbranch_execz .LBB39_29
; %bb.28:
	global_load_u8 v50, v[2:3], off offset:416
.LBB39_29:
	s_or_b32 exec_lo, exec_lo, s16
	v_add_nc_u32_e32 v4, 0x1c0, v14
	v_dual_mov_b32 v41, 0x80 :: v_dual_mov_b32 v46, 0x80
	s_delay_alu instid0(VALU_DEP_2) | instskip(NEXT) | instid1(VALU_DEP_1)
	v_cmp_gt_u32_e64 s16, s47, v4
	s_and_saveexec_b32 s17, s16
	s_cbranch_execz .LBB39_31
; %bb.30:
	global_load_u8 v46, v[2:3], off offset:448
.LBB39_31:
	s_or_b32 exec_lo, exec_lo, s17
	v_add_nc_u32_e32 v4, 0x1e0, v14
	s_delay_alu instid0(VALU_DEP_1) | instskip(NEXT) | instid1(VALU_DEP_1)
	v_cmp_gt_u32_e64 s18, s47, v4
	s_and_saveexec_b32 s17, s18
	s_cbranch_execz .LBB39_33
; %bb.32:
	global_load_u8 v41, v[2:3], off offset:480
.LBB39_33:
	s_or_b32 exec_lo, exec_lo, s17
	v_add_nc_u32_e32 v4, 0x200, v14
	v_dual_mov_b32 v8, 0x80 :: v_dual_mov_b32 v9, 0x80
	s_delay_alu instid0(VALU_DEP_2) | instskip(NEXT) | instid1(VALU_DEP_1)
	;; [unrolled: 19-line block ×3, first 2 shown]
	v_cmp_gt_u32_e64 s22, s47, v4
	s_and_saveexec_b32 s17, s22
	s_cbranch_execz .LBB39_39
; %bb.38:
	global_load_u8 v7, v[2:3], off offset:576
.LBB39_39:
	s_or_b32 exec_lo, exec_lo, s17
	v_add_nc_u32_e32 v4, 0x260, v14
	s_delay_alu instid0(VALU_DEP_1) | instskip(NEXT) | instid1(VALU_DEP_1)
	v_cmp_gt_u32_e64 s19, s47, v4
	s_and_saveexec_b32 s17, s19
	s_cbranch_execz .LBB39_41
; %bb.40:
	global_load_u8 v6, v[2:3], off offset:608
.LBB39_41:
	s_or_b32 exec_lo, exec_lo, s17
	v_add_nc_u32_e32 v5, 0x280, v14
	v_mov_b32_e32 v4, 0x80
	s_delay_alu instid0(VALU_DEP_2) | instskip(SKIP_1) | instid1(VALU_DEP_2)
	v_cmp_gt_u32_e64 s20, s47, v5
	v_mov_b32_e32 v5, 0x80
	s_and_saveexec_b32 s17, s20
	s_cbranch_execz .LBB39_43
; %bb.42:
	global_load_u8 v5, v[2:3], off offset:640
.LBB39_43:
	s_or_b32 exec_lo, exec_lo, s17
	v_add_nc_u32_e32 v14, 0x2a0, v14
	s_delay_alu instid0(VALU_DEP_1) | instskip(NEXT) | instid1(VALU_DEP_1)
	v_cmp_gt_u32_e64 s17, s47, v14
	s_and_saveexec_b32 s24, s17
	s_cbranch_execz .LBB39_45
; %bb.44:
	global_load_u8 v4, v[2:3], off offset:672
.LBB39_45:
	s_or_b32 exec_lo, exec_lo, s24
	s_clause 0x1
	s_load_b32 s24, s[0:1], 0x5c
	s_load_b32 s62, s[0:1], 0x50
	s_add_u32 s25, s0, 0x50
	s_addc_u32 s26, s1, 0
	v_mov_b32_e32 v16, 0
	s_waitcnt vmcnt(0)
	v_xor_b32_e32 v12, 0x7f, v12
	s_delay_alu instid0(VALU_DEP_1) | instskip(NEXT) | instid1(VALU_DEP_1)
	v_and_b32_e32 v2, 0xff, v12
	v_lshrrev_b32_e32 v2, s60, v2
	s_waitcnt lgkmcnt(0)
	s_lshr_b32 s27, s24, 16
	s_cmp_lt_u32 s15, s62
	s_cselect_b32 s24, 12, 18
	s_delay_alu instid0(SALU_CYCLE_1) | instskip(SKIP_3) | instid1(SALU_CYCLE_1)
	s_add_u32 s24, s25, s24
	s_addc_u32 s25, s26, 0
	global_load_u16 v14, v16, s[24:25]
	s_lshl_b32 s24, -1, s61
	s_not_b32 s68, s24
	s_delay_alu instid0(SALU_CYCLE_1) | instskip(SKIP_1) | instid1(VALU_DEP_2)
	v_and_b32_e32 v18, s68, v2
	v_bfe_u32 v2, v0, 10, 10
	v_and_b32_e32 v3, 1, v18
	v_lshlrev_b32_e32 v15, 30, v18
	v_lshlrev_b32_e32 v19, 29, v18
	v_lshlrev_b32_e32 v20, 28, v18
	v_lshlrev_b32_e32 v23, 27, v18
	v_add_co_u32 v3, s24, v3, -1
	s_delay_alu instid0(VALU_DEP_1)
	v_cndmask_b32_e64 v22, 0, 1, s24
	v_not_b32_e32 v27, v15
	v_cmp_gt_i32_e64 s25, 0, v15
	v_not_b32_e32 v15, v19
	v_lshlrev_b32_e32 v24, 26, v18
	v_cmp_ne_u32_e64 s24, 0, v22
	v_ashrrev_i32_e32 v27, 31, v27
	v_lshlrev_b32_e32 v26, 25, v18
	v_ashrrev_i32_e32 v15, 31, v15
	v_lshlrev_b32_e32 v22, 24, v18
	v_xor_b32_e32 v3, s24, v3
	v_cmp_gt_i32_e64 s24, 0, v19
	v_not_b32_e32 v19, v20
	v_xor_b32_e32 v27, s25, v27
	v_cmp_gt_i32_e64 s25, 0, v20
	v_and_b32_e32 v3, exec_lo, v3
	v_not_b32_e32 v20, v23
	v_ashrrev_i32_e32 v19, 31, v19
	v_xor_b32_e32 v15, s24, v15
	v_cmp_gt_i32_e64 s24, 0, v23
	v_and_b32_e32 v3, v3, v27
	v_not_b32_e32 v23, v24
	v_ashrrev_i32_e32 v20, 31, v20
	v_xor_b32_e32 v19, s25, v19
	v_cmp_gt_i32_e64 s25, 0, v24
	v_and_b32_e32 v3, v3, v15
	;; [unrolled: 5-line block ×4, first 2 shown]
	v_bfe_u32 v20, v0, 20, 10
	v_ashrrev_i32_e32 v19, 31, v19
	v_xor_b32_e32 v15, s24, v15
	v_mul_u32_u24_e32 v22, 9, v1
	v_and_b32_e32 v3, v3, v23
	v_mad_u32_u24 v20, v20, s27, v2
	v_xor_b32_e32 v19, s25, v19
	s_delay_alu instid0(VALU_DEP_3)
	v_and_b32_e32 v23, v3, v15
	v_lshlrev_b32_e32 v15, 2, v22
	ds_store_2addr_b32 v15, v16, v16 offset0:8 offset1:9
	ds_store_2addr_b32 v15, v16, v16 offset0:10 offset1:11
	;; [unrolled: 1-line block ×4, first 2 shown]
	ds_store_b32 v15, v16 offset:64
	v_mul_u32_u24_e32 v16, 9, v18
	s_waitcnt vmcnt(0) lgkmcnt(0)
	s_barrier
	buffer_gl0_inv
	; wave barrier
	v_mad_u64_u32 v[2:3], null, v20, v14, v[1:2]
	v_and_b32_e32 v3, v23, v19
	s_delay_alu instid0(VALU_DEP_1) | instskip(NEXT) | instid1(VALU_DEP_3)
	v_mbcnt_lo_u32_b32 v14, v3, 0
	v_lshrrev_b32_e32 v2, 5, v2
	v_cmp_ne_u32_e64 s25, 0, v3
	s_delay_alu instid0(VALU_DEP_3) | instskip(NEXT) | instid1(VALU_DEP_3)
	v_cmp_eq_u32_e64 s24, 0, v14
	v_add_lshl_u32 v16, v2, v16, 2
	s_delay_alu instid0(VALU_DEP_2) | instskip(NEXT) | instid1(SALU_CYCLE_1)
	s_and_b32 s25, s25, s24
	s_and_saveexec_b32 s24, s25
	s_cbranch_execz .LBB39_47
; %bb.46:
	v_bcnt_u32_b32 v3, v3, 0
	ds_store_b32 v16, v3 offset:32
.LBB39_47:
	s_or_b32 exec_lo, exec_lo, s24
	v_xor_b32_e32 v13, 0x7f, v13
	; wave barrier
	s_delay_alu instid0(VALU_DEP_1) | instskip(NEXT) | instid1(VALU_DEP_1)
	v_and_b32_e32 v3, 0xff, v13
	v_lshrrev_b32_e32 v3, s60, v3
	s_delay_alu instid0(VALU_DEP_1) | instskip(NEXT) | instid1(VALU_DEP_1)
	v_and_b32_e32 v3, s68, v3
	v_and_b32_e32 v18, 1, v3
	v_lshlrev_b32_e32 v19, 30, v3
	v_lshlrev_b32_e32 v20, 29, v3
	;; [unrolled: 1-line block ×4, first 2 shown]
	v_add_co_u32 v18, s24, v18, -1
	s_delay_alu instid0(VALU_DEP_1)
	v_cndmask_b32_e64 v23, 0, 1, s24
	v_not_b32_e32 v28, v19
	v_cmp_gt_i32_e64 s25, 0, v19
	v_not_b32_e32 v19, v20
	v_lshlrev_b32_e32 v26, 26, v3
	v_cmp_ne_u32_e64 s24, 0, v23
	v_ashrrev_i32_e32 v28, 31, v28
	v_lshlrev_b32_e32 v27, 25, v3
	v_ashrrev_i32_e32 v19, 31, v19
	v_lshlrev_b32_e32 v23, 24, v3
	v_xor_b32_e32 v18, s24, v18
	v_cmp_gt_i32_e64 s24, 0, v20
	v_not_b32_e32 v20, v22
	v_xor_b32_e32 v28, s25, v28
	v_cmp_gt_i32_e64 s25, 0, v22
	v_and_b32_e32 v18, exec_lo, v18
	v_not_b32_e32 v22, v24
	v_ashrrev_i32_e32 v20, 31, v20
	v_xor_b32_e32 v19, s24, v19
	v_cmp_gt_i32_e64 s24, 0, v24
	v_and_b32_e32 v18, v18, v28
	v_not_b32_e32 v24, v26
	v_ashrrev_i32_e32 v22, 31, v22
	v_xor_b32_e32 v20, s25, v20
	v_cmp_gt_i32_e64 s25, 0, v26
	v_and_b32_e32 v18, v18, v19
	;; [unrolled: 5-line block ×3, first 2 shown]
	v_not_b32_e32 v20, v23
	v_ashrrev_i32_e32 v19, 31, v19
	v_xor_b32_e32 v24, s25, v24
	v_mul_u32_u24_e32 v3, 9, v3
	v_and_b32_e32 v18, v18, v22
	v_cmp_gt_i32_e64 s25, 0, v23
	v_ashrrev_i32_e32 v22, 31, v20
	v_xor_b32_e32 v19, s24, v19
	v_add_lshl_u32 v20, v2, v3, 2
	v_and_b32_e32 v18, v18, v24
	s_delay_alu instid0(VALU_DEP_4) | instskip(NEXT) | instid1(VALU_DEP_2)
	v_xor_b32_e32 v3, s25, v22
	v_and_b32_e32 v19, v18, v19
	ds_load_b32 v18, v20 offset:32
	; wave barrier
	v_and_b32_e32 v3, v19, v3
	s_delay_alu instid0(VALU_DEP_1) | instskip(SKIP_1) | instid1(VALU_DEP_2)
	v_mbcnt_lo_u32_b32 v19, v3, 0
	v_cmp_ne_u32_e64 s25, 0, v3
	v_cmp_eq_u32_e64 s24, 0, v19
	s_delay_alu instid0(VALU_DEP_1) | instskip(NEXT) | instid1(SALU_CYCLE_1)
	s_and_b32 s25, s25, s24
	s_and_saveexec_b32 s24, s25
	s_cbranch_execz .LBB39_49
; %bb.48:
	s_waitcnt lgkmcnt(0)
	v_bcnt_u32_b32 v3, v3, v18
	ds_store_b32 v20, v3 offset:32
.LBB39_49:
	s_or_b32 exec_lo, exec_lo, s24
	v_xor_b32_e32 v17, 0x7f, v17
	; wave barrier
	s_delay_alu instid0(VALU_DEP_1) | instskip(NEXT) | instid1(VALU_DEP_1)
	v_and_b32_e32 v3, 0xff, v17
	v_lshrrev_b32_e32 v3, s60, v3
	s_delay_alu instid0(VALU_DEP_1) | instskip(NEXT) | instid1(VALU_DEP_1)
	v_and_b32_e32 v3, s68, v3
	v_and_b32_e32 v22, 1, v3
	v_lshlrev_b32_e32 v23, 30, v3
	v_lshlrev_b32_e32 v24, 29, v3
	;; [unrolled: 1-line block ×4, first 2 shown]
	v_add_co_u32 v22, s24, v22, -1
	s_delay_alu instid0(VALU_DEP_1)
	v_cndmask_b32_e64 v27, 0, 1, s24
	v_not_b32_e32 v32, v23
	v_cmp_gt_i32_e64 s25, 0, v23
	v_not_b32_e32 v23, v24
	v_lshlrev_b32_e32 v30, 26, v3
	v_cmp_ne_u32_e64 s24, 0, v27
	v_ashrrev_i32_e32 v32, 31, v32
	v_lshlrev_b32_e32 v31, 25, v3
	v_ashrrev_i32_e32 v23, 31, v23
	v_lshlrev_b32_e32 v27, 24, v3
	v_xor_b32_e32 v22, s24, v22
	v_cmp_gt_i32_e64 s24, 0, v24
	v_not_b32_e32 v24, v26
	v_xor_b32_e32 v32, s25, v32
	v_cmp_gt_i32_e64 s25, 0, v26
	v_and_b32_e32 v22, exec_lo, v22
	v_not_b32_e32 v26, v28
	v_ashrrev_i32_e32 v24, 31, v24
	v_xor_b32_e32 v23, s24, v23
	v_cmp_gt_i32_e64 s24, 0, v28
	v_and_b32_e32 v22, v22, v32
	v_not_b32_e32 v28, v30
	v_ashrrev_i32_e32 v26, 31, v26
	v_xor_b32_e32 v24, s25, v24
	v_cmp_gt_i32_e64 s25, 0, v30
	v_and_b32_e32 v22, v22, v23
	;; [unrolled: 5-line block ×3, first 2 shown]
	v_not_b32_e32 v24, v27
	v_ashrrev_i32_e32 v23, 31, v23
	v_xor_b32_e32 v28, s25, v28
	v_mul_u32_u24_e32 v3, 9, v3
	v_and_b32_e32 v22, v22, v26
	v_cmp_gt_i32_e64 s25, 0, v27
	v_ashrrev_i32_e32 v26, 31, v24
	v_xor_b32_e32 v23, s24, v23
	v_add_lshl_u32 v24, v2, v3, 2
	v_and_b32_e32 v22, v22, v28
	s_delay_alu instid0(VALU_DEP_4) | instskip(NEXT) | instid1(VALU_DEP_2)
	v_xor_b32_e32 v3, s25, v26
	v_and_b32_e32 v23, v22, v23
	ds_load_b32 v22, v24 offset:32
	; wave barrier
	v_and_b32_e32 v3, v23, v3
	s_delay_alu instid0(VALU_DEP_1) | instskip(SKIP_1) | instid1(VALU_DEP_2)
	v_mbcnt_lo_u32_b32 v23, v3, 0
	v_cmp_ne_u32_e64 s25, 0, v3
	v_cmp_eq_u32_e64 s24, 0, v23
	s_delay_alu instid0(VALU_DEP_1) | instskip(NEXT) | instid1(SALU_CYCLE_1)
	s_and_b32 s25, s25, s24
	s_and_saveexec_b32 s24, s25
	s_cbranch_execz .LBB39_51
; %bb.50:
	s_waitcnt lgkmcnt(0)
	v_bcnt_u32_b32 v3, v3, v22
	ds_store_b32 v24, v3 offset:32
.LBB39_51:
	s_or_b32 exec_lo, exec_lo, s24
	v_xor_b32_e32 v21, 0x7f, v21
	; wave barrier
	s_delay_alu instid0(VALU_DEP_1) | instskip(NEXT) | instid1(VALU_DEP_1)
	v_and_b32_e32 v3, 0xff, v21
	v_lshrrev_b32_e32 v3, s60, v3
	s_delay_alu instid0(VALU_DEP_1) | instskip(NEXT) | instid1(VALU_DEP_1)
	v_and_b32_e32 v3, s68, v3
	v_and_b32_e32 v26, 1, v3
	v_lshlrev_b32_e32 v27, 30, v3
	v_lshlrev_b32_e32 v28, 29, v3
	;; [unrolled: 1-line block ×4, first 2 shown]
	v_add_co_u32 v26, s24, v26, -1
	s_delay_alu instid0(VALU_DEP_1)
	v_cndmask_b32_e64 v31, 0, 1, s24
	v_not_b32_e32 v36, v27
	v_cmp_gt_i32_e64 s25, 0, v27
	v_not_b32_e32 v27, v28
	v_lshlrev_b32_e32 v34, 26, v3
	v_cmp_ne_u32_e64 s24, 0, v31
	v_ashrrev_i32_e32 v36, 31, v36
	v_lshlrev_b32_e32 v35, 25, v3
	v_ashrrev_i32_e32 v27, 31, v27
	v_lshlrev_b32_e32 v31, 24, v3
	v_xor_b32_e32 v26, s24, v26
	v_cmp_gt_i32_e64 s24, 0, v28
	v_not_b32_e32 v28, v30
	v_xor_b32_e32 v36, s25, v36
	v_cmp_gt_i32_e64 s25, 0, v30
	v_and_b32_e32 v26, exec_lo, v26
	v_not_b32_e32 v30, v32
	v_ashrrev_i32_e32 v28, 31, v28
	v_xor_b32_e32 v27, s24, v27
	v_cmp_gt_i32_e64 s24, 0, v32
	v_and_b32_e32 v26, v26, v36
	v_not_b32_e32 v32, v34
	v_ashrrev_i32_e32 v30, 31, v30
	v_xor_b32_e32 v28, s25, v28
	v_cmp_gt_i32_e64 s25, 0, v34
	v_and_b32_e32 v26, v26, v27
	;; [unrolled: 5-line block ×3, first 2 shown]
	v_not_b32_e32 v28, v31
	v_ashrrev_i32_e32 v27, 31, v27
	v_xor_b32_e32 v32, s25, v32
	v_mul_u32_u24_e32 v3, 9, v3
	v_and_b32_e32 v26, v26, v30
	v_cmp_gt_i32_e64 s25, 0, v31
	v_ashrrev_i32_e32 v30, 31, v28
	v_xor_b32_e32 v27, s24, v27
	v_add_lshl_u32 v28, v2, v3, 2
	v_and_b32_e32 v26, v26, v32
	s_delay_alu instid0(VALU_DEP_4) | instskip(NEXT) | instid1(VALU_DEP_2)
	v_xor_b32_e32 v3, s25, v30
	v_and_b32_e32 v27, v26, v27
	ds_load_b32 v26, v28 offset:32
	; wave barrier
	v_and_b32_e32 v3, v27, v3
	s_delay_alu instid0(VALU_DEP_1) | instskip(SKIP_1) | instid1(VALU_DEP_2)
	v_mbcnt_lo_u32_b32 v27, v3, 0
	v_cmp_ne_u32_e64 s25, 0, v3
	v_cmp_eq_u32_e64 s24, 0, v27
	s_delay_alu instid0(VALU_DEP_1) | instskip(NEXT) | instid1(SALU_CYCLE_1)
	s_and_b32 s25, s25, s24
	s_and_saveexec_b32 s24, s25
	s_cbranch_execz .LBB39_53
; %bb.52:
	s_waitcnt lgkmcnt(0)
	v_bcnt_u32_b32 v3, v3, v26
	ds_store_b32 v28, v3 offset:32
.LBB39_53:
	s_or_b32 exec_lo, exec_lo, s24
	v_xor_b32_e32 v25, 0x7f, v25
	; wave barrier
	s_delay_alu instid0(VALU_DEP_1) | instskip(NEXT) | instid1(VALU_DEP_1)
	v_and_b32_e32 v3, 0xff, v25
	v_lshrrev_b32_e32 v3, s60, v3
	s_delay_alu instid0(VALU_DEP_1) | instskip(NEXT) | instid1(VALU_DEP_1)
	v_and_b32_e32 v3, s68, v3
	v_and_b32_e32 v30, 1, v3
	v_lshlrev_b32_e32 v31, 30, v3
	v_lshlrev_b32_e32 v32, 29, v3
	;; [unrolled: 1-line block ×4, first 2 shown]
	v_add_co_u32 v30, s24, v30, -1
	s_delay_alu instid0(VALU_DEP_1)
	v_cndmask_b32_e64 v35, 0, 1, s24
	v_not_b32_e32 v40, v31
	v_cmp_gt_i32_e64 s25, 0, v31
	v_not_b32_e32 v31, v32
	v_lshlrev_b32_e32 v38, 26, v3
	v_cmp_ne_u32_e64 s24, 0, v35
	v_ashrrev_i32_e32 v40, 31, v40
	v_lshlrev_b32_e32 v39, 25, v3
	v_ashrrev_i32_e32 v31, 31, v31
	v_lshlrev_b32_e32 v35, 24, v3
	v_xor_b32_e32 v30, s24, v30
	v_cmp_gt_i32_e64 s24, 0, v32
	v_not_b32_e32 v32, v34
	v_xor_b32_e32 v40, s25, v40
	v_cmp_gt_i32_e64 s25, 0, v34
	v_and_b32_e32 v30, exec_lo, v30
	v_not_b32_e32 v34, v36
	v_ashrrev_i32_e32 v32, 31, v32
	v_xor_b32_e32 v31, s24, v31
	v_cmp_gt_i32_e64 s24, 0, v36
	v_and_b32_e32 v30, v30, v40
	v_not_b32_e32 v36, v38
	v_ashrrev_i32_e32 v34, 31, v34
	v_xor_b32_e32 v32, s25, v32
	v_cmp_gt_i32_e64 s25, 0, v38
	v_and_b32_e32 v30, v30, v31
	;; [unrolled: 5-line block ×3, first 2 shown]
	v_not_b32_e32 v32, v35
	v_ashrrev_i32_e32 v31, 31, v31
	v_xor_b32_e32 v36, s25, v36
	v_mul_u32_u24_e32 v3, 9, v3
	v_and_b32_e32 v30, v30, v34
	v_cmp_gt_i32_e64 s25, 0, v35
	v_ashrrev_i32_e32 v34, 31, v32
	v_xor_b32_e32 v31, s24, v31
	v_add_lshl_u32 v32, v2, v3, 2
	v_and_b32_e32 v30, v30, v36
	s_delay_alu instid0(VALU_DEP_4) | instskip(NEXT) | instid1(VALU_DEP_2)
	v_xor_b32_e32 v3, s25, v34
	v_and_b32_e32 v31, v30, v31
	ds_load_b32 v30, v32 offset:32
	; wave barrier
	v_and_b32_e32 v3, v31, v3
	s_delay_alu instid0(VALU_DEP_1) | instskip(SKIP_1) | instid1(VALU_DEP_2)
	v_mbcnt_lo_u32_b32 v31, v3, 0
	v_cmp_ne_u32_e64 s25, 0, v3
	v_cmp_eq_u32_e64 s24, 0, v31
	s_delay_alu instid0(VALU_DEP_1) | instskip(NEXT) | instid1(SALU_CYCLE_1)
	s_and_b32 s25, s25, s24
	s_and_saveexec_b32 s24, s25
	s_cbranch_execz .LBB39_55
; %bb.54:
	s_waitcnt lgkmcnt(0)
	v_bcnt_u32_b32 v3, v3, v30
	ds_store_b32 v32, v3 offset:32
.LBB39_55:
	s_or_b32 exec_lo, exec_lo, s24
	v_xor_b32_e32 v29, 0x7f, v29
	; wave barrier
	s_delay_alu instid0(VALU_DEP_1) | instskip(NEXT) | instid1(VALU_DEP_1)
	v_and_b32_e32 v3, 0xff, v29
	v_lshrrev_b32_e32 v3, s60, v3
	s_delay_alu instid0(VALU_DEP_1) | instskip(NEXT) | instid1(VALU_DEP_1)
	v_and_b32_e32 v3, s68, v3
	v_and_b32_e32 v34, 1, v3
	v_lshlrev_b32_e32 v35, 30, v3
	v_lshlrev_b32_e32 v36, 29, v3
	;; [unrolled: 1-line block ×4, first 2 shown]
	v_add_co_u32 v34, s24, v34, -1
	s_delay_alu instid0(VALU_DEP_1)
	v_cndmask_b32_e64 v39, 0, 1, s24
	v_not_b32_e32 v45, v35
	v_cmp_gt_i32_e64 s25, 0, v35
	v_not_b32_e32 v35, v36
	v_lshlrev_b32_e32 v43, 26, v3
	v_cmp_ne_u32_e64 s24, 0, v39
	v_ashrrev_i32_e32 v45, 31, v45
	v_lshlrev_b32_e32 v44, 25, v3
	v_ashrrev_i32_e32 v35, 31, v35
	v_lshlrev_b32_e32 v39, 24, v3
	v_xor_b32_e32 v34, s24, v34
	v_cmp_gt_i32_e64 s24, 0, v36
	v_not_b32_e32 v36, v38
	v_xor_b32_e32 v45, s25, v45
	v_cmp_gt_i32_e64 s25, 0, v38
	v_and_b32_e32 v34, exec_lo, v34
	v_not_b32_e32 v38, v40
	v_ashrrev_i32_e32 v36, 31, v36
	v_xor_b32_e32 v35, s24, v35
	v_cmp_gt_i32_e64 s24, 0, v40
	v_and_b32_e32 v34, v34, v45
	v_not_b32_e32 v40, v43
	v_ashrrev_i32_e32 v38, 31, v38
	v_xor_b32_e32 v36, s25, v36
	v_cmp_gt_i32_e64 s25, 0, v43
	v_and_b32_e32 v34, v34, v35
	v_not_b32_e32 v35, v44
	v_ashrrev_i32_e32 v40, 31, v40
	v_xor_b32_e32 v38, s24, v38
	v_cmp_gt_i32_e64 s24, 0, v44
	v_and_b32_e32 v34, v34, v36
	v_not_b32_e32 v36, v39
	v_ashrrev_i32_e32 v35, 31, v35
	v_xor_b32_e32 v40, s25, v40
	v_mul_u32_u24_e32 v3, 9, v3
	v_and_b32_e32 v34, v34, v38
	v_cmp_gt_i32_e64 s25, 0, v39
	v_ashrrev_i32_e32 v38, 31, v36
	v_xor_b32_e32 v35, s24, v35
	v_add_lshl_u32 v36, v2, v3, 2
	v_and_b32_e32 v34, v34, v40
	s_delay_alu instid0(VALU_DEP_4) | instskip(NEXT) | instid1(VALU_DEP_2)
	v_xor_b32_e32 v3, s25, v38
	v_and_b32_e32 v35, v34, v35
	ds_load_b32 v34, v36 offset:32
	; wave barrier
	v_and_b32_e32 v3, v35, v3
	s_delay_alu instid0(VALU_DEP_1) | instskip(SKIP_1) | instid1(VALU_DEP_2)
	v_mbcnt_lo_u32_b32 v35, v3, 0
	v_cmp_ne_u32_e64 s25, 0, v3
	v_cmp_eq_u32_e64 s24, 0, v35
	s_delay_alu instid0(VALU_DEP_1) | instskip(NEXT) | instid1(SALU_CYCLE_1)
	s_and_b32 s25, s25, s24
	s_and_saveexec_b32 s24, s25
	s_cbranch_execz .LBB39_57
; %bb.56:
	s_waitcnt lgkmcnt(0)
	v_bcnt_u32_b32 v3, v3, v34
	ds_store_b32 v36, v3 offset:32
.LBB39_57:
	s_or_b32 exec_lo, exec_lo, s24
	v_xor_b32_e32 v33, 0x7f, v33
	; wave barrier
	s_delay_alu instid0(VALU_DEP_1) | instskip(NEXT) | instid1(VALU_DEP_1)
	v_and_b32_e32 v3, 0xff, v33
	v_lshrrev_b32_e32 v3, s60, v3
	s_delay_alu instid0(VALU_DEP_1) | instskip(NEXT) | instid1(VALU_DEP_1)
	v_and_b32_e32 v3, s68, v3
	v_and_b32_e32 v38, 1, v3
	v_lshlrev_b32_e32 v39, 30, v3
	v_lshlrev_b32_e32 v40, 29, v3
	;; [unrolled: 1-line block ×4, first 2 shown]
	v_add_co_u32 v38, s24, v38, -1
	s_delay_alu instid0(VALU_DEP_1)
	v_cndmask_b32_e64 v44, 0, 1, s24
	v_not_b32_e32 v52, v39
	v_cmp_gt_i32_e64 s25, 0, v39
	v_not_b32_e32 v39, v40
	v_lshlrev_b32_e32 v48, 26, v3
	v_cmp_ne_u32_e64 s24, 0, v44
	v_ashrrev_i32_e32 v52, 31, v52
	v_lshlrev_b32_e32 v49, 25, v3
	v_ashrrev_i32_e32 v39, 31, v39
	v_lshlrev_b32_e32 v44, 24, v3
	v_xor_b32_e32 v38, s24, v38
	v_cmp_gt_i32_e64 s24, 0, v40
	v_not_b32_e32 v40, v43
	v_xor_b32_e32 v52, s25, v52
	v_cmp_gt_i32_e64 s25, 0, v43
	v_and_b32_e32 v38, exec_lo, v38
	v_not_b32_e32 v43, v45
	v_ashrrev_i32_e32 v40, 31, v40
	v_xor_b32_e32 v39, s24, v39
	v_cmp_gt_i32_e64 s24, 0, v45
	v_and_b32_e32 v38, v38, v52
	v_not_b32_e32 v45, v48
	v_ashrrev_i32_e32 v43, 31, v43
	v_xor_b32_e32 v40, s25, v40
	v_cmp_gt_i32_e64 s25, 0, v48
	v_and_b32_e32 v38, v38, v39
	;; [unrolled: 5-line block ×3, first 2 shown]
	v_not_b32_e32 v40, v44
	v_ashrrev_i32_e32 v39, 31, v39
	v_xor_b32_e32 v45, s25, v45
	v_mul_u32_u24_e32 v3, 9, v3
	v_and_b32_e32 v38, v38, v43
	v_cmp_gt_i32_e64 s25, 0, v44
	v_ashrrev_i32_e32 v43, 31, v40
	v_xor_b32_e32 v39, s24, v39
	v_add_lshl_u32 v40, v2, v3, 2
	v_and_b32_e32 v38, v38, v45
	s_delay_alu instid0(VALU_DEP_4) | instskip(NEXT) | instid1(VALU_DEP_2)
	v_xor_b32_e32 v3, s25, v43
	v_and_b32_e32 v39, v38, v39
	ds_load_b32 v38, v40 offset:32
	; wave barrier
	v_and_b32_e32 v3, v39, v3
	s_delay_alu instid0(VALU_DEP_1) | instskip(SKIP_1) | instid1(VALU_DEP_2)
	v_mbcnt_lo_u32_b32 v39, v3, 0
	v_cmp_ne_u32_e64 s25, 0, v3
	v_cmp_eq_u32_e64 s24, 0, v39
	s_delay_alu instid0(VALU_DEP_1) | instskip(NEXT) | instid1(SALU_CYCLE_1)
	s_and_b32 s25, s25, s24
	s_and_saveexec_b32 s24, s25
	s_cbranch_execz .LBB39_59
; %bb.58:
	s_waitcnt lgkmcnt(0)
	v_bcnt_u32_b32 v3, v3, v38
	ds_store_b32 v40, v3 offset:32
.LBB39_59:
	s_or_b32 exec_lo, exec_lo, s24
	v_xor_b32_e32 v37, 0x7f, v37
	; wave barrier
	s_delay_alu instid0(VALU_DEP_1) | instskip(NEXT) | instid1(VALU_DEP_1)
	v_and_b32_e32 v3, 0xff, v37
	v_lshrrev_b32_e32 v3, s60, v3
	s_delay_alu instid0(VALU_DEP_1) | instskip(NEXT) | instid1(VALU_DEP_1)
	v_and_b32_e32 v3, s68, v3
	v_and_b32_e32 v43, 1, v3
	v_lshlrev_b32_e32 v44, 30, v3
	v_lshlrev_b32_e32 v45, 29, v3
	;; [unrolled: 1-line block ×4, first 2 shown]
	v_add_co_u32 v43, s24, v43, -1
	s_delay_alu instid0(VALU_DEP_1)
	v_cndmask_b32_e64 v49, 0, 1, s24
	v_not_b32_e32 v57, v44
	v_cmp_gt_i32_e64 s25, 0, v44
	v_not_b32_e32 v44, v45
	v_lshlrev_b32_e32 v54, 26, v3
	v_cmp_ne_u32_e64 s24, 0, v49
	v_ashrrev_i32_e32 v57, 31, v57
	v_lshlrev_b32_e32 v55, 25, v3
	v_ashrrev_i32_e32 v44, 31, v44
	v_lshlrev_b32_e32 v49, 24, v3
	v_xor_b32_e32 v43, s24, v43
	v_cmp_gt_i32_e64 s24, 0, v45
	v_not_b32_e32 v45, v48
	v_xor_b32_e32 v57, s25, v57
	v_cmp_gt_i32_e64 s25, 0, v48
	v_and_b32_e32 v43, exec_lo, v43
	v_not_b32_e32 v48, v52
	v_ashrrev_i32_e32 v45, 31, v45
	v_xor_b32_e32 v44, s24, v44
	v_cmp_gt_i32_e64 s24, 0, v52
	v_and_b32_e32 v43, v43, v57
	v_not_b32_e32 v52, v54
	v_ashrrev_i32_e32 v48, 31, v48
	v_xor_b32_e32 v45, s25, v45
	v_cmp_gt_i32_e64 s25, 0, v54
	v_and_b32_e32 v43, v43, v44
	;; [unrolled: 5-line block ×3, first 2 shown]
	v_not_b32_e32 v45, v49
	v_ashrrev_i32_e32 v44, 31, v44
	v_xor_b32_e32 v52, s25, v52
	v_mul_u32_u24_e32 v3, 9, v3
	v_and_b32_e32 v43, v43, v48
	v_cmp_gt_i32_e64 s25, 0, v49
	v_ashrrev_i32_e32 v48, 31, v45
	v_xor_b32_e32 v44, s24, v44
	v_add_lshl_u32 v45, v2, v3, 2
	v_and_b32_e32 v43, v43, v52
	s_delay_alu instid0(VALU_DEP_4) | instskip(NEXT) | instid1(VALU_DEP_2)
	v_xor_b32_e32 v3, s25, v48
	v_and_b32_e32 v44, v43, v44
	ds_load_b32 v43, v45 offset:32
	; wave barrier
	v_and_b32_e32 v3, v44, v3
	s_delay_alu instid0(VALU_DEP_1) | instskip(SKIP_1) | instid1(VALU_DEP_2)
	v_mbcnt_lo_u32_b32 v44, v3, 0
	v_cmp_ne_u32_e64 s25, 0, v3
	v_cmp_eq_u32_e64 s24, 0, v44
	s_delay_alu instid0(VALU_DEP_1) | instskip(NEXT) | instid1(SALU_CYCLE_1)
	s_and_b32 s25, s25, s24
	s_and_saveexec_b32 s24, s25
	s_cbranch_execz .LBB39_61
; %bb.60:
	s_waitcnt lgkmcnt(0)
	v_bcnt_u32_b32 v3, v3, v43
	ds_store_b32 v45, v3 offset:32
.LBB39_61:
	s_or_b32 exec_lo, exec_lo, s24
	v_xor_b32_e32 v42, 0x7f, v42
	; wave barrier
	s_delay_alu instid0(VALU_DEP_1) | instskip(NEXT) | instid1(VALU_DEP_1)
	v_and_b32_e32 v3, 0xff, v42
	v_lshrrev_b32_e32 v3, s60, v3
	s_delay_alu instid0(VALU_DEP_1) | instskip(NEXT) | instid1(VALU_DEP_1)
	v_and_b32_e32 v3, s68, v3
	v_and_b32_e32 v48, 1, v3
	v_lshlrev_b32_e32 v49, 30, v3
	v_lshlrev_b32_e32 v52, 29, v3
	;; [unrolled: 1-line block ×4, first 2 shown]
	v_add_co_u32 v48, s24, v48, -1
	s_delay_alu instid0(VALU_DEP_1)
	v_cndmask_b32_e64 v55, 0, 1, s24
	v_not_b32_e32 v61, v49
	v_cmp_gt_i32_e64 s25, 0, v49
	v_not_b32_e32 v49, v52
	v_lshlrev_b32_e32 v59, 26, v3
	v_cmp_ne_u32_e64 s24, 0, v55
	v_ashrrev_i32_e32 v61, 31, v61
	v_lshlrev_b32_e32 v60, 25, v3
	v_ashrrev_i32_e32 v49, 31, v49
	v_lshlrev_b32_e32 v55, 24, v3
	v_xor_b32_e32 v48, s24, v48
	v_cmp_gt_i32_e64 s24, 0, v52
	v_not_b32_e32 v52, v54
	v_xor_b32_e32 v61, s25, v61
	v_cmp_gt_i32_e64 s25, 0, v54
	v_and_b32_e32 v48, exec_lo, v48
	v_not_b32_e32 v54, v57
	v_ashrrev_i32_e32 v52, 31, v52
	v_xor_b32_e32 v49, s24, v49
	v_cmp_gt_i32_e64 s24, 0, v57
	v_and_b32_e32 v48, v48, v61
	v_not_b32_e32 v57, v59
	v_ashrrev_i32_e32 v54, 31, v54
	v_xor_b32_e32 v52, s25, v52
	v_cmp_gt_i32_e64 s25, 0, v59
	v_and_b32_e32 v48, v48, v49
	;; [unrolled: 5-line block ×3, first 2 shown]
	v_not_b32_e32 v52, v55
	v_ashrrev_i32_e32 v49, 31, v49
	v_xor_b32_e32 v57, s25, v57
	v_mul_u32_u24_e32 v3, 9, v3
	v_and_b32_e32 v48, v48, v54
	v_cmp_gt_i32_e64 s25, 0, v55
	v_ashrrev_i32_e32 v54, 31, v52
	v_xor_b32_e32 v49, s24, v49
	v_add_lshl_u32 v52, v2, v3, 2
	v_and_b32_e32 v48, v48, v57
	s_delay_alu instid0(VALU_DEP_4) | instskip(NEXT) | instid1(VALU_DEP_2)
	v_xor_b32_e32 v3, s25, v54
	v_and_b32_e32 v49, v48, v49
	ds_load_b32 v48, v52 offset:32
	; wave barrier
	v_and_b32_e32 v3, v49, v3
	s_delay_alu instid0(VALU_DEP_1) | instskip(SKIP_1) | instid1(VALU_DEP_2)
	v_mbcnt_lo_u32_b32 v49, v3, 0
	v_cmp_ne_u32_e64 s25, 0, v3
	v_cmp_eq_u32_e64 s24, 0, v49
	s_delay_alu instid0(VALU_DEP_1) | instskip(NEXT) | instid1(SALU_CYCLE_1)
	s_and_b32 s25, s25, s24
	s_and_saveexec_b32 s24, s25
	s_cbranch_execz .LBB39_63
; %bb.62:
	s_waitcnt lgkmcnt(0)
	v_bcnt_u32_b32 v3, v3, v48
	ds_store_b32 v52, v3 offset:32
.LBB39_63:
	s_or_b32 exec_lo, exec_lo, s24
	v_xor_b32_e32 v47, 0x7f, v47
	; wave barrier
	s_delay_alu instid0(VALU_DEP_1) | instskip(NEXT) | instid1(VALU_DEP_1)
	v_and_b32_e32 v3, 0xff, v47
	v_lshrrev_b32_e32 v3, s60, v3
	s_delay_alu instid0(VALU_DEP_1) | instskip(NEXT) | instid1(VALU_DEP_1)
	v_and_b32_e32 v3, s68, v3
	v_and_b32_e32 v54, 1, v3
	v_lshlrev_b32_e32 v55, 30, v3
	v_lshlrev_b32_e32 v57, 29, v3
	;; [unrolled: 1-line block ×4, first 2 shown]
	v_add_co_u32 v54, s24, v54, -1
	s_delay_alu instid0(VALU_DEP_1)
	v_cndmask_b32_e64 v60, 0, 1, s24
	v_not_b32_e32 v64, v55
	v_cmp_gt_i32_e64 s25, 0, v55
	v_not_b32_e32 v55, v57
	v_lshlrev_b32_e32 v62, 26, v3
	v_cmp_ne_u32_e64 s24, 0, v60
	v_ashrrev_i32_e32 v64, 31, v64
	v_lshlrev_b32_e32 v63, 25, v3
	v_ashrrev_i32_e32 v55, 31, v55
	v_lshlrev_b32_e32 v60, 24, v3
	v_xor_b32_e32 v54, s24, v54
	v_cmp_gt_i32_e64 s24, 0, v57
	v_not_b32_e32 v57, v59
	v_xor_b32_e32 v64, s25, v64
	v_cmp_gt_i32_e64 s25, 0, v59
	v_and_b32_e32 v54, exec_lo, v54
	v_not_b32_e32 v59, v61
	v_ashrrev_i32_e32 v57, 31, v57
	v_xor_b32_e32 v55, s24, v55
	v_cmp_gt_i32_e64 s24, 0, v61
	v_and_b32_e32 v54, v54, v64
	v_not_b32_e32 v61, v62
	v_ashrrev_i32_e32 v59, 31, v59
	v_xor_b32_e32 v57, s25, v57
	v_cmp_gt_i32_e64 s25, 0, v62
	v_and_b32_e32 v54, v54, v55
	;; [unrolled: 5-line block ×3, first 2 shown]
	v_not_b32_e32 v57, v60
	v_ashrrev_i32_e32 v55, 31, v55
	v_xor_b32_e32 v61, s25, v61
	v_mul_u32_u24_e32 v3, 9, v3
	v_and_b32_e32 v54, v54, v59
	v_cmp_gt_i32_e64 s25, 0, v60
	v_ashrrev_i32_e32 v59, 31, v57
	v_xor_b32_e32 v55, s24, v55
	v_add_lshl_u32 v57, v2, v3, 2
	v_and_b32_e32 v54, v54, v61
	s_delay_alu instid0(VALU_DEP_4) | instskip(NEXT) | instid1(VALU_DEP_2)
	v_xor_b32_e32 v3, s25, v59
	v_and_b32_e32 v55, v54, v55
	ds_load_b32 v54, v57 offset:32
	; wave barrier
	v_and_b32_e32 v3, v55, v3
	s_delay_alu instid0(VALU_DEP_1) | instskip(SKIP_1) | instid1(VALU_DEP_2)
	v_mbcnt_lo_u32_b32 v55, v3, 0
	v_cmp_ne_u32_e64 s25, 0, v3
	v_cmp_eq_u32_e64 s24, 0, v55
	s_delay_alu instid0(VALU_DEP_1) | instskip(NEXT) | instid1(SALU_CYCLE_1)
	s_and_b32 s25, s25, s24
	s_and_saveexec_b32 s24, s25
	s_cbranch_execz .LBB39_65
; %bb.64:
	s_waitcnt lgkmcnt(0)
	v_bcnt_u32_b32 v3, v3, v54
	ds_store_b32 v57, v3 offset:32
.LBB39_65:
	s_or_b32 exec_lo, exec_lo, s24
	v_xor_b32_e32 v53, 0x7f, v53
	; wave barrier
	s_delay_alu instid0(VALU_DEP_1) | instskip(NEXT) | instid1(VALU_DEP_1)
	v_and_b32_e32 v3, 0xff, v53
	v_lshrrev_b32_e32 v3, s60, v3
	s_delay_alu instid0(VALU_DEP_1) | instskip(NEXT) | instid1(VALU_DEP_1)
	v_and_b32_e32 v3, s68, v3
	v_and_b32_e32 v59, 1, v3
	v_lshlrev_b32_e32 v60, 30, v3
	v_lshlrev_b32_e32 v61, 29, v3
	;; [unrolled: 1-line block ×4, first 2 shown]
	v_add_co_u32 v59, s24, v59, -1
	s_delay_alu instid0(VALU_DEP_1)
	v_cndmask_b32_e64 v63, 0, 1, s24
	v_not_b32_e32 v67, v60
	v_cmp_gt_i32_e64 s25, 0, v60
	v_not_b32_e32 v60, v61
	v_lshlrev_b32_e32 v65, 26, v3
	v_cmp_ne_u32_e64 s24, 0, v63
	v_ashrrev_i32_e32 v67, 31, v67
	v_lshlrev_b32_e32 v66, 25, v3
	v_ashrrev_i32_e32 v60, 31, v60
	v_lshlrev_b32_e32 v63, 24, v3
	v_xor_b32_e32 v59, s24, v59
	v_cmp_gt_i32_e64 s24, 0, v61
	v_not_b32_e32 v61, v62
	v_xor_b32_e32 v67, s25, v67
	v_cmp_gt_i32_e64 s25, 0, v62
	v_and_b32_e32 v59, exec_lo, v59
	v_not_b32_e32 v62, v64
	v_ashrrev_i32_e32 v61, 31, v61
	v_xor_b32_e32 v60, s24, v60
	v_cmp_gt_i32_e64 s24, 0, v64
	v_and_b32_e32 v59, v59, v67
	v_not_b32_e32 v64, v65
	v_ashrrev_i32_e32 v62, 31, v62
	v_xor_b32_e32 v61, s25, v61
	v_cmp_gt_i32_e64 s25, 0, v65
	v_and_b32_e32 v59, v59, v60
	;; [unrolled: 5-line block ×3, first 2 shown]
	v_not_b32_e32 v61, v63
	v_ashrrev_i32_e32 v60, 31, v60
	v_xor_b32_e32 v64, s25, v64
	v_mul_u32_u24_e32 v3, 9, v3
	v_and_b32_e32 v59, v59, v62
	v_cmp_gt_i32_e64 s25, 0, v63
	v_ashrrev_i32_e32 v62, 31, v61
	v_xor_b32_e32 v60, s24, v60
	v_add_lshl_u32 v61, v2, v3, 2
	v_and_b32_e32 v59, v59, v64
	s_delay_alu instid0(VALU_DEP_4) | instskip(NEXT) | instid1(VALU_DEP_2)
	v_xor_b32_e32 v3, s25, v62
	v_and_b32_e32 v60, v59, v60
	ds_load_b32 v59, v61 offset:32
	; wave barrier
	v_and_b32_e32 v3, v60, v3
	s_delay_alu instid0(VALU_DEP_1) | instskip(SKIP_1) | instid1(VALU_DEP_2)
	v_mbcnt_lo_u32_b32 v60, v3, 0
	v_cmp_ne_u32_e64 s25, 0, v3
	v_cmp_eq_u32_e64 s24, 0, v60
	s_delay_alu instid0(VALU_DEP_1) | instskip(NEXT) | instid1(SALU_CYCLE_1)
	s_and_b32 s25, s25, s24
	s_and_saveexec_b32 s24, s25
	s_cbranch_execz .LBB39_67
; %bb.66:
	s_waitcnt lgkmcnt(0)
	v_bcnt_u32_b32 v3, v3, v59
	ds_store_b32 v61, v3 offset:32
.LBB39_67:
	s_or_b32 exec_lo, exec_lo, s24
	v_xor_b32_e32 v58, 0x7f, v58
	; wave barrier
	s_delay_alu instid0(VALU_DEP_1) | instskip(NEXT) | instid1(VALU_DEP_1)
	v_and_b32_e32 v3, 0xff, v58
	v_lshrrev_b32_e32 v3, s60, v3
	s_delay_alu instid0(VALU_DEP_1) | instskip(NEXT) | instid1(VALU_DEP_1)
	v_and_b32_e32 v3, s68, v3
	v_and_b32_e32 v62, 1, v3
	v_lshlrev_b32_e32 v63, 30, v3
	v_lshlrev_b32_e32 v64, 29, v3
	;; [unrolled: 1-line block ×4, first 2 shown]
	v_add_co_u32 v62, s24, v62, -1
	s_delay_alu instid0(VALU_DEP_1)
	v_cndmask_b32_e64 v66, 0, 1, s24
	v_not_b32_e32 v70, v63
	v_cmp_gt_i32_e64 s25, 0, v63
	v_not_b32_e32 v63, v64
	v_lshlrev_b32_e32 v68, 26, v3
	v_cmp_ne_u32_e64 s24, 0, v66
	v_ashrrev_i32_e32 v70, 31, v70
	v_lshlrev_b32_e32 v69, 25, v3
	v_ashrrev_i32_e32 v63, 31, v63
	v_lshlrev_b32_e32 v66, 24, v3
	v_xor_b32_e32 v62, s24, v62
	v_cmp_gt_i32_e64 s24, 0, v64
	v_not_b32_e32 v64, v65
	v_xor_b32_e32 v70, s25, v70
	v_cmp_gt_i32_e64 s25, 0, v65
	v_and_b32_e32 v62, exec_lo, v62
	v_not_b32_e32 v65, v67
	v_ashrrev_i32_e32 v64, 31, v64
	v_xor_b32_e32 v63, s24, v63
	v_cmp_gt_i32_e64 s24, 0, v67
	v_and_b32_e32 v62, v62, v70
	v_not_b32_e32 v67, v68
	v_ashrrev_i32_e32 v65, 31, v65
	v_xor_b32_e32 v64, s25, v64
	v_cmp_gt_i32_e64 s25, 0, v68
	v_and_b32_e32 v62, v62, v63
	v_not_b32_e32 v63, v69
	v_ashrrev_i32_e32 v67, 31, v67
	v_xor_b32_e32 v65, s24, v65
	v_cmp_gt_i32_e64 s24, 0, v69
	v_and_b32_e32 v62, v62, v64
	v_not_b32_e32 v64, v66
	v_ashrrev_i32_e32 v63, 31, v63
	v_xor_b32_e32 v67, s25, v67
	v_mul_u32_u24_e32 v3, 9, v3
	v_and_b32_e32 v62, v62, v65
	v_cmp_gt_i32_e64 s25, 0, v66
	v_ashrrev_i32_e32 v65, 31, v64
	v_xor_b32_e32 v63, s24, v63
	v_add_lshl_u32 v64, v2, v3, 2
	v_and_b32_e32 v62, v62, v67
	s_delay_alu instid0(VALU_DEP_4) | instskip(NEXT) | instid1(VALU_DEP_2)
	v_xor_b32_e32 v3, s25, v65
	v_and_b32_e32 v63, v62, v63
	ds_load_b32 v62, v64 offset:32
	; wave barrier
	v_and_b32_e32 v3, v63, v3
	s_delay_alu instid0(VALU_DEP_1) | instskip(SKIP_1) | instid1(VALU_DEP_2)
	v_mbcnt_lo_u32_b32 v63, v3, 0
	v_cmp_ne_u32_e64 s25, 0, v3
	v_cmp_eq_u32_e64 s24, 0, v63
	s_delay_alu instid0(VALU_DEP_1) | instskip(NEXT) | instid1(SALU_CYCLE_1)
	s_and_b32 s25, s25, s24
	s_and_saveexec_b32 s24, s25
	s_cbranch_execz .LBB39_69
; %bb.68:
	s_waitcnt lgkmcnt(0)
	v_bcnt_u32_b32 v3, v3, v62
	ds_store_b32 v64, v3 offset:32
.LBB39_69:
	s_or_b32 exec_lo, exec_lo, s24
	v_xor_b32_e32 v56, 0x7f, v56
	; wave barrier
	s_delay_alu instid0(VALU_DEP_1) | instskip(NEXT) | instid1(VALU_DEP_1)
	v_and_b32_e32 v3, 0xff, v56
	v_lshrrev_b32_e32 v3, s60, v3
	s_delay_alu instid0(VALU_DEP_1) | instskip(NEXT) | instid1(VALU_DEP_1)
	v_and_b32_e32 v3, s68, v3
	v_and_b32_e32 v65, 1, v3
	v_lshlrev_b32_e32 v66, 30, v3
	v_lshlrev_b32_e32 v67, 29, v3
	v_lshlrev_b32_e32 v68, 28, v3
	v_lshlrev_b32_e32 v70, 27, v3
	v_add_co_u32 v65, s24, v65, -1
	s_delay_alu instid0(VALU_DEP_1)
	v_cndmask_b32_e64 v69, 0, 1, s24
	v_not_b32_e32 v73, v66
	v_cmp_gt_i32_e64 s25, 0, v66
	v_not_b32_e32 v66, v67
	v_lshlrev_b32_e32 v71, 26, v3
	v_cmp_ne_u32_e64 s24, 0, v69
	v_ashrrev_i32_e32 v73, 31, v73
	v_lshlrev_b32_e32 v72, 25, v3
	v_ashrrev_i32_e32 v66, 31, v66
	v_lshlrev_b32_e32 v69, 24, v3
	v_xor_b32_e32 v65, s24, v65
	v_cmp_gt_i32_e64 s24, 0, v67
	v_not_b32_e32 v67, v68
	v_xor_b32_e32 v73, s25, v73
	v_cmp_gt_i32_e64 s25, 0, v68
	v_and_b32_e32 v65, exec_lo, v65
	v_not_b32_e32 v68, v70
	v_ashrrev_i32_e32 v67, 31, v67
	v_xor_b32_e32 v66, s24, v66
	v_cmp_gt_i32_e64 s24, 0, v70
	v_and_b32_e32 v65, v65, v73
	v_not_b32_e32 v70, v71
	v_ashrrev_i32_e32 v68, 31, v68
	v_xor_b32_e32 v67, s25, v67
	v_cmp_gt_i32_e64 s25, 0, v71
	v_and_b32_e32 v65, v65, v66
	;; [unrolled: 5-line block ×3, first 2 shown]
	v_not_b32_e32 v67, v69
	v_ashrrev_i32_e32 v66, 31, v66
	v_xor_b32_e32 v70, s25, v70
	v_mul_u32_u24_e32 v3, 9, v3
	v_and_b32_e32 v65, v65, v68
	v_cmp_gt_i32_e64 s25, 0, v69
	v_ashrrev_i32_e32 v67, 31, v67
	v_xor_b32_e32 v68, s24, v66
	v_add_lshl_u32 v66, v2, v3, 2
	v_and_b32_e32 v65, v65, v70
	s_delay_alu instid0(VALU_DEP_4) | instskip(NEXT) | instid1(VALU_DEP_2)
	v_xor_b32_e32 v3, s25, v67
	v_and_b32_e32 v67, v65, v68
	ds_load_b32 v65, v66 offset:32
	; wave barrier
	v_and_b32_e32 v3, v67, v3
	s_delay_alu instid0(VALU_DEP_1) | instskip(SKIP_1) | instid1(VALU_DEP_2)
	v_mbcnt_lo_u32_b32 v78, v3, 0
	v_cmp_ne_u32_e64 s25, 0, v3
	v_cmp_eq_u32_e64 s24, 0, v78
	s_delay_alu instid0(VALU_DEP_1) | instskip(NEXT) | instid1(SALU_CYCLE_1)
	s_and_b32 s25, s25, s24
	s_and_saveexec_b32 s24, s25
	s_cbranch_execz .LBB39_71
; %bb.70:
	s_waitcnt lgkmcnt(0)
	v_bcnt_u32_b32 v3, v3, v65
	ds_store_b32 v66, v3 offset:32
.LBB39_71:
	s_or_b32 exec_lo, exec_lo, s24
	v_xor_b32_e32 v50, 0x7f, v50
	; wave barrier
	s_delay_alu instid0(VALU_DEP_1) | instskip(NEXT) | instid1(VALU_DEP_1)
	v_and_b32_e32 v3, 0xff, v50
	v_lshrrev_b32_e32 v3, s60, v3
	s_delay_alu instid0(VALU_DEP_1) | instskip(NEXT) | instid1(VALU_DEP_1)
	v_and_b32_e32 v3, s68, v3
	v_and_b32_e32 v67, 1, v3
	v_lshlrev_b32_e32 v68, 30, v3
	v_lshlrev_b32_e32 v69, 29, v3
	;; [unrolled: 1-line block ×4, first 2 shown]
	v_add_co_u32 v67, s24, v67, -1
	s_delay_alu instid0(VALU_DEP_1)
	v_cndmask_b32_e64 v71, 0, 1, s24
	v_not_b32_e32 v75, v68
	v_cmp_gt_i32_e64 s25, 0, v68
	v_not_b32_e32 v68, v69
	v_lshlrev_b32_e32 v73, 26, v3
	v_cmp_ne_u32_e64 s24, 0, v71
	v_ashrrev_i32_e32 v75, 31, v75
	v_lshlrev_b32_e32 v74, 25, v3
	v_ashrrev_i32_e32 v68, 31, v68
	v_lshlrev_b32_e32 v71, 24, v3
	v_xor_b32_e32 v67, s24, v67
	v_cmp_gt_i32_e64 s24, 0, v69
	v_not_b32_e32 v69, v70
	v_xor_b32_e32 v75, s25, v75
	v_cmp_gt_i32_e64 s25, 0, v70
	v_and_b32_e32 v67, exec_lo, v67
	v_not_b32_e32 v70, v72
	v_ashrrev_i32_e32 v69, 31, v69
	v_xor_b32_e32 v68, s24, v68
	v_cmp_gt_i32_e64 s24, 0, v72
	v_and_b32_e32 v67, v67, v75
	v_not_b32_e32 v72, v73
	v_ashrrev_i32_e32 v70, 31, v70
	v_xor_b32_e32 v69, s25, v69
	v_cmp_gt_i32_e64 s25, 0, v73
	v_and_b32_e32 v67, v67, v68
	;; [unrolled: 5-line block ×3, first 2 shown]
	v_not_b32_e32 v69, v71
	v_ashrrev_i32_e32 v68, 31, v68
	v_xor_b32_e32 v72, s25, v72
	v_mul_u32_u24_e32 v3, 9, v3
	v_and_b32_e32 v67, v67, v70
	v_cmp_gt_i32_e64 s25, 0, v71
	v_ashrrev_i32_e32 v69, 31, v69
	v_xor_b32_e32 v68, s24, v68
	s_delay_alu instid0(VALU_DEP_4) | instskip(SKIP_1) | instid1(VALU_DEP_4)
	v_and_b32_e32 v70, v67, v72
	v_add_lshl_u32 v67, v2, v3, 2
	v_xor_b32_e32 v3, s25, v69
	s_delay_alu instid0(VALU_DEP_3) | instskip(SKIP_2) | instid1(VALU_DEP_1)
	v_and_b32_e32 v68, v70, v68
	ds_load_b32 v79, v67 offset:32
	; wave barrier
	v_and_b32_e32 v3, v68, v3
	v_mbcnt_lo_u32_b32 v80, v3, 0
	v_cmp_ne_u32_e64 s25, 0, v3
	s_delay_alu instid0(VALU_DEP_2) | instskip(NEXT) | instid1(VALU_DEP_1)
	v_cmp_eq_u32_e64 s24, 0, v80
	s_and_b32 s25, s25, s24
	s_delay_alu instid0(SALU_CYCLE_1)
	s_and_saveexec_b32 s24, s25
	s_cbranch_execz .LBB39_73
; %bb.72:
	s_waitcnt lgkmcnt(0)
	v_bcnt_u32_b32 v3, v3, v79
	ds_store_b32 v67, v3 offset:32
.LBB39_73:
	s_or_b32 exec_lo, exec_lo, s24
	v_xor_b32_e32 v46, 0x7f, v46
	; wave barrier
	s_delay_alu instid0(VALU_DEP_1) | instskip(NEXT) | instid1(VALU_DEP_1)
	v_and_b32_e32 v3, 0xff, v46
	v_lshrrev_b32_e32 v3, s60, v3
	s_delay_alu instid0(VALU_DEP_1) | instskip(NEXT) | instid1(VALU_DEP_1)
	v_and_b32_e32 v3, s68, v3
	v_and_b32_e32 v68, 1, v3
	v_lshlrev_b32_e32 v69, 30, v3
	v_lshlrev_b32_e32 v70, 29, v3
	;; [unrolled: 1-line block ×4, first 2 shown]
	v_add_co_u32 v68, s24, v68, -1
	s_delay_alu instid0(VALU_DEP_1)
	v_cndmask_b32_e64 v72, 0, 1, s24
	v_not_b32_e32 v76, v69
	v_cmp_gt_i32_e64 s25, 0, v69
	v_not_b32_e32 v69, v70
	v_lshlrev_b32_e32 v74, 26, v3
	v_cmp_ne_u32_e64 s24, 0, v72
	v_ashrrev_i32_e32 v76, 31, v76
	v_lshlrev_b32_e32 v75, 25, v3
	v_ashrrev_i32_e32 v69, 31, v69
	v_lshlrev_b32_e32 v72, 24, v3
	v_xor_b32_e32 v68, s24, v68
	v_cmp_gt_i32_e64 s24, 0, v70
	v_not_b32_e32 v70, v71
	v_xor_b32_e32 v76, s25, v76
	v_cmp_gt_i32_e64 s25, 0, v71
	v_and_b32_e32 v68, exec_lo, v68
	v_not_b32_e32 v71, v73
	v_ashrrev_i32_e32 v70, 31, v70
	v_xor_b32_e32 v69, s24, v69
	v_cmp_gt_i32_e64 s24, 0, v73
	v_and_b32_e32 v68, v68, v76
	v_not_b32_e32 v73, v74
	v_ashrrev_i32_e32 v71, 31, v71
	v_xor_b32_e32 v70, s25, v70
	v_cmp_gt_i32_e64 s25, 0, v74
	v_and_b32_e32 v68, v68, v69
	;; [unrolled: 5-line block ×3, first 2 shown]
	v_not_b32_e32 v70, v72
	v_ashrrev_i32_e32 v69, 31, v69
	v_xor_b32_e32 v73, s25, v73
	v_mul_u32_u24_e32 v3, 9, v3
	v_and_b32_e32 v68, v68, v71
	v_cmp_gt_i32_e64 s25, 0, v72
	v_ashrrev_i32_e32 v70, 31, v70
	v_xor_b32_e32 v69, s24, v69
	s_delay_alu instid0(VALU_DEP_4) | instskip(SKIP_1) | instid1(VALU_DEP_4)
	v_and_b32_e32 v71, v68, v73
	v_add_lshl_u32 v68, v2, v3, 2
	v_xor_b32_e32 v3, s25, v70
	s_delay_alu instid0(VALU_DEP_3) | instskip(SKIP_2) | instid1(VALU_DEP_1)
	v_and_b32_e32 v69, v71, v69
	ds_load_b32 v81, v68 offset:32
	; wave barrier
	v_and_b32_e32 v3, v69, v3
	v_mbcnt_lo_u32_b32 v82, v3, 0
	v_cmp_ne_u32_e64 s25, 0, v3
	s_delay_alu instid0(VALU_DEP_2) | instskip(NEXT) | instid1(VALU_DEP_1)
	v_cmp_eq_u32_e64 s24, 0, v82
	s_and_b32 s25, s25, s24
	s_delay_alu instid0(SALU_CYCLE_1)
	s_and_saveexec_b32 s24, s25
	s_cbranch_execz .LBB39_75
; %bb.74:
	s_waitcnt lgkmcnt(0)
	v_bcnt_u32_b32 v3, v3, v81
	ds_store_b32 v68, v3 offset:32
.LBB39_75:
	s_or_b32 exec_lo, exec_lo, s24
	v_xor_b32_e32 v41, 0x7f, v41
	; wave barrier
	s_delay_alu instid0(VALU_DEP_1) | instskip(NEXT) | instid1(VALU_DEP_1)
	v_and_b32_e32 v3, 0xff, v41
	v_lshrrev_b32_e32 v3, s60, v3
	s_delay_alu instid0(VALU_DEP_1) | instskip(NEXT) | instid1(VALU_DEP_1)
	v_and_b32_e32 v3, s68, v3
	v_and_b32_e32 v69, 1, v3
	v_lshlrev_b32_e32 v70, 30, v3
	v_lshlrev_b32_e32 v71, 29, v3
	;; [unrolled: 1-line block ×4, first 2 shown]
	v_add_co_u32 v69, s24, v69, -1
	s_delay_alu instid0(VALU_DEP_1)
	v_cndmask_b32_e64 v73, 0, 1, s24
	v_not_b32_e32 v77, v70
	v_cmp_gt_i32_e64 s25, 0, v70
	v_not_b32_e32 v70, v71
	v_lshlrev_b32_e32 v75, 26, v3
	v_cmp_ne_u32_e64 s24, 0, v73
	v_ashrrev_i32_e32 v77, 31, v77
	v_lshlrev_b32_e32 v76, 25, v3
	v_ashrrev_i32_e32 v70, 31, v70
	v_lshlrev_b32_e32 v73, 24, v3
	v_xor_b32_e32 v69, s24, v69
	v_cmp_gt_i32_e64 s24, 0, v71
	v_not_b32_e32 v71, v72
	v_xor_b32_e32 v77, s25, v77
	v_cmp_gt_i32_e64 s25, 0, v72
	v_and_b32_e32 v69, exec_lo, v69
	v_not_b32_e32 v72, v74
	v_ashrrev_i32_e32 v71, 31, v71
	v_xor_b32_e32 v70, s24, v70
	v_cmp_gt_i32_e64 s24, 0, v74
	v_and_b32_e32 v69, v69, v77
	v_not_b32_e32 v74, v75
	v_ashrrev_i32_e32 v72, 31, v72
	v_xor_b32_e32 v71, s25, v71
	v_cmp_gt_i32_e64 s25, 0, v75
	v_and_b32_e32 v69, v69, v70
	;; [unrolled: 5-line block ×3, first 2 shown]
	v_not_b32_e32 v71, v73
	v_ashrrev_i32_e32 v70, 31, v70
	v_xor_b32_e32 v74, s25, v74
	v_mul_u32_u24_e32 v3, 9, v3
	v_and_b32_e32 v69, v69, v72
	v_cmp_gt_i32_e64 s25, 0, v73
	v_ashrrev_i32_e32 v71, 31, v71
	v_xor_b32_e32 v70, s24, v70
	s_delay_alu instid0(VALU_DEP_4) | instskip(SKIP_1) | instid1(VALU_DEP_4)
	v_and_b32_e32 v72, v69, v74
	v_add_lshl_u32 v69, v2, v3, 2
	v_xor_b32_e32 v3, s25, v71
	s_delay_alu instid0(VALU_DEP_3) | instskip(SKIP_2) | instid1(VALU_DEP_1)
	v_and_b32_e32 v70, v72, v70
	ds_load_b32 v84, v69 offset:32
	; wave barrier
	v_and_b32_e32 v3, v70, v3
	v_mbcnt_lo_u32_b32 v85, v3, 0
	v_cmp_ne_u32_e64 s25, 0, v3
	s_delay_alu instid0(VALU_DEP_2) | instskip(NEXT) | instid1(VALU_DEP_1)
	v_cmp_eq_u32_e64 s24, 0, v85
	s_and_b32 s25, s25, s24
	s_delay_alu instid0(SALU_CYCLE_1)
	s_and_saveexec_b32 s24, s25
	s_cbranch_execz .LBB39_77
; %bb.76:
	s_waitcnt lgkmcnt(0)
	v_bcnt_u32_b32 v3, v3, v84
	ds_store_b32 v69, v3 offset:32
.LBB39_77:
	s_or_b32 exec_lo, exec_lo, s24
	v_xor_b32_e32 v83, 0x7f, v9
	; wave barrier
	s_delay_alu instid0(VALU_DEP_1) | instskip(NEXT) | instid1(VALU_DEP_1)
	v_and_b32_e32 v3, 0xff, v83
	v_lshrrev_b32_e32 v3, s60, v3
	s_delay_alu instid0(VALU_DEP_1) | instskip(NEXT) | instid1(VALU_DEP_1)
	v_and_b32_e32 v3, s68, v3
	v_and_b32_e32 v9, 1, v3
	v_lshlrev_b32_e32 v70, 30, v3
	v_lshlrev_b32_e32 v71, 29, v3
	;; [unrolled: 1-line block ×4, first 2 shown]
	v_add_co_u32 v9, s24, v9, -1
	s_delay_alu instid0(VALU_DEP_1)
	v_cndmask_b32_e64 v73, 0, 1, s24
	v_not_b32_e32 v77, v70
	v_cmp_gt_i32_e64 s25, 0, v70
	v_not_b32_e32 v70, v71
	v_lshlrev_b32_e32 v75, 26, v3
	v_cmp_ne_u32_e64 s24, 0, v73
	v_ashrrev_i32_e32 v77, 31, v77
	v_lshlrev_b32_e32 v76, 25, v3
	v_ashrrev_i32_e32 v70, 31, v70
	v_lshlrev_b32_e32 v73, 24, v3
	v_xor_b32_e32 v9, s24, v9
	v_cmp_gt_i32_e64 s24, 0, v71
	v_not_b32_e32 v71, v72
	v_xor_b32_e32 v77, s25, v77
	v_cmp_gt_i32_e64 s25, 0, v72
	v_and_b32_e32 v9, exec_lo, v9
	v_not_b32_e32 v72, v74
	v_ashrrev_i32_e32 v71, 31, v71
	v_xor_b32_e32 v70, s24, v70
	v_cmp_gt_i32_e64 s24, 0, v74
	v_and_b32_e32 v9, v9, v77
	v_not_b32_e32 v74, v75
	v_ashrrev_i32_e32 v72, 31, v72
	v_xor_b32_e32 v71, s25, v71
	v_cmp_gt_i32_e64 s25, 0, v75
	v_and_b32_e32 v9, v9, v70
	;; [unrolled: 5-line block ×3, first 2 shown]
	v_not_b32_e32 v71, v73
	v_ashrrev_i32_e32 v70, 31, v70
	v_xor_b32_e32 v74, s25, v74
	v_mul_u32_u24_e32 v3, 9, v3
	v_and_b32_e32 v9, v9, v72
	v_cmp_gt_i32_e64 s25, 0, v73
	v_ashrrev_i32_e32 v71, 31, v71
	v_xor_b32_e32 v72, s24, v70
	v_add_lshl_u32 v70, v2, v3, 2
	v_and_b32_e32 v9, v9, v74
	s_delay_alu instid0(VALU_DEP_4) | instskip(SKIP_2) | instid1(VALU_DEP_1)
	v_xor_b32_e32 v3, s25, v71
	ds_load_b32 v87, v70 offset:32
	v_and_b32_e32 v9, v9, v72
	; wave barrier
	v_and_b32_e32 v3, v9, v3
	s_delay_alu instid0(VALU_DEP_1) | instskip(SKIP_1) | instid1(VALU_DEP_2)
	v_mbcnt_lo_u32_b32 v88, v3, 0
	v_cmp_ne_u32_e64 s25, 0, v3
	v_cmp_eq_u32_e64 s24, 0, v88
	s_delay_alu instid0(VALU_DEP_1) | instskip(NEXT) | instid1(SALU_CYCLE_1)
	s_and_b32 s25, s25, s24
	s_and_saveexec_b32 s24, s25
	s_cbranch_execz .LBB39_79
; %bb.78:
	s_waitcnt lgkmcnt(0)
	v_bcnt_u32_b32 v3, v3, v87
	ds_store_b32 v70, v3 offset:32
.LBB39_79:
	s_or_b32 exec_lo, exec_lo, s24
	v_xor_b32_e32 v86, 0x7f, v8
	; wave barrier
	s_delay_alu instid0(VALU_DEP_1) | instskip(NEXT) | instid1(VALU_DEP_1)
	v_and_b32_e32 v3, 0xff, v86
	v_lshrrev_b32_e32 v3, s60, v3
	s_delay_alu instid0(VALU_DEP_1) | instskip(NEXT) | instid1(VALU_DEP_1)
	v_and_b32_e32 v3, s68, v3
	v_and_b32_e32 v8, 1, v3
	v_lshlrev_b32_e32 v9, 30, v3
	v_lshlrev_b32_e32 v71, 29, v3
	;; [unrolled: 1-line block ×4, first 2 shown]
	v_add_co_u32 v8, s24, v8, -1
	s_delay_alu instid0(VALU_DEP_1)
	v_cndmask_b32_e64 v73, 0, 1, s24
	v_not_b32_e32 v77, v9
	v_cmp_gt_i32_e64 s25, 0, v9
	v_not_b32_e32 v9, v71
	v_lshlrev_b32_e32 v75, 26, v3
	v_cmp_ne_u32_e64 s24, 0, v73
	v_ashrrev_i32_e32 v77, 31, v77
	v_lshlrev_b32_e32 v76, 25, v3
	v_ashrrev_i32_e32 v9, 31, v9
	v_lshlrev_b32_e32 v73, 24, v3
	v_xor_b32_e32 v8, s24, v8
	v_cmp_gt_i32_e64 s24, 0, v71
	v_not_b32_e32 v71, v72
	v_xor_b32_e32 v77, s25, v77
	v_cmp_gt_i32_e64 s25, 0, v72
	v_and_b32_e32 v8, exec_lo, v8
	v_not_b32_e32 v72, v74
	v_ashrrev_i32_e32 v71, 31, v71
	v_xor_b32_e32 v9, s24, v9
	v_cmp_gt_i32_e64 s24, 0, v74
	v_and_b32_e32 v8, v8, v77
	v_not_b32_e32 v74, v75
	v_ashrrev_i32_e32 v72, 31, v72
	v_xor_b32_e32 v71, s25, v71
	v_cmp_gt_i32_e64 s25, 0, v75
	v_and_b32_e32 v8, v8, v9
	;; [unrolled: 5-line block ×3, first 2 shown]
	v_not_b32_e32 v71, v73
	v_ashrrev_i32_e32 v9, 31, v9
	v_xor_b32_e32 v74, s25, v74
	v_mul_u32_u24_e32 v3, 9, v3
	v_and_b32_e32 v8, v8, v72
	v_cmp_gt_i32_e64 s25, 0, v73
	v_ashrrev_i32_e32 v72, 31, v71
	v_xor_b32_e32 v9, s24, v9
	v_add_lshl_u32 v71, v2, v3, 2
	v_and_b32_e32 v8, v8, v74
	s_delay_alu instid0(VALU_DEP_4) | instskip(SKIP_2) | instid1(VALU_DEP_1)
	v_xor_b32_e32 v3, s25, v72
	ds_load_b32 v90, v71 offset:32
	v_and_b32_e32 v8, v8, v9
	; wave barrier
	v_and_b32_e32 v3, v8, v3
	s_delay_alu instid0(VALU_DEP_1) | instskip(SKIP_1) | instid1(VALU_DEP_2)
	v_mbcnt_lo_u32_b32 v91, v3, 0
	v_cmp_ne_u32_e64 s25, 0, v3
	v_cmp_eq_u32_e64 s24, 0, v91
	s_delay_alu instid0(VALU_DEP_1) | instskip(NEXT) | instid1(SALU_CYCLE_1)
	s_and_b32 s25, s25, s24
	s_and_saveexec_b32 s24, s25
	s_cbranch_execz .LBB39_81
; %bb.80:
	s_waitcnt lgkmcnt(0)
	v_bcnt_u32_b32 v3, v3, v90
	ds_store_b32 v71, v3 offset:32
.LBB39_81:
	s_or_b32 exec_lo, exec_lo, s24
	v_xor_b32_e32 v89, 0x7f, v7
	; wave barrier
	s_delay_alu instid0(VALU_DEP_1) | instskip(NEXT) | instid1(VALU_DEP_1)
	v_and_b32_e32 v3, 0xff, v89
	v_lshrrev_b32_e32 v3, s60, v3
	s_delay_alu instid0(VALU_DEP_1) | instskip(NEXT) | instid1(VALU_DEP_1)
	v_and_b32_e32 v3, s68, v3
	v_and_b32_e32 v7, 1, v3
	v_lshlrev_b32_e32 v8, 30, v3
	v_lshlrev_b32_e32 v9, 29, v3
	;; [unrolled: 1-line block ×4, first 2 shown]
	v_add_co_u32 v7, s24, v7, -1
	s_delay_alu instid0(VALU_DEP_1)
	v_cndmask_b32_e64 v73, 0, 1, s24
	v_not_b32_e32 v77, v8
	v_cmp_gt_i32_e64 s25, 0, v8
	v_not_b32_e32 v8, v9
	v_lshlrev_b32_e32 v75, 26, v3
	v_cmp_ne_u32_e64 s24, 0, v73
	v_ashrrev_i32_e32 v77, 31, v77
	v_lshlrev_b32_e32 v76, 25, v3
	v_ashrrev_i32_e32 v8, 31, v8
	v_lshlrev_b32_e32 v73, 24, v3
	v_xor_b32_e32 v7, s24, v7
	v_cmp_gt_i32_e64 s24, 0, v9
	v_not_b32_e32 v9, v72
	v_xor_b32_e32 v77, s25, v77
	v_cmp_gt_i32_e64 s25, 0, v72
	v_and_b32_e32 v7, exec_lo, v7
	v_not_b32_e32 v72, v74
	v_ashrrev_i32_e32 v9, 31, v9
	v_xor_b32_e32 v8, s24, v8
	v_cmp_gt_i32_e64 s24, 0, v74
	v_and_b32_e32 v7, v7, v77
	v_not_b32_e32 v74, v75
	v_ashrrev_i32_e32 v72, 31, v72
	v_xor_b32_e32 v9, s25, v9
	v_cmp_gt_i32_e64 s25, 0, v75
	v_and_b32_e32 v7, v7, v8
	;; [unrolled: 5-line block ×3, first 2 shown]
	v_not_b32_e32 v9, v73
	v_ashrrev_i32_e32 v8, 31, v8
	v_xor_b32_e32 v74, s25, v74
	v_mul_u32_u24_e32 v3, 9, v3
	v_and_b32_e32 v7, v7, v72
	v_cmp_gt_i32_e64 s25, 0, v73
	v_ashrrev_i32_e32 v9, 31, v9
	v_xor_b32_e32 v8, s24, v8
	v_add_lshl_u32 v72, v2, v3, 2
	v_and_b32_e32 v7, v7, v74
	s_delay_alu instid0(VALU_DEP_4) | instskip(SKIP_2) | instid1(VALU_DEP_1)
	v_xor_b32_e32 v3, s25, v9
	ds_load_b32 v93, v72 offset:32
	v_and_b32_e32 v7, v7, v8
	; wave barrier
	v_and_b32_e32 v3, v7, v3
	s_delay_alu instid0(VALU_DEP_1) | instskip(SKIP_1) | instid1(VALU_DEP_2)
	v_mbcnt_lo_u32_b32 v94, v3, 0
	v_cmp_ne_u32_e64 s25, 0, v3
	v_cmp_eq_u32_e64 s24, 0, v94
	s_delay_alu instid0(VALU_DEP_1) | instskip(NEXT) | instid1(SALU_CYCLE_1)
	s_and_b32 s25, s25, s24
	s_and_saveexec_b32 s24, s25
	s_cbranch_execz .LBB39_83
; %bb.82:
	s_waitcnt lgkmcnt(0)
	v_bcnt_u32_b32 v3, v3, v93
	ds_store_b32 v72, v3 offset:32
.LBB39_83:
	s_or_b32 exec_lo, exec_lo, s24
	v_xor_b32_e32 v92, 0x7f, v6
	; wave barrier
	s_delay_alu instid0(VALU_DEP_1) | instskip(NEXT) | instid1(VALU_DEP_1)
	v_and_b32_e32 v3, 0xff, v92
	v_lshrrev_b32_e32 v3, s60, v3
	s_delay_alu instid0(VALU_DEP_1) | instskip(NEXT) | instid1(VALU_DEP_1)
	v_and_b32_e32 v3, s68, v3
	v_and_b32_e32 v6, 1, v3
	v_lshlrev_b32_e32 v7, 30, v3
	v_lshlrev_b32_e32 v8, 29, v3
	;; [unrolled: 1-line block ×4, first 2 shown]
	v_add_co_u32 v6, s24, v6, -1
	s_delay_alu instid0(VALU_DEP_1)
	v_cndmask_b32_e64 v73, 0, 1, s24
	v_not_b32_e32 v77, v7
	v_cmp_gt_i32_e64 s25, 0, v7
	v_not_b32_e32 v7, v8
	v_lshlrev_b32_e32 v75, 26, v3
	v_cmp_ne_u32_e64 s24, 0, v73
	v_ashrrev_i32_e32 v77, 31, v77
	v_lshlrev_b32_e32 v76, 25, v3
	v_ashrrev_i32_e32 v7, 31, v7
	v_lshlrev_b32_e32 v73, 24, v3
	v_xor_b32_e32 v6, s24, v6
	v_cmp_gt_i32_e64 s24, 0, v8
	v_not_b32_e32 v8, v9
	v_xor_b32_e32 v77, s25, v77
	v_cmp_gt_i32_e64 s25, 0, v9
	v_and_b32_e32 v6, exec_lo, v6
	v_not_b32_e32 v9, v74
	v_ashrrev_i32_e32 v8, 31, v8
	v_xor_b32_e32 v7, s24, v7
	v_cmp_gt_i32_e64 s24, 0, v74
	v_and_b32_e32 v6, v6, v77
	v_not_b32_e32 v74, v75
	v_ashrrev_i32_e32 v9, 31, v9
	v_xor_b32_e32 v8, s25, v8
	v_cmp_gt_i32_e64 s25, 0, v75
	v_and_b32_e32 v6, v6, v7
	;; [unrolled: 5-line block ×3, first 2 shown]
	v_not_b32_e32 v8, v73
	v_ashrrev_i32_e32 v7, 31, v7
	v_xor_b32_e32 v74, s25, v74
	v_mul_u32_u24_e32 v3, 9, v3
	v_and_b32_e32 v6, v6, v9
	v_cmp_gt_i32_e64 s25, 0, v73
	v_ashrrev_i32_e32 v8, 31, v8
	v_xor_b32_e32 v7, s24, v7
	v_add_lshl_u32 v73, v2, v3, 2
	v_and_b32_e32 v6, v6, v74
	s_delay_alu instid0(VALU_DEP_4) | instskip(SKIP_2) | instid1(VALU_DEP_1)
	v_xor_b32_e32 v3, s25, v8
	ds_load_b32 v96, v73 offset:32
	v_and_b32_e32 v6, v6, v7
	; wave barrier
	v_and_b32_e32 v3, v6, v3
	s_delay_alu instid0(VALU_DEP_1) | instskip(SKIP_1) | instid1(VALU_DEP_2)
	v_mbcnt_lo_u32_b32 v97, v3, 0
	v_cmp_ne_u32_e64 s25, 0, v3
	v_cmp_eq_u32_e64 s24, 0, v97
	s_delay_alu instid0(VALU_DEP_1) | instskip(NEXT) | instid1(SALU_CYCLE_1)
	s_and_b32 s25, s25, s24
	s_and_saveexec_b32 s24, s25
	s_cbranch_execz .LBB39_85
; %bb.84:
	s_waitcnt lgkmcnt(0)
	v_bcnt_u32_b32 v3, v3, v96
	ds_store_b32 v73, v3 offset:32
.LBB39_85:
	s_or_b32 exec_lo, exec_lo, s24
	v_xor_b32_e32 v95, 0x7f, v5
	; wave barrier
	s_delay_alu instid0(VALU_DEP_1) | instskip(NEXT) | instid1(VALU_DEP_1)
	v_and_b32_e32 v3, 0xff, v95
	v_lshrrev_b32_e32 v3, s60, v3
	s_delay_alu instid0(VALU_DEP_1) | instskip(NEXT) | instid1(VALU_DEP_1)
	v_and_b32_e32 v3, s68, v3
	v_and_b32_e32 v5, 1, v3
	v_lshlrev_b32_e32 v6, 30, v3
	v_lshlrev_b32_e32 v7, 29, v3
	;; [unrolled: 1-line block ×4, first 2 shown]
	v_add_co_u32 v5, s24, v5, -1
	s_delay_alu instid0(VALU_DEP_1)
	v_cndmask_b32_e64 v9, 0, 1, s24
	v_not_b32_e32 v77, v6
	v_cmp_gt_i32_e64 s25, 0, v6
	v_not_b32_e32 v6, v7
	v_lshlrev_b32_e32 v75, 26, v3
	v_cmp_ne_u32_e64 s24, 0, v9
	v_ashrrev_i32_e32 v77, 31, v77
	v_lshlrev_b32_e32 v76, 25, v3
	v_ashrrev_i32_e32 v6, 31, v6
	v_lshlrev_b32_e32 v9, 24, v3
	v_xor_b32_e32 v5, s24, v5
	v_cmp_gt_i32_e64 s24, 0, v7
	v_not_b32_e32 v7, v8
	v_xor_b32_e32 v77, s25, v77
	v_cmp_gt_i32_e64 s25, 0, v8
	v_and_b32_e32 v5, exec_lo, v5
	v_not_b32_e32 v8, v74
	v_ashrrev_i32_e32 v7, 31, v7
	v_xor_b32_e32 v6, s24, v6
	v_cmp_gt_i32_e64 s24, 0, v74
	v_and_b32_e32 v5, v5, v77
	v_not_b32_e32 v74, v75
	v_ashrrev_i32_e32 v8, 31, v8
	v_xor_b32_e32 v7, s25, v7
	v_cmp_gt_i32_e64 s25, 0, v75
	v_and_b32_e32 v5, v5, v6
	;; [unrolled: 5-line block ×3, first 2 shown]
	v_not_b32_e32 v7, v9
	v_ashrrev_i32_e32 v6, 31, v6
	v_xor_b32_e32 v74, s25, v74
	v_mul_u32_u24_e32 v3, 9, v3
	v_and_b32_e32 v5, v5, v8
	v_cmp_gt_i32_e64 s25, 0, v9
	v_ashrrev_i32_e32 v7, 31, v7
	v_xor_b32_e32 v6, s24, v6
	s_delay_alu instid0(VALU_DEP_4) | instskip(SKIP_1) | instid1(VALU_DEP_4)
	v_and_b32_e32 v5, v5, v74
	v_add_lshl_u32 v74, v2, v3, 2
	v_xor_b32_e32 v3, s25, v7
	s_delay_alu instid0(VALU_DEP_3) | instskip(SKIP_2) | instid1(VALU_DEP_1)
	v_and_b32_e32 v5, v5, v6
	ds_load_b32 v99, v74 offset:32
	; wave barrier
	v_and_b32_e32 v3, v5, v3
	v_mbcnt_lo_u32_b32 v100, v3, 0
	v_cmp_ne_u32_e64 s25, 0, v3
	s_delay_alu instid0(VALU_DEP_2) | instskip(NEXT) | instid1(VALU_DEP_1)
	v_cmp_eq_u32_e64 s24, 0, v100
	s_and_b32 s25, s25, s24
	s_delay_alu instid0(SALU_CYCLE_1)
	s_and_saveexec_b32 s24, s25
	s_cbranch_execz .LBB39_87
; %bb.86:
	s_waitcnt lgkmcnt(0)
	v_bcnt_u32_b32 v3, v3, v99
	ds_store_b32 v74, v3 offset:32
.LBB39_87:
	s_or_b32 exec_lo, exec_lo, s24
	v_xor_b32_e32 v98, 0x7f, v4
	; wave barrier
	s_delay_alu instid0(VALU_DEP_1) | instskip(NEXT) | instid1(VALU_DEP_1)
	v_and_b32_e32 v3, 0xff, v98
	v_lshrrev_b32_e32 v3, s60, v3
	s_delay_alu instid0(VALU_DEP_1) | instskip(NEXT) | instid1(VALU_DEP_1)
	v_and_b32_e32 v3, s68, v3
	v_and_b32_e32 v4, 1, v3
	v_lshlrev_b32_e32 v5, 30, v3
	v_lshlrev_b32_e32 v6, 29, v3
	;; [unrolled: 1-line block ×4, first 2 shown]
	v_add_co_u32 v4, s24, v4, -1
	s_delay_alu instid0(VALU_DEP_1)
	v_cndmask_b32_e64 v8, 0, 1, s24
	v_not_b32_e32 v77, v5
	v_cmp_gt_i32_e64 s25, 0, v5
	v_not_b32_e32 v5, v6
	v_lshlrev_b32_e32 v75, 26, v3
	v_cmp_ne_u32_e64 s24, 0, v8
	v_ashrrev_i32_e32 v77, 31, v77
	v_lshlrev_b32_e32 v76, 25, v3
	v_ashrrev_i32_e32 v5, 31, v5
	v_lshlrev_b32_e32 v8, 24, v3
	v_xor_b32_e32 v4, s24, v4
	v_cmp_gt_i32_e64 s24, 0, v6
	v_not_b32_e32 v6, v7
	v_xor_b32_e32 v77, s25, v77
	v_cmp_gt_i32_e64 s25, 0, v7
	v_and_b32_e32 v4, exec_lo, v4
	v_not_b32_e32 v7, v9
	v_ashrrev_i32_e32 v6, 31, v6
	v_xor_b32_e32 v5, s24, v5
	v_cmp_gt_i32_e64 s24, 0, v9
	v_and_b32_e32 v4, v4, v77
	v_not_b32_e32 v9, v75
	v_ashrrev_i32_e32 v7, 31, v7
	v_xor_b32_e32 v6, s25, v6
	v_cmp_gt_i32_e64 s25, 0, v75
	v_and_b32_e32 v4, v4, v5
	;; [unrolled: 5-line block ×3, first 2 shown]
	v_not_b32_e32 v6, v8
	v_ashrrev_i32_e32 v5, 31, v5
	v_xor_b32_e32 v9, s25, v9
	v_mul_u32_u24_e32 v3, 9, v3
	v_and_b32_e32 v4, v4, v7
	v_cmp_gt_i32_e64 s25, 0, v8
	v_ashrrev_i32_e32 v6, 31, v6
	v_xor_b32_e32 v5, s24, v5
	v_add_lshl_u32 v75, v2, v3, 2
	v_and_b32_e32 v4, v4, v9
	v_add_nc_u32_e32 v76, 32, v15
	v_xor_b32_e32 v2, s25, v6
	ds_load_b32 v101, v75 offset:32
	v_and_b32_e32 v3, v4, v5
	; wave barrier
	s_delay_alu instid0(VALU_DEP_1) | instskip(NEXT) | instid1(VALU_DEP_1)
	v_and_b32_e32 v2, v3, v2
	v_mbcnt_lo_u32_b32 v102, v2, 0
	v_cmp_ne_u32_e64 s25, 0, v2
	s_delay_alu instid0(VALU_DEP_2) | instskip(NEXT) | instid1(VALU_DEP_1)
	v_cmp_eq_u32_e64 s24, 0, v102
	s_and_b32 s25, s25, s24
	s_delay_alu instid0(SALU_CYCLE_1)
	s_and_saveexec_b32 s24, s25
	s_cbranch_execz .LBB39_89
; %bb.88:
	s_waitcnt lgkmcnt(0)
	v_bcnt_u32_b32 v2, v2, v101
	ds_store_b32 v75, v2 offset:32
.LBB39_89:
	s_or_b32 exec_lo, exec_lo, s24
	; wave barrier
	s_waitcnt lgkmcnt(0)
	s_barrier
	buffer_gl0_inv
	ds_load_2addr_b32 v[8:9], v15 offset0:8 offset1:9
	ds_load_2addr_b32 v[6:7], v76 offset0:2 offset1:3
	;; [unrolled: 1-line block ×4, first 2 shown]
	ds_load_b32 v77, v76 offset:32
	v_min_u32_e32 v11, 0xe0, v11
	s_mov_b32 s25, exec_lo
	s_delay_alu instid0(VALU_DEP_1) | instskip(SKIP_3) | instid1(VALU_DEP_1)
	v_or_b32_e32 v105, 31, v11
	s_waitcnt lgkmcnt(3)
	v_add3_u32 v103, v9, v8, v6
	s_waitcnt lgkmcnt(2)
	v_add3_u32 v103, v103, v7, v4
	s_waitcnt lgkmcnt(1)
	s_delay_alu instid0(VALU_DEP_1) | instskip(SKIP_1) | instid1(VALU_DEP_1)
	v_add3_u32 v103, v103, v5, v2
	s_waitcnt lgkmcnt(0)
	v_add3_u32 v77, v103, v3, v77
	v_and_b32_e32 v103, 15, v51
	s_delay_alu instid0(VALU_DEP_2) | instskip(NEXT) | instid1(VALU_DEP_2)
	v_mov_b32_dpp v104, v77 row_shr:1 row_mask:0xf bank_mask:0xf
	v_cmp_ne_u32_e64 s24, 0, v103
	s_delay_alu instid0(VALU_DEP_1) | instskip(SKIP_1) | instid1(VALU_DEP_2)
	v_cndmask_b32_e64 v104, 0, v104, s24
	v_cmp_lt_u32_e64 s24, 1, v103
	v_add_nc_u32_e32 v77, v104, v77
	s_delay_alu instid0(VALU_DEP_1) | instskip(NEXT) | instid1(VALU_DEP_1)
	v_mov_b32_dpp v104, v77 row_shr:2 row_mask:0xf bank_mask:0xf
	v_cndmask_b32_e64 v104, 0, v104, s24
	v_cmp_lt_u32_e64 s24, 3, v103
	s_delay_alu instid0(VALU_DEP_2) | instskip(NEXT) | instid1(VALU_DEP_1)
	v_add_nc_u32_e32 v77, v77, v104
	v_mov_b32_dpp v104, v77 row_shr:4 row_mask:0xf bank_mask:0xf
	s_delay_alu instid0(VALU_DEP_1) | instskip(SKIP_1) | instid1(VALU_DEP_2)
	v_cndmask_b32_e64 v104, 0, v104, s24
	v_cmp_lt_u32_e64 s24, 7, v103
	v_add_nc_u32_e32 v77, v77, v104
	s_delay_alu instid0(VALU_DEP_1) | instskip(NEXT) | instid1(VALU_DEP_1)
	v_mov_b32_dpp v104, v77 row_shr:8 row_mask:0xf bank_mask:0xf
	v_cndmask_b32_e64 v103, 0, v104, s24
	v_bfe_i32 v104, v51, 4, 1
	s_delay_alu instid0(VALU_DEP_2) | instskip(SKIP_4) | instid1(VALU_DEP_2)
	v_add_nc_u32_e32 v103, v77, v103
	ds_swizzle_b32 v77, v103 offset:swizzle(BROADCAST,32,15)
	s_waitcnt lgkmcnt(0)
	v_and_b32_e32 v104, v104, v77
	v_lshrrev_b32_e32 v77, 5, v1
	v_add_nc_u32_e32 v11, v103, v104
	v_cmpx_eq_u32_e64 v105, v1
	s_cbranch_execz .LBB39_91
; %bb.90:
	s_delay_alu instid0(VALU_DEP_3)
	v_lshlrev_b32_e32 v103, 2, v77
	ds_store_b32 v103, v11
.LBB39_91:
	s_or_b32 exec_lo, exec_lo, s25
	s_delay_alu instid0(SALU_CYCLE_1)
	s_mov_b32 s25, exec_lo
	s_waitcnt lgkmcnt(0)
	s_barrier
	buffer_gl0_inv
	v_cmpx_gt_u32_e32 8, v1
	s_cbranch_execz .LBB39_93
; %bb.92:
	v_lshlrev_b32_e32 v103, 2, v1
	v_and_b32_e32 v105, 7, v51
	ds_load_b32 v104, v103
	v_cmp_ne_u32_e64 s24, 0, v105
	s_waitcnt lgkmcnt(0)
	v_mov_b32_dpp v106, v104 row_shr:1 row_mask:0xf bank_mask:0xf
	s_delay_alu instid0(VALU_DEP_1) | instskip(SKIP_1) | instid1(VALU_DEP_2)
	v_cndmask_b32_e64 v106, 0, v106, s24
	v_cmp_lt_u32_e64 s24, 1, v105
	v_add_nc_u32_e32 v104, v106, v104
	s_delay_alu instid0(VALU_DEP_1) | instskip(NEXT) | instid1(VALU_DEP_1)
	v_mov_b32_dpp v106, v104 row_shr:2 row_mask:0xf bank_mask:0xf
	v_cndmask_b32_e64 v106, 0, v106, s24
	v_cmp_lt_u32_e64 s24, 3, v105
	s_delay_alu instid0(VALU_DEP_2) | instskip(NEXT) | instid1(VALU_DEP_1)
	v_add_nc_u32_e32 v104, v104, v106
	v_mov_b32_dpp v106, v104 row_shr:4 row_mask:0xf bank_mask:0xf
	s_delay_alu instid0(VALU_DEP_1) | instskip(NEXT) | instid1(VALU_DEP_1)
	v_cndmask_b32_e64 v105, 0, v106, s24
	v_add_nc_u32_e32 v104, v104, v105
	ds_store_b32 v103, v104
.LBB39_93:
	s_or_b32 exec_lo, exec_lo, s25
	v_mov_b32_e32 v103, 0
	s_mov_b32 s25, exec_lo
	s_waitcnt lgkmcnt(0)
	s_barrier
	buffer_gl0_inv
	v_cmpx_lt_u32_e32 31, v1
	s_cbranch_execz .LBB39_95
; %bb.94:
	v_lshl_add_u32 v77, v77, 2, -4
	ds_load_b32 v103, v77
.LBB39_95:
	s_or_b32 exec_lo, exec_lo, s25
	v_add_nc_u32_e32 v77, -1, v51
	s_waitcnt lgkmcnt(0)
	v_add_nc_u32_e32 v11, v103, v11
	s_mov_b32 s25, 0
	s_mov_b32 s26, exec_lo
	v_cmp_gt_i32_e64 s24, 0, v77
	s_delay_alu instid0(VALU_DEP_1) | instskip(SKIP_1) | instid1(VALU_DEP_2)
	v_cndmask_b32_e64 v77, v77, v51, s24
	v_cmp_eq_u32_e64 s24, 0, v51
	v_lshlrev_b32_e32 v77, 2, v77
	ds_bpermute_b32 v11, v77, v11
	s_waitcnt lgkmcnt(0)
	v_cndmask_b32_e64 v11, v11, v103, s24
	v_cmp_ne_u32_e64 s24, 0, v1
	s_delay_alu instid0(VALU_DEP_1) | instskip(NEXT) | instid1(VALU_DEP_1)
	v_cndmask_b32_e64 v11, 0, v11, s24
	v_add_nc_u32_e32 v8, v11, v8
	s_delay_alu instid0(VALU_DEP_1) | instskip(NEXT) | instid1(VALU_DEP_1)
	v_add_nc_u32_e32 v9, v8, v9
	v_add_nc_u32_e32 v6, v9, v6
	s_delay_alu instid0(VALU_DEP_1) | instskip(NEXT) | instid1(VALU_DEP_1)
	v_add_nc_u32_e32 v7, v6, v7
	;; [unrolled: 3-line block ×3, first 2 shown]
	v_add_nc_u32_e32 v2, v5, v2
	s_delay_alu instid0(VALU_DEP_1)
	v_add_nc_u32_e32 v3, v2, v3
	ds_store_2addr_b32 v15, v11, v8 offset0:8 offset1:9
	ds_store_2addr_b32 v76, v9, v6 offset0:2 offset1:3
	;; [unrolled: 1-line block ×4, first 2 shown]
	ds_store_b32 v76, v3 offset:32
	v_mov_b32_e32 v2, 0x1600
	s_waitcnt lgkmcnt(0)
	s_barrier
	buffer_gl0_inv
	ds_load_b32 v4, v20 offset:32
	ds_load_b32 v5, v24 offset:32
	;; [unrolled: 1-line block ×23, first 2 shown]
	v_add_nc_u32_e32 v15, 1, v1
	s_delay_alu instid0(VALU_DEP_1)
	v_cmpx_ne_u32_e32 0x100, v15
	s_cbranch_execz .LBB39_97
; %bb.96:
	v_mul_u32_u24_e32 v2, 9, v15
	s_delay_alu instid0(VALU_DEP_1)
	v_lshlrev_b32_e32 v2, 2, v2
	ds_load_b32 v2, v2 offset:32
.LBB39_97:
	s_or_b32 exec_lo, exec_lo, s26
	s_waitcnt lgkmcnt(22)
	v_add3_u32 v76, v19, v18, v4
	s_waitcnt lgkmcnt(21)
	v_add3_u32 v75, v23, v22, v5
	v_lshl_add_u32 v4, s15, 8, v1
	v_mov_b32_e32 v5, 0
	s_waitcnt lgkmcnt(20)
	v_add3_u32 v74, v27, v26, v6
	s_waitcnt lgkmcnt(19)
	v_add3_u32 v73, v31, v30, v7
	;; [unrolled: 2-line block ×4, first 2 shown]
	v_lshlrev_b64 v[6:7], 2, v[4:5]
	s_waitcnt lgkmcnt(0)
	v_sub_nc_u32_e32 v52, v2, v3
	v_dual_mov_b32 v2, 0 :: v_dual_add_nc_u32 v77, v16, v14
	v_add3_u32 v72, v35, v34, v8
	v_add3_u32 v71, v39, v38, v9
	v_add_co_u32 v6, s24, s66, v6
	v_add3_u32 v70, v44, v43, v11
	v_add3_u32 v69, v49, v48, v20
	;; [unrolled: 1-line block ×13, first 2 shown]
	v_add_co_ci_u32_e64 v7, s24, s67, v7, s24
	v_or_b32_e32 v4, 2.0, v52
	s_mov_b32 s26, s63
	s_barrier
	buffer_gl0_inv
	ds_store_b8 v77, v12 offset:2048
	ds_store_b8 v76, v13 offset:2048
	;; [unrolled: 1-line block ×22, first 2 shown]
	s_waitcnt lgkmcnt(0)
	s_barrier
	buffer_gl0_inv
	global_store_b32 v[6:7], v4, off
                                        ; implicit-def: $sgpr24
	s_branch .LBB39_99
	.p2align	6
.LBB39_98:                              ;   in Loop: Header=BB39_99 Depth=1
	s_or_b32 exec_lo, exec_lo, s27
	v_and_b32_e32 v8, 0x3fffffff, v11
	v_cmp_eq_u32_e64 s24, 0x80000000, v4
	s_delay_alu instid0(VALU_DEP_2) | instskip(NEXT) | instid1(VALU_DEP_2)
	v_add_nc_u32_e32 v2, v8, v2
	s_and_b32 s27, exec_lo, s24
	s_delay_alu instid0(SALU_CYCLE_1) | instskip(NEXT) | instid1(SALU_CYCLE_1)
	s_or_b32 s25, s27, s25
	s_and_not1_b32 exec_lo, exec_lo, s25
	s_cbranch_execz .LBB39_105
.LBB39_99:                              ; =>This Loop Header: Depth=1
                                        ;     Child Loop BB39_102 Depth 2
	s_or_b32 s24, s24, exec_lo
	s_cmp_eq_u32 s26, 0
	s_cbranch_scc1 .LBB39_104
; %bb.100:                              ;   in Loop: Header=BB39_99 Depth=1
	s_add_i32 s26, s26, -1
	s_mov_b32 s27, exec_lo
	v_lshl_add_u32 v4, s26, 8, v1
	s_delay_alu instid0(VALU_DEP_1) | instskip(NEXT) | instid1(VALU_DEP_1)
	v_lshlrev_b64 v[8:9], 2, v[4:5]
	v_add_co_u32 v8, s24, s66, v8
	s_delay_alu instid0(VALU_DEP_1) | instskip(SKIP_3) | instid1(VALU_DEP_1)
	v_add_co_ci_u32_e64 v9, s24, s67, v9, s24
	global_load_b32 v11, v[8:9], off glc
	s_waitcnt vmcnt(0)
	v_and_b32_e32 v4, -2.0, v11
	v_cmpx_eq_u32_e32 0, v4
	s_cbranch_execz .LBB39_98
; %bb.101:                              ;   in Loop: Header=BB39_99 Depth=1
	s_mov_b32 s28, 0
.LBB39_102:                             ;   Parent Loop BB39_99 Depth=1
                                        ; =>  This Inner Loop Header: Depth=2
	global_load_b32 v11, v[8:9], off glc
	s_waitcnt vmcnt(0)
	v_and_b32_e32 v4, -2.0, v11
	s_delay_alu instid0(VALU_DEP_1) | instskip(NEXT) | instid1(VALU_DEP_1)
	v_cmp_ne_u32_e64 s24, 0, v4
	s_or_b32 s28, s24, s28
	s_delay_alu instid0(SALU_CYCLE_1)
	s_and_not1_b32 exec_lo, exec_lo, s28
	s_cbranch_execnz .LBB39_102
; %bb.103:                              ;   in Loop: Header=BB39_99 Depth=1
	s_or_b32 exec_lo, exec_lo, s28
	s_branch .LBB39_98
.LBB39_104:                             ;   in Loop: Header=BB39_99 Depth=1
                                        ; implicit-def: $sgpr26
	s_and_b32 s27, exec_lo, s24
	s_delay_alu instid0(SALU_CYCLE_1) | instskip(NEXT) | instid1(SALU_CYCLE_1)
	s_or_b32 s25, s27, s25
	s_and_not1_b32 exec_lo, exec_lo, s25
	s_cbranch_execnz .LBB39_99
.LBB39_105:
	s_or_b32 exec_lo, exec_lo, s25
	v_add_nc_u32_e32 v4, v2, v52
	v_lshlrev_b32_e32 v53, 3, v1
	s_delay_alu instid0(VALU_DEP_2)
	v_or_b32_e32 v4, 0x80000000, v4
	global_store_b32 v[6:7], v4, off
	v_sub_co_u32 v6, s24, v2, v3
	v_mov_b32_e32 v2, 0
	global_load_b64 v[4:5], v53, s[56:57]
	v_sub_co_ci_u32_e64 v7, null, 0, 0, s24
	s_waitcnt vmcnt(0)
	v_add_co_u32 v6, s24, v6, v4
	s_delay_alu instid0(VALU_DEP_1)
	v_add_co_ci_u32_e64 v7, s24, v7, v5, s24
	v_cmp_gt_u32_e64 s24, s47, v1
	v_mov_b32_e32 v4, v2
	ds_store_b64 v53, v[6:7]
	s_waitcnt lgkmcnt(0)
	s_waitcnt_vscnt null, 0x0
	s_barrier
	buffer_gl0_inv
	s_and_saveexec_b32 s26, s24
	s_cbranch_execz .LBB39_107
; %bb.106:
	ds_load_u8 v7, v1 offset:2048
	s_waitcnt lgkmcnt(0)
	v_and_b32_e32 v5, 0xff, v7
	v_xor_b32_e32 v7, 0x7f, v7
	s_delay_alu instid0(VALU_DEP_2) | instskip(NEXT) | instid1(VALU_DEP_1)
	v_lshrrev_b32_e32 v5, s60, v5
	v_and_b32_e32 v5, s68, v5
	s_delay_alu instid0(VALU_DEP_1) | instskip(SKIP_3) | instid1(VALU_DEP_1)
	v_lshlrev_b32_e32 v5, 3, v5
	ds_load_b64 v[5:6], v5
	s_waitcnt lgkmcnt(0)
	v_add_co_u32 v5, s25, s50, v5
	v_add_co_ci_u32_e64 v6, s25, s51, v6, s25
	s_delay_alu instid0(VALU_DEP_2) | instskip(NEXT) | instid1(VALU_DEP_1)
	v_add_co_u32 v5, s25, v5, v1
	v_add_co_ci_u32_e64 v6, s25, 0, v6, s25
	global_store_b8 v[5:6], v7, off
.LBB39_107:
	s_or_b32 exec_lo, exec_lo, s26
	v_add_nc_u32_e32 v5, 0x100, v1
	s_delay_alu instid0(VALU_DEP_1) | instskip(NEXT) | instid1(VALU_DEP_1)
	v_cmp_gt_u32_e64 s25, s47, v5
	s_and_saveexec_b32 s27, s25
	s_cbranch_execz .LBB39_109
; %bb.108:
	ds_load_u8 v7, v1 offset:2304
	s_waitcnt lgkmcnt(0)
	v_and_b32_e32 v5, 0xff, v7
	v_xor_b32_e32 v7, 0x7f, v7
	s_delay_alu instid0(VALU_DEP_2) | instskip(NEXT) | instid1(VALU_DEP_1)
	v_lshrrev_b32_e32 v5, s60, v5
	v_and_b32_e32 v5, s68, v5
	s_delay_alu instid0(VALU_DEP_1) | instskip(SKIP_3) | instid1(VALU_DEP_1)
	v_lshlrev_b32_e32 v5, 3, v5
	ds_load_b64 v[5:6], v5
	s_waitcnt lgkmcnt(0)
	v_add_co_u32 v5, s26, s50, v5
	v_add_co_ci_u32_e64 v6, s26, s51, v6, s26
	s_delay_alu instid0(VALU_DEP_2) | instskip(NEXT) | instid1(VALU_DEP_1)
	v_add_co_u32 v5, s26, v5, v1
	v_add_co_ci_u32_e64 v6, s26, 0, v6, s26
	global_store_b8 v[5:6], v7, off offset:256
.LBB39_109:
	s_or_b32 exec_lo, exec_lo, s27
	v_add_nc_u32_e32 v56, 0x200, v1
	s_delay_alu instid0(VALU_DEP_1) | instskip(NEXT) | instid1(VALU_DEP_1)
	v_cmp_gt_u32_e64 s26, s47, v56
	s_and_saveexec_b32 s28, s26
	s_cbranch_execz .LBB39_111
; %bb.110:
	ds_load_u8 v7, v1 offset:2560
	s_waitcnt lgkmcnt(0)
	v_and_b32_e32 v5, 0xff, v7
	v_xor_b32_e32 v7, 0x7f, v7
	s_delay_alu instid0(VALU_DEP_2) | instskip(NEXT) | instid1(VALU_DEP_1)
	v_lshrrev_b32_e32 v5, s60, v5
	v_and_b32_e32 v5, s68, v5
	s_delay_alu instid0(VALU_DEP_1) | instskip(SKIP_3) | instid1(VALU_DEP_1)
	v_lshlrev_b32_e32 v5, 3, v5
	ds_load_b64 v[5:6], v5
	s_waitcnt lgkmcnt(0)
	v_add_co_u32 v5, s27, s50, v5
	v_add_co_ci_u32_e64 v6, s27, s51, v6, s27
	s_delay_alu instid0(VALU_DEP_2) | instskip(NEXT) | instid1(VALU_DEP_1)
	v_add_co_u32 v5, s27, v5, v1
	v_add_co_ci_u32_e64 v6, s27, 0, v6, s27
	global_store_b8 v[5:6], v7, off offset:512
.LBB39_111:
	;; [unrolled: 25-line block ×3, first 2 shown]
	s_or_b32 exec_lo, exec_lo, s29
	v_or_b32_e32 v78, 0x400, v1
	s_delay_alu instid0(VALU_DEP_1) | instskip(NEXT) | instid1(VALU_DEP_1)
	v_cmp_gt_u32_e64 s28, s47, v78
	s_and_saveexec_b32 s30, s28
	s_cbranch_execz .LBB39_115
; %bb.114:
	ds_load_u8 v7, v1 offset:3072
	s_waitcnt lgkmcnt(0)
	v_and_b32_e32 v5, 0xff, v7
	v_xor_b32_e32 v7, 0x7f, v7
	s_delay_alu instid0(VALU_DEP_2) | instskip(NEXT) | instid1(VALU_DEP_1)
	v_lshrrev_b32_e32 v5, s60, v5
	v_and_b32_e32 v5, s68, v5
	s_delay_alu instid0(VALU_DEP_1) | instskip(SKIP_3) | instid1(VALU_DEP_1)
	v_lshlrev_b32_e32 v5, 3, v5
	ds_load_b64 v[5:6], v5
	s_waitcnt lgkmcnt(0)
	v_add_co_u32 v5, s29, s50, v5
	v_add_co_ci_u32_e64 v6, s29, s51, v6, s29
	s_delay_alu instid0(VALU_DEP_2) | instskip(NEXT) | instid1(VALU_DEP_1)
	v_add_co_u32 v5, s29, v5, v1
	v_add_co_ci_u32_e64 v6, s29, 0, v6, s29
	global_store_b8 v[5:6], v7, off offset:1024
.LBB39_115:
	s_or_b32 exec_lo, exec_lo, s30
	v_add_nc_u32_e32 v79, 0x500, v1
	s_delay_alu instid0(VALU_DEP_1) | instskip(NEXT) | instid1(VALU_DEP_1)
	v_cmp_gt_u32_e64 s29, s47, v79
	s_and_saveexec_b32 s31, s29
	s_cbranch_execz .LBB39_117
; %bb.116:
	ds_load_u8 v7, v1 offset:3328
	s_waitcnt lgkmcnt(0)
	v_and_b32_e32 v5, 0xff, v7
	v_xor_b32_e32 v7, 0x7f, v7
	s_delay_alu instid0(VALU_DEP_2) | instskip(NEXT) | instid1(VALU_DEP_1)
	v_lshrrev_b32_e32 v5, s60, v5
	v_and_b32_e32 v5, s68, v5
	s_delay_alu instid0(VALU_DEP_1) | instskip(SKIP_3) | instid1(VALU_DEP_1)
	v_lshlrev_b32_e32 v5, 3, v5
	ds_load_b64 v[5:6], v5
	s_waitcnt lgkmcnt(0)
	v_add_co_u32 v5, s30, s50, v5
	v_add_co_ci_u32_e64 v6, s30, s51, v6, s30
	s_delay_alu instid0(VALU_DEP_2) | instskip(NEXT) | instid1(VALU_DEP_1)
	v_add_co_u32 v5, s30, v5, v1
	v_add_co_ci_u32_e64 v6, s30, 0, v6, s30
	global_store_b8 v[5:6], v7, off offset:1280
.LBB39_117:
	s_or_b32 exec_lo, exec_lo, s31
	v_add_nc_u32_e32 v80, 0x600, v1
	;; [unrolled: 25-line block ×3, first 2 shown]
	s_delay_alu instid0(VALU_DEP_1) | instskip(NEXT) | instid1(VALU_DEP_1)
	v_cmp_gt_u32_e64 s31, s47, v81
	s_and_saveexec_b32 s34, s31
	s_cbranch_execz .LBB39_121
; %bb.120:
	ds_load_u8 v7, v1 offset:3840
	s_waitcnt lgkmcnt(0)
	v_and_b32_e32 v5, 0xff, v7
	v_xor_b32_e32 v7, 0x7f, v7
	s_delay_alu instid0(VALU_DEP_2) | instskip(NEXT) | instid1(VALU_DEP_1)
	v_lshrrev_b32_e32 v5, s60, v5
	v_and_b32_e32 v5, s68, v5
	s_delay_alu instid0(VALU_DEP_1) | instskip(SKIP_3) | instid1(VALU_DEP_1)
	v_lshlrev_b32_e32 v5, 3, v5
	ds_load_b64 v[5:6], v5
	s_waitcnt lgkmcnt(0)
	v_add_co_u32 v5, s33, s50, v5
	v_add_co_ci_u32_e64 v6, s33, s51, v6, s33
	s_delay_alu instid0(VALU_DEP_2) | instskip(NEXT) | instid1(VALU_DEP_1)
	v_add_co_u32 v5, s33, v5, v1
	v_add_co_ci_u32_e64 v6, s33, 0, v6, s33
	global_store_b8 v[5:6], v7, off offset:1792
.LBB39_121:
	s_or_b32 exec_lo, exec_lo, s34
	v_or_b32_e32 v82, 0x800, v1
	s_delay_alu instid0(VALU_DEP_1) | instskip(NEXT) | instid1(VALU_DEP_1)
	v_cmp_gt_u32_e64 s33, s47, v82
	s_and_saveexec_b32 s35, s33
	s_cbranch_execz .LBB39_123
; %bb.122:
	ds_load_u8 v7, v1 offset:4096
	s_waitcnt lgkmcnt(0)
	v_and_b32_e32 v5, 0xff, v7
	v_xor_b32_e32 v7, 0x7f, v7
	s_delay_alu instid0(VALU_DEP_2) | instskip(NEXT) | instid1(VALU_DEP_1)
	v_lshrrev_b32_e32 v5, s60, v5
	v_and_b32_e32 v5, s68, v5
	s_delay_alu instid0(VALU_DEP_1) | instskip(SKIP_3) | instid1(VALU_DEP_1)
	v_lshlrev_b32_e32 v5, 3, v5
	ds_load_b64 v[5:6], v5
	s_waitcnt lgkmcnt(0)
	v_add_co_u32 v5, s34, s50, v5
	v_add_co_ci_u32_e64 v6, s34, s51, v6, s34
	s_delay_alu instid0(VALU_DEP_2) | instskip(NEXT) | instid1(VALU_DEP_1)
	v_add_co_u32 v5, s34, v5, v1
	v_add_co_ci_u32_e64 v6, s34, 0, v6, s34
	global_store_b8 v[5:6], v7, off offset:2048
.LBB39_123:
	s_or_b32 exec_lo, exec_lo, s35
	v_add_nc_u32_e32 v83, 0x900, v1
	s_delay_alu instid0(VALU_DEP_1) | instskip(NEXT) | instid1(VALU_DEP_1)
	v_cmp_gt_u32_e64 s34, s47, v83
	s_and_saveexec_b32 s36, s34
	s_cbranch_execz .LBB39_125
; %bb.124:
	ds_load_u8 v7, v1 offset:4352
	s_waitcnt lgkmcnt(0)
	v_and_b32_e32 v5, 0xff, v7
	v_xor_b32_e32 v7, 0x7f, v7
	s_delay_alu instid0(VALU_DEP_2) | instskip(NEXT) | instid1(VALU_DEP_1)
	v_lshrrev_b32_e32 v5, s60, v5
	v_and_b32_e32 v5, s68, v5
	s_delay_alu instid0(VALU_DEP_1) | instskip(SKIP_3) | instid1(VALU_DEP_1)
	v_lshlrev_b32_e32 v5, 3, v5
	ds_load_b64 v[5:6], v5
	s_waitcnt lgkmcnt(0)
	v_add_co_u32 v5, s35, s50, v5
	v_add_co_ci_u32_e64 v6, s35, s51, v6, s35
	s_delay_alu instid0(VALU_DEP_2) | instskip(NEXT) | instid1(VALU_DEP_1)
	v_add_co_u32 v5, s35, v5, v1
	v_add_co_ci_u32_e64 v6, s35, 0, v6, s35
	global_store_b8 v[5:6], v7, off offset:2304
.LBB39_125:
	s_or_b32 exec_lo, exec_lo, s36
	v_add_nc_u32_e32 v84, 0xa00, v1
	;; [unrolled: 25-line block ×3, first 2 shown]
	s_delay_alu instid0(VALU_DEP_1) | instskip(NEXT) | instid1(VALU_DEP_1)
	v_cmp_gt_u32_e64 s36, s47, v85
	s_and_saveexec_b32 s38, s36
	s_cbranch_execz .LBB39_129
; %bb.128:
	ds_load_u8 v7, v1 offset:4864
	s_waitcnt lgkmcnt(0)
	v_and_b32_e32 v5, 0xff, v7
	v_xor_b32_e32 v7, 0x7f, v7
	s_delay_alu instid0(VALU_DEP_2) | instskip(NEXT) | instid1(VALU_DEP_1)
	v_lshrrev_b32_e32 v5, s60, v5
	v_and_b32_e32 v5, s68, v5
	s_delay_alu instid0(VALU_DEP_1) | instskip(SKIP_3) | instid1(VALU_DEP_1)
	v_lshlrev_b32_e32 v5, 3, v5
	ds_load_b64 v[5:6], v5
	s_waitcnt lgkmcnt(0)
	v_add_co_u32 v5, s37, s50, v5
	v_add_co_ci_u32_e64 v6, s37, s51, v6, s37
	s_delay_alu instid0(VALU_DEP_2) | instskip(NEXT) | instid1(VALU_DEP_1)
	v_add_co_u32 v5, s37, v5, v1
	v_add_co_ci_u32_e64 v6, s37, 0, v6, s37
	global_store_b8 v[5:6], v7, off offset:2816
.LBB39_129:
	s_or_b32 exec_lo, exec_lo, s38
	v_or_b32_e32 v86, 0xc00, v1
	s_delay_alu instid0(VALU_DEP_1) | instskip(NEXT) | instid1(VALU_DEP_1)
	v_cmp_gt_u32_e64 s37, s47, v86
	s_and_saveexec_b32 s39, s37
	s_cbranch_execz .LBB39_131
; %bb.130:
	ds_load_u8 v7, v1 offset:5120
	s_waitcnt lgkmcnt(0)
	v_and_b32_e32 v5, 0xff, v7
	v_xor_b32_e32 v7, 0x7f, v7
	s_delay_alu instid0(VALU_DEP_2) | instskip(NEXT) | instid1(VALU_DEP_1)
	v_lshrrev_b32_e32 v5, s60, v5
	v_and_b32_e32 v5, s68, v5
	s_delay_alu instid0(VALU_DEP_1) | instskip(SKIP_3) | instid1(VALU_DEP_1)
	v_lshlrev_b32_e32 v5, 3, v5
	ds_load_b64 v[5:6], v5
	s_waitcnt lgkmcnt(0)
	v_add_co_u32 v5, s38, s50, v5
	v_add_co_ci_u32_e64 v6, s38, s51, v6, s38
	s_delay_alu instid0(VALU_DEP_2) | instskip(NEXT) | instid1(VALU_DEP_1)
	v_add_co_u32 v5, s38, v5, v1
	v_add_co_ci_u32_e64 v6, s38, 0, v6, s38
	global_store_b8 v[5:6], v7, off offset:3072
.LBB39_131:
	s_or_b32 exec_lo, exec_lo, s39
	v_add_nc_u32_e32 v87, 0xd00, v1
	s_delay_alu instid0(VALU_DEP_1) | instskip(NEXT) | instid1(VALU_DEP_1)
	v_cmp_gt_u32_e64 s38, s47, v87
	s_and_saveexec_b32 s40, s38
	s_cbranch_execz .LBB39_133
; %bb.132:
	ds_load_u8 v7, v1 offset:5376
	s_waitcnt lgkmcnt(0)
	v_and_b32_e32 v5, 0xff, v7
	v_xor_b32_e32 v7, 0x7f, v7
	s_delay_alu instid0(VALU_DEP_2) | instskip(NEXT) | instid1(VALU_DEP_1)
	v_lshrrev_b32_e32 v5, s60, v5
	v_and_b32_e32 v5, s68, v5
	s_delay_alu instid0(VALU_DEP_1) | instskip(SKIP_3) | instid1(VALU_DEP_1)
	v_lshlrev_b32_e32 v5, 3, v5
	ds_load_b64 v[5:6], v5
	s_waitcnt lgkmcnt(0)
	v_add_co_u32 v5, s39, s50, v5
	v_add_co_ci_u32_e64 v6, s39, s51, v6, s39
	s_delay_alu instid0(VALU_DEP_2) | instskip(NEXT) | instid1(VALU_DEP_1)
	v_add_co_u32 v5, s39, v5, v1
	v_add_co_ci_u32_e64 v6, s39, 0, v6, s39
	global_store_b8 v[5:6], v7, off offset:3328
.LBB39_133:
	s_or_b32 exec_lo, exec_lo, s40
	v_add_nc_u32_e32 v88, 0xe00, v1
	;; [unrolled: 25-line block ×3, first 2 shown]
	s_delay_alu instid0(VALU_DEP_1) | instskip(NEXT) | instid1(VALU_DEP_1)
	v_cmp_gt_u32_e64 s40, s47, v89
	s_and_saveexec_b32 s42, s40
	s_cbranch_execz .LBB39_137
; %bb.136:
	ds_load_u8 v7, v1 offset:5888
	s_waitcnt lgkmcnt(0)
	v_and_b32_e32 v5, 0xff, v7
	v_xor_b32_e32 v7, 0x7f, v7
	s_delay_alu instid0(VALU_DEP_2) | instskip(NEXT) | instid1(VALU_DEP_1)
	v_lshrrev_b32_e32 v5, s60, v5
	v_and_b32_e32 v5, s68, v5
	s_delay_alu instid0(VALU_DEP_1) | instskip(SKIP_3) | instid1(VALU_DEP_1)
	v_lshlrev_b32_e32 v5, 3, v5
	ds_load_b64 v[5:6], v5
	s_waitcnt lgkmcnt(0)
	v_add_co_u32 v5, s41, s50, v5
	v_add_co_ci_u32_e64 v6, s41, s51, v6, s41
	s_delay_alu instid0(VALU_DEP_2) | instskip(NEXT) | instid1(VALU_DEP_1)
	v_add_co_u32 v5, s41, v5, v1
	v_add_co_ci_u32_e64 v6, s41, 0, v6, s41
	global_store_b8 v[5:6], v7, off offset:3840
.LBB39_137:
	s_or_b32 exec_lo, exec_lo, s42
	v_or_b32_e32 v90, 0x1000, v1
	s_delay_alu instid0(VALU_DEP_1) | instskip(NEXT) | instid1(VALU_DEP_1)
	v_cmp_gt_u32_e64 s41, s47, v90
	s_and_saveexec_b32 s43, s41
	s_cbranch_execz .LBB39_139
; %bb.138:
	ds_load_u8 v7, v1 offset:6144
	s_waitcnt lgkmcnt(0)
	v_and_b32_e32 v5, 0xff, v7
	v_xor_b32_e32 v7, 0x7f, v7
	s_delay_alu instid0(VALU_DEP_2) | instskip(NEXT) | instid1(VALU_DEP_1)
	v_lshrrev_b32_e32 v5, s60, v5
	v_and_b32_e32 v5, s68, v5
	s_delay_alu instid0(VALU_DEP_1) | instskip(SKIP_3) | instid1(VALU_DEP_1)
	v_lshlrev_b32_e32 v5, 3, v5
	ds_load_b64 v[5:6], v5
	s_waitcnt lgkmcnt(0)
	v_add_co_u32 v5, s42, s50, v5
	v_add_co_ci_u32_e64 v6, s42, s51, v6, s42
	s_delay_alu instid0(VALU_DEP_2) | instskip(NEXT) | instid1(VALU_DEP_1)
	v_add_co_u32 v5, s42, v5, v90
	v_add_co_ci_u32_e64 v6, s42, 0, v6, s42
	global_store_b8 v[5:6], v7, off
.LBB39_139:
	s_or_b32 exec_lo, exec_lo, s43
	v_add_nc_u32_e32 v91, 0x1100, v1
	s_delay_alu instid0(VALU_DEP_1) | instskip(NEXT) | instid1(VALU_DEP_1)
	v_cmp_gt_u32_e64 s42, s47, v91
	s_and_saveexec_b32 s44, s42
	s_cbranch_execz .LBB39_141
; %bb.140:
	ds_load_u8 v7, v1 offset:6400
	s_waitcnt lgkmcnt(0)
	v_and_b32_e32 v5, 0xff, v7
	v_xor_b32_e32 v7, 0x7f, v7
	s_delay_alu instid0(VALU_DEP_2) | instskip(NEXT) | instid1(VALU_DEP_1)
	v_lshrrev_b32_e32 v5, s60, v5
	v_and_b32_e32 v5, s68, v5
	s_delay_alu instid0(VALU_DEP_1) | instskip(SKIP_3) | instid1(VALU_DEP_1)
	v_lshlrev_b32_e32 v5, 3, v5
	ds_load_b64 v[5:6], v5
	s_waitcnt lgkmcnt(0)
	v_add_co_u32 v5, s43, s50, v5
	v_add_co_ci_u32_e64 v6, s43, s51, v6, s43
	s_delay_alu instid0(VALU_DEP_2) | instskip(NEXT) | instid1(VALU_DEP_1)
	v_add_co_u32 v5, s43, v5, v91
	v_add_co_ci_u32_e64 v6, s43, 0, v6, s43
	global_store_b8 v[5:6], v7, off
.LBB39_141:
	s_or_b32 exec_lo, exec_lo, s44
	v_add_nc_u32_e32 v92, 0x1200, v1
	;; [unrolled: 25-line block ×3, first 2 shown]
	s_delay_alu instid0(VALU_DEP_1) | instskip(NEXT) | instid1(VALU_DEP_1)
	v_cmp_gt_u32_e64 s44, s47, v93
	s_and_saveexec_b32 s46, s44
	s_cbranch_execz .LBB39_145
; %bb.144:
	ds_load_u8 v7, v1 offset:6912
	s_waitcnt lgkmcnt(0)
	v_and_b32_e32 v5, 0xff, v7
	v_xor_b32_e32 v7, 0x7f, v7
	s_delay_alu instid0(VALU_DEP_2) | instskip(NEXT) | instid1(VALU_DEP_1)
	v_lshrrev_b32_e32 v5, s60, v5
	v_and_b32_e32 v5, s68, v5
	s_delay_alu instid0(VALU_DEP_1) | instskip(SKIP_3) | instid1(VALU_DEP_1)
	v_lshlrev_b32_e32 v5, 3, v5
	ds_load_b64 v[5:6], v5
	s_waitcnt lgkmcnt(0)
	v_add_co_u32 v5, s45, s50, v5
	v_add_co_ci_u32_e64 v6, s45, s51, v6, s45
	s_delay_alu instid0(VALU_DEP_2) | instskip(NEXT) | instid1(VALU_DEP_1)
	v_add_co_u32 v5, s45, v5, v93
	v_add_co_ci_u32_e64 v6, s45, 0, v6, s45
	global_store_b8 v[5:6], v7, off
.LBB39_145:
	s_or_b32 exec_lo, exec_lo, s46
	v_or_b32_e32 v94, 0x1400, v1
	s_delay_alu instid0(VALU_DEP_1) | instskip(NEXT) | instid1(VALU_DEP_1)
	v_cmp_gt_u32_e64 s45, s47, v94
	s_and_saveexec_b32 s69, s45
	s_cbranch_execz .LBB39_147
; %bb.146:
	ds_load_u8 v7, v1 offset:7168
	s_waitcnt lgkmcnt(0)
	v_and_b32_e32 v5, 0xff, v7
	v_xor_b32_e32 v7, 0x7f, v7
	s_delay_alu instid0(VALU_DEP_2) | instskip(NEXT) | instid1(VALU_DEP_1)
	v_lshrrev_b32_e32 v5, s60, v5
	v_and_b32_e32 v5, s68, v5
	s_delay_alu instid0(VALU_DEP_1) | instskip(SKIP_3) | instid1(VALU_DEP_1)
	v_lshlrev_b32_e32 v5, 3, v5
	ds_load_b64 v[5:6], v5
	s_waitcnt lgkmcnt(0)
	v_add_co_u32 v5, s46, s50, v5
	v_add_co_ci_u32_e64 v6, s46, s51, v6, s46
	s_delay_alu instid0(VALU_DEP_2) | instskip(NEXT) | instid1(VALU_DEP_1)
	v_add_co_u32 v5, s46, v5, v94
	v_add_co_ci_u32_e64 v6, s46, 0, v6, s46
	global_store_b8 v[5:6], v7, off
.LBB39_147:
	s_or_b32 exec_lo, exec_lo, s69
	v_add_nc_u32_e32 v95, 0x1500, v1
	s_delay_alu instid0(VALU_DEP_1) | instskip(NEXT) | instid1(VALU_DEP_1)
	v_cmp_gt_u32_e64 s46, s47, v95
	s_and_saveexec_b32 s69, s46
	s_cbranch_execz .LBB39_149
; %bb.148:
	ds_load_u8 v7, v1 offset:7424
	s_waitcnt lgkmcnt(0)
	v_and_b32_e32 v5, 0xff, v7
	v_xor_b32_e32 v7, 0x7f, v7
	s_delay_alu instid0(VALU_DEP_2) | instskip(NEXT) | instid1(VALU_DEP_1)
	v_lshrrev_b32_e32 v5, s60, v5
	v_and_b32_e32 v5, s68, v5
	s_delay_alu instid0(VALU_DEP_1) | instskip(SKIP_3) | instid1(VALU_DEP_1)
	v_lshlrev_b32_e32 v5, 3, v5
	ds_load_b64 v[5:6], v5
	s_waitcnt lgkmcnt(0)
	v_add_co_u32 v5, s47, s50, v5
	v_add_co_ci_u32_e64 v6, s47, s51, v6, s47
	s_delay_alu instid0(VALU_DEP_2) | instskip(NEXT) | instid1(VALU_DEP_1)
	v_add_co_u32 v5, s47, v5, v95
	v_add_co_ci_u32_e64 v6, s47, 0, v6, s47
	global_store_b8 v[5:6], v7, off
.LBB39_149:
	s_or_b32 exec_lo, exec_lo, s69
	v_lshlrev_b32_e32 v5, 3, v51
	s_lshl_b64 s[70:71], s[64:65], 3
	v_lshlrev_b32_e32 v6, 3, v10
	s_add_u32 s47, s52, s70
	s_addc_u32 s65, s53, s71
	v_add_co_u32 v5, s47, s47, v5
	s_delay_alu instid0(VALU_DEP_1) | instskip(NEXT) | instid1(VALU_DEP_2)
	v_add_co_ci_u32_e64 v7, null, s65, 0, s47
	v_add_co_u32 v49, s47, v5, v6
	s_delay_alu instid0(VALU_DEP_1) | instskip(SKIP_1) | instid1(SALU_CYCLE_1)
	v_add_co_ci_u32_e64 v50, s47, 0, v7, s47
                                        ; implicit-def: $vgpr5_vgpr6
	s_and_saveexec_b32 s47, vcc_lo
	s_xor_b32 s47, exec_lo, s47
	s_cbranch_execnz .LBB39_283
; %bb.150:
	s_or_b32 exec_lo, exec_lo, s47
                                        ; implicit-def: $vgpr7_vgpr8
	s_and_saveexec_b32 s47, s2
	s_cbranch_execnz .LBB39_284
.LBB39_151:
	s_or_b32 exec_lo, exec_lo, s47
                                        ; implicit-def: $vgpr9_vgpr10
	s_and_saveexec_b32 s2, s3
	s_cbranch_execnz .LBB39_285
.LBB39_152:
	s_or_b32 exec_lo, exec_lo, s2
                                        ; implicit-def: $vgpr11_vgpr12
	s_and_saveexec_b32 s2, s4
	s_cbranch_execnz .LBB39_286
.LBB39_153:
	s_or_b32 exec_lo, exec_lo, s2
                                        ; implicit-def: $vgpr13_vgpr14
	s_and_saveexec_b32 s2, s5
	s_cbranch_execnz .LBB39_287
.LBB39_154:
	s_or_b32 exec_lo, exec_lo, s2
                                        ; implicit-def: $vgpr15_vgpr16
	s_and_saveexec_b32 s2, s6
	s_cbranch_execnz .LBB39_288
.LBB39_155:
	s_or_b32 exec_lo, exec_lo, s2
                                        ; implicit-def: $vgpr17_vgpr18
	s_and_saveexec_b32 s2, s7
	s_cbranch_execnz .LBB39_289
.LBB39_156:
	s_or_b32 exec_lo, exec_lo, s2
                                        ; implicit-def: $vgpr19_vgpr20
	s_and_saveexec_b32 s2, s8
	s_cbranch_execnz .LBB39_290
.LBB39_157:
	s_or_b32 exec_lo, exec_lo, s2
                                        ; implicit-def: $vgpr21_vgpr22
	s_and_saveexec_b32 s2, s9
	s_cbranch_execnz .LBB39_291
.LBB39_158:
	s_or_b32 exec_lo, exec_lo, s2
                                        ; implicit-def: $vgpr23_vgpr24
	s_and_saveexec_b32 s2, s10
	s_cbranch_execnz .LBB39_292
.LBB39_159:
	s_or_b32 exec_lo, exec_lo, s2
                                        ; implicit-def: $vgpr25_vgpr26
	s_and_saveexec_b32 s2, s11
	s_cbranch_execnz .LBB39_293
.LBB39_160:
	s_or_b32 exec_lo, exec_lo, s2
                                        ; implicit-def: $vgpr27_vgpr28
	s_and_saveexec_b32 s2, s12
	s_cbranch_execnz .LBB39_294
.LBB39_161:
	s_or_b32 exec_lo, exec_lo, s2
                                        ; implicit-def: $vgpr29_vgpr30
	s_and_saveexec_b32 s2, s13
	s_cbranch_execnz .LBB39_295
.LBB39_162:
	s_or_b32 exec_lo, exec_lo, s2
                                        ; implicit-def: $vgpr31_vgpr32
	s_and_saveexec_b32 s2, s14
	s_cbranch_execnz .LBB39_296
.LBB39_163:
	s_or_b32 exec_lo, exec_lo, s2
                                        ; implicit-def: $vgpr33_vgpr34
	s_and_saveexec_b32 s2, s16
	s_cbranch_execnz .LBB39_297
.LBB39_164:
	s_or_b32 exec_lo, exec_lo, s2
                                        ; implicit-def: $vgpr35_vgpr36
	s_and_saveexec_b32 s2, s18
	s_cbranch_execnz .LBB39_298
.LBB39_165:
	s_or_b32 exec_lo, exec_lo, s2
                                        ; implicit-def: $vgpr37_vgpr38
	s_and_saveexec_b32 s2, s23
	s_cbranch_execnz .LBB39_299
.LBB39_166:
	s_or_b32 exec_lo, exec_lo, s2
                                        ; implicit-def: $vgpr39_vgpr40
	s_and_saveexec_b32 s2, s21
	s_cbranch_execnz .LBB39_300
.LBB39_167:
	s_or_b32 exec_lo, exec_lo, s2
                                        ; implicit-def: $vgpr41_vgpr42
	s_and_saveexec_b32 s2, s22
	s_cbranch_execnz .LBB39_301
.LBB39_168:
	s_or_b32 exec_lo, exec_lo, s2
                                        ; implicit-def: $vgpr43_vgpr44
	s_and_saveexec_b32 s2, s19
	s_cbranch_execnz .LBB39_302
.LBB39_169:
	s_or_b32 exec_lo, exec_lo, s2
                                        ; implicit-def: $vgpr45_vgpr46
	s_and_saveexec_b32 s2, s20
	s_cbranch_execnz .LBB39_303
.LBB39_170:
	s_or_b32 exec_lo, exec_lo, s2
                                        ; implicit-def: $vgpr47_vgpr48
	s_and_saveexec_b32 s2, s17
	s_cbranch_execnz .LBB39_304
.LBB39_171:
	s_or_b32 exec_lo, exec_lo, s2
                                        ; implicit-def: $vgpr115
	s_and_saveexec_b32 s2, s24
	s_cbranch_execnz .LBB39_305
.LBB39_172:
	s_or_b32 exec_lo, exec_lo, s2
                                        ; implicit-def: $vgpr114
	s_and_saveexec_b32 s2, s25
	s_cbranch_execnz .LBB39_306
.LBB39_173:
	s_or_b32 exec_lo, exec_lo, s2
                                        ; implicit-def: $vgpr113
	s_and_saveexec_b32 s2, s26
	s_cbranch_execnz .LBB39_307
.LBB39_174:
	s_or_b32 exec_lo, exec_lo, s2
                                        ; implicit-def: $vgpr112
	s_and_saveexec_b32 s2, s27
	s_cbranch_execnz .LBB39_308
.LBB39_175:
	s_or_b32 exec_lo, exec_lo, s2
                                        ; implicit-def: $vgpr111
	s_and_saveexec_b32 s2, s28
	s_cbranch_execnz .LBB39_309
.LBB39_176:
	s_or_b32 exec_lo, exec_lo, s2
                                        ; implicit-def: $vgpr110
	s_and_saveexec_b32 s2, s29
	s_cbranch_execnz .LBB39_310
.LBB39_177:
	s_or_b32 exec_lo, exec_lo, s2
                                        ; implicit-def: $vgpr109
	s_and_saveexec_b32 s2, s30
	s_cbranch_execnz .LBB39_311
.LBB39_178:
	s_or_b32 exec_lo, exec_lo, s2
                                        ; implicit-def: $vgpr108
	s_and_saveexec_b32 s2, s31
	s_cbranch_execnz .LBB39_312
.LBB39_179:
	s_or_b32 exec_lo, exec_lo, s2
                                        ; implicit-def: $vgpr107
	s_and_saveexec_b32 s2, s33
	s_cbranch_execnz .LBB39_313
.LBB39_180:
	s_or_b32 exec_lo, exec_lo, s2
                                        ; implicit-def: $vgpr106
	s_and_saveexec_b32 s2, s34
	s_cbranch_execnz .LBB39_314
.LBB39_181:
	s_or_b32 exec_lo, exec_lo, s2
                                        ; implicit-def: $vgpr105
	s_and_saveexec_b32 s2, s35
	s_cbranch_execnz .LBB39_315
.LBB39_182:
	s_or_b32 exec_lo, exec_lo, s2
                                        ; implicit-def: $vgpr104
	s_and_saveexec_b32 s2, s36
	s_cbranch_execnz .LBB39_316
.LBB39_183:
	s_or_b32 exec_lo, exec_lo, s2
                                        ; implicit-def: $vgpr103
	s_and_saveexec_b32 s2, s37
	s_cbranch_execnz .LBB39_317
.LBB39_184:
	s_or_b32 exec_lo, exec_lo, s2
                                        ; implicit-def: $vgpr102
	s_and_saveexec_b32 s2, s38
	s_cbranch_execnz .LBB39_318
.LBB39_185:
	s_or_b32 exec_lo, exec_lo, s2
                                        ; implicit-def: $vgpr101
	s_and_saveexec_b32 s2, s39
	s_cbranch_execnz .LBB39_319
.LBB39_186:
	s_or_b32 exec_lo, exec_lo, s2
                                        ; implicit-def: $vgpr100
	s_and_saveexec_b32 s2, s40
	s_cbranch_execnz .LBB39_320
.LBB39_187:
	s_or_b32 exec_lo, exec_lo, s2
                                        ; implicit-def: $vgpr99
	s_and_saveexec_b32 s2, s41
	s_cbranch_execnz .LBB39_321
.LBB39_188:
	s_or_b32 exec_lo, exec_lo, s2
                                        ; implicit-def: $vgpr98
	s_and_saveexec_b32 s2, s42
	s_cbranch_execnz .LBB39_322
.LBB39_189:
	s_or_b32 exec_lo, exec_lo, s2
                                        ; implicit-def: $vgpr97
	s_and_saveexec_b32 s2, s43
	s_cbranch_execnz .LBB39_323
.LBB39_190:
	s_or_b32 exec_lo, exec_lo, s2
                                        ; implicit-def: $vgpr96
	s_and_saveexec_b32 s2, s44
	s_cbranch_execnz .LBB39_324
.LBB39_191:
	s_or_b32 exec_lo, exec_lo, s2
                                        ; implicit-def: $vgpr50
	s_and_saveexec_b32 s2, s45
	s_cbranch_execnz .LBB39_325
.LBB39_192:
	s_or_b32 exec_lo, exec_lo, s2
                                        ; implicit-def: $vgpr49
	s_and_saveexec_b32 s2, s46
	s_cbranch_execz .LBB39_194
.LBB39_193:
	ds_load_u8 v49, v1 offset:7424
	s_waitcnt lgkmcnt(0)
	v_lshrrev_b32_e32 v49, s60, v49
	s_delay_alu instid0(VALU_DEP_1)
	v_and_b32_e32 v49, s68, v49
.LBB39_194:
	s_or_b32 exec_lo, exec_lo, s2
	v_lshlrev_b32_e32 v77, 3, v77
	v_lshlrev_b32_e32 v76, 3, v76
	s_waitcnt vmcnt(0)
	s_waitcnt_vscnt null, 0x0
	s_barrier
	buffer_gl0_inv
	ds_store_b64 v77, v[5:6] offset:2048
	ds_store_b64 v76, v[7:8] offset:2048
	v_lshlrev_b32_e32 v5, 3, v75
	v_lshlrev_b32_e32 v6, 3, v74
	v_lshlrev_b32_e32 v7, 3, v73
	v_lshlrev_b32_e32 v8, 3, v72
	v_lshlrev_b32_e32 v71, 3, v71
	ds_store_b64 v5, v[9:10] offset:2048
	ds_store_b64 v6, v[11:12] offset:2048
	ds_store_b64 v7, v[13:14] offset:2048
	ds_store_b64 v8, v[15:16] offset:2048
	ds_store_b64 v71, v[17:18] offset:2048
	v_lshlrev_b32_e32 v5, 3, v70
	v_lshlrev_b32_e32 v6, 3, v69
	v_lshlrev_b32_e32 v7, 3, v68
	v_lshlrev_b32_e32 v8, 3, v67
	v_lshlrev_b32_e32 v9, 3, v66
	ds_store_b64 v5, v[19:20] offset:2048
	ds_store_b64 v6, v[21:22] offset:2048
	ds_store_b64 v7, v[23:24] offset:2048
	;; [unrolled: 10-line block ×4, first 2 shown]
	ds_store_b64 v8, v[45:46] offset:2048
	ds_store_b64 v9, v[47:48] offset:2048
	s_waitcnt lgkmcnt(0)
	s_barrier
	buffer_gl0_inv
	s_and_saveexec_b32 s2, s24
	s_cbranch_execnz .LBB39_326
; %bb.195:
	s_or_b32 exec_lo, exec_lo, s2
	s_and_saveexec_b32 s2, s25
	s_cbranch_execnz .LBB39_327
.LBB39_196:
	s_or_b32 exec_lo, exec_lo, s2
	s_and_saveexec_b32 s2, s26
	s_cbranch_execnz .LBB39_328
.LBB39_197:
	s_or_b32 exec_lo, exec_lo, s2
	s_and_saveexec_b32 s2, s27
	s_cbranch_execnz .LBB39_329
.LBB39_198:
	s_or_b32 exec_lo, exec_lo, s2
	s_and_saveexec_b32 s2, s28
	s_cbranch_execnz .LBB39_330
.LBB39_199:
	s_or_b32 exec_lo, exec_lo, s2
	s_and_saveexec_b32 s2, s29
	s_cbranch_execnz .LBB39_331
.LBB39_200:
	s_or_b32 exec_lo, exec_lo, s2
	s_and_saveexec_b32 s2, s30
	s_cbranch_execnz .LBB39_332
.LBB39_201:
	s_or_b32 exec_lo, exec_lo, s2
	s_and_saveexec_b32 s2, s31
	s_cbranch_execnz .LBB39_333
.LBB39_202:
	s_or_b32 exec_lo, exec_lo, s2
	s_and_saveexec_b32 s2, s33
	s_cbranch_execnz .LBB39_334
.LBB39_203:
	s_or_b32 exec_lo, exec_lo, s2
	s_and_saveexec_b32 s2, s34
	s_cbranch_execnz .LBB39_335
.LBB39_204:
	s_or_b32 exec_lo, exec_lo, s2
	s_and_saveexec_b32 s2, s35
	s_cbranch_execnz .LBB39_336
.LBB39_205:
	s_or_b32 exec_lo, exec_lo, s2
	s_and_saveexec_b32 s2, s36
	s_cbranch_execnz .LBB39_337
.LBB39_206:
	s_or_b32 exec_lo, exec_lo, s2
	s_and_saveexec_b32 s2, s37
	s_cbranch_execnz .LBB39_338
.LBB39_207:
	s_or_b32 exec_lo, exec_lo, s2
	s_and_saveexec_b32 s2, s38
	s_cbranch_execnz .LBB39_339
.LBB39_208:
	s_or_b32 exec_lo, exec_lo, s2
	s_and_saveexec_b32 s2, s39
	s_cbranch_execnz .LBB39_340
.LBB39_209:
	s_or_b32 exec_lo, exec_lo, s2
	s_and_saveexec_b32 s2, s40
	s_cbranch_execnz .LBB39_341
.LBB39_210:
	s_or_b32 exec_lo, exec_lo, s2
	s_and_saveexec_b32 s2, s41
	s_cbranch_execnz .LBB39_342
.LBB39_211:
	s_or_b32 exec_lo, exec_lo, s2
	s_and_saveexec_b32 s2, s42
	s_cbranch_execnz .LBB39_343
.LBB39_212:
	s_or_b32 exec_lo, exec_lo, s2
	s_and_saveexec_b32 s2, s43
	s_cbranch_execnz .LBB39_344
.LBB39_213:
	s_or_b32 exec_lo, exec_lo, s2
	s_and_saveexec_b32 s2, s44
	s_cbranch_execnz .LBB39_345
.LBB39_214:
	s_or_b32 exec_lo, exec_lo, s2
	s_and_saveexec_b32 s2, s45
	s_cbranch_execnz .LBB39_346
.LBB39_215:
	s_or_b32 exec_lo, exec_lo, s2
	s_and_saveexec_b32 s2, s46
	s_cbranch_execz .LBB39_217
.LBB39_216:
	v_lshlrev_b32_e32 v5, 3, v49
	v_lshlrev_b32_e32 v7, 3, v1
	;; [unrolled: 1-line block ×3, first 2 shown]
	ds_load_b64 v[5:6], v5
	ds_load_b64 v[7:8], v7 offset:45056
	s_waitcnt lgkmcnt(1)
	v_lshlrev_b64 v[5:6], 3, v[5:6]
	s_delay_alu instid0(VALU_DEP_1) | instskip(NEXT) | instid1(VALU_DEP_2)
	v_add_co_u32 v5, vcc_lo, s54, v5
	v_add_co_ci_u32_e32 v6, vcc_lo, s55, v6, vcc_lo
	s_delay_alu instid0(VALU_DEP_2) | instskip(NEXT) | instid1(VALU_DEP_2)
	v_add_co_u32 v5, vcc_lo, v5, v9
	v_add_co_ci_u32_e32 v6, vcc_lo, 0, v6, vcc_lo
	s_waitcnt lgkmcnt(0)
	global_store_b64 v[5:6], v[7:8], off
.LBB39_217:
	s_or_b32 exec_lo, exec_lo, s2
	s_add_i32 s62, s62, -1
	s_delay_alu instid0(SALU_CYCLE_1)
	s_cmp_eq_u32 s15, s62
	s_cselect_b32 s2, -1, 0
	s_branch .LBB39_280
.LBB39_218:
	s_mov_b32 s2, 0
                                        ; implicit-def: $vgpr53
                                        ; implicit-def: $vgpr3_vgpr4
                                        ; implicit-def: $vgpr52
	s_cbranch_execz .LBB39_280
; %bb.219:
	v_dual_mov_b32 v15, 0 :: v_dual_and_b32 v12, 0xe0, v1
	s_add_u32 s2, s48, s64
	s_addc_u32 s3, s49, 0
	v_add_co_u32 v2, s2, s2, v51
	s_delay_alu instid0(VALU_DEP_2) | instskip(SKIP_3) | instid1(VALU_DEP_4)
	v_mul_u32_u24_e32 v10, 22, v12
	v_add_co_ci_u32_e64 v3, null, s3, 0, s2
	v_bfe_u32 v14, v0, 10, 10
	v_bfe_u32 v0, v0, 20, 10
	v_add_co_u32 v2, vcc_lo, v2, v10
	s_delay_alu instid0(VALU_DEP_4)
	v_add_co_ci_u32_e32 v3, vcc_lo, 0, v3, vcc_lo
	s_mov_b32 s65, 0
	global_load_u8 v11, v[2:3], off
	s_clause 0x1
	s_load_b32 s3, s[0:1], 0x5c
	s_load_b32 s2, s[0:1], 0x50
	s_add_u32 s0, s0, 0x50
	s_addc_u32 s1, s1, 0
	s_waitcnt lgkmcnt(0)
	s_lshr_b32 s3, s3, 16
	s_cmp_lt_u32 s15, s2
	v_mad_u32_u24 v0, v0, s3, v14
	s_cselect_b32 s4, 12, 18
	s_delay_alu instid0(SALU_CYCLE_1)
	s_add_u32 s0, s0, s4
	s_addc_u32 s1, s1, 0
	global_load_u16 v13, v15, s[0:1]
	s_clause 0x14
	global_load_u8 v17, v[2:3], off offset:32
	global_load_u8 v16, v[2:3], off offset:64
	;; [unrolled: 1-line block ×21, first 2 shown]
	s_lshl_b32 s0, -1, s61
	s_delay_alu instid0(SALU_CYCLE_1) | instskip(SKIP_2) | instid1(VALU_DEP_1)
	s_not_b32 s1, s0
	s_waitcnt vmcnt(22)
	v_xor_b32_e32 v11, 0x7f, v11
	v_lshrrev_b32_e32 v3, s60, v11
	s_delay_alu instid0(VALU_DEP_1) | instskip(NEXT) | instid1(VALU_DEP_1)
	v_and_b32_e32 v3, s1, v3
	v_and_b32_e32 v18, 1, v3
	v_lshlrev_b32_e32 v19, 30, v3
	v_lshlrev_b32_e32 v21, 29, v3
	;; [unrolled: 1-line block ×4, first 2 shown]
	v_add_co_u32 v18, s0, v18, -1
	s_delay_alu instid0(VALU_DEP_1)
	v_cndmask_b32_e64 v23, 0, 1, s0
	v_not_b32_e32 v29, v19
	v_cmp_gt_i32_e64 s0, 0, v19
	v_not_b32_e32 v19, v21
	v_lshlrev_b32_e32 v26, 26, v3
	v_cmp_ne_u32_e32 vcc_lo, 0, v23
	v_ashrrev_i32_e32 v29, 31, v29
	v_lshlrev_b32_e32 v27, 25, v3
	v_ashrrev_i32_e32 v19, 31, v19
	v_lshlrev_b32_e32 v23, 24, v3
	v_xor_b32_e32 v18, vcc_lo, v18
	v_cmp_gt_i32_e32 vcc_lo, 0, v21
	v_not_b32_e32 v21, v22
	v_xor_b32_e32 v29, s0, v29
	v_cmp_gt_i32_e64 s0, 0, v22
	v_and_b32_e32 v18, exec_lo, v18
	v_not_b32_e32 v22, v25
	v_ashrrev_i32_e32 v21, 31, v21
	v_xor_b32_e32 v19, vcc_lo, v19
	v_cmp_gt_i32_e32 vcc_lo, 0, v25
	v_and_b32_e32 v18, v18, v29
	v_not_b32_e32 v25, v26
	v_ashrrev_i32_e32 v22, 31, v22
	v_xor_b32_e32 v21, s0, v21
	v_cmp_gt_i32_e64 s0, 0, v26
	v_and_b32_e32 v18, v18, v19
	v_not_b32_e32 v19, v27
	v_ashrrev_i32_e32 v25, 31, v25
	v_xor_b32_e32 v22, vcc_lo, v22
	v_cmp_gt_i32_e32 vcc_lo, 0, v27
	v_and_b32_e32 v18, v18, v21
	v_not_b32_e32 v21, v23
	v_ashrrev_i32_e32 v19, 31, v19
	v_xor_b32_e32 v25, s0, v25
	v_cmp_gt_i32_e64 s0, 0, v23
	v_and_b32_e32 v18, v18, v22
	v_ashrrev_i32_e32 v21, 31, v21
	v_xor_b32_e32 v19, vcc_lo, v19
	v_mul_u32_u24_e32 v22, 9, v1
	s_delay_alu instid0(VALU_DEP_4) | instskip(NEXT) | instid1(VALU_DEP_4)
	v_and_b32_e32 v18, v18, v25
	v_xor_b32_e32 v21, s0, v21
	s_delay_alu instid0(VALU_DEP_3)
	v_lshlrev_b32_e32 v14, 2, v22
	ds_store_2addr_b32 v14, v15, v15 offset0:8 offset1:9
	ds_store_2addr_b32 v14, v15, v15 offset0:10 offset1:11
	ds_store_2addr_b32 v14, v15, v15 offset0:12 offset1:13
	ds_store_2addr_b32 v14, v15, v15 offset0:14 offset1:15
	v_and_b32_e32 v23, v18, v19
	s_waitcnt vmcnt(0)
	v_mad_u64_u32 v[18:19], null, v0, v13, v[1:2]
	ds_store_b32 v14, v15 offset:64
	v_mul_u32_u24_e32 v15, 9, v3
	v_and_b32_e32 v0, v23, v21
	s_waitcnt lgkmcnt(0)
	s_waitcnt_vscnt null, 0x0
	s_barrier
	buffer_gl0_inv
	v_lshrrev_b32_e32 v3, 5, v18
	v_mbcnt_lo_u32_b32 v13, v0, 0
	v_cmp_ne_u32_e64 s0, 0, v0
	; wave barrier
	s_delay_alu instid0(VALU_DEP_3) | instskip(NEXT) | instid1(VALU_DEP_3)
	v_add_lshl_u32 v15, v3, v15, 2
	v_cmp_eq_u32_e32 vcc_lo, 0, v13
	s_delay_alu instid0(VALU_DEP_3) | instskip(NEXT) | instid1(SALU_CYCLE_1)
	s_and_b32 s3, s0, vcc_lo
	s_and_saveexec_b32 s0, s3
	s_cbranch_execz .LBB39_221
; %bb.220:
	v_bcnt_u32_b32 v0, v0, 0
	ds_store_b32 v15, v0 offset:32
.LBB39_221:
	s_or_b32 exec_lo, exec_lo, s0
	v_xor_b32_e32 v0, 0x7f, v17
	; wave barrier
	s_delay_alu instid0(VALU_DEP_1) | instskip(NEXT) | instid1(VALU_DEP_1)
	v_and_b32_e32 v17, 0xff, v0
	v_lshrrev_b32_e32 v17, s60, v17
	s_delay_alu instid0(VALU_DEP_1) | instskip(NEXT) | instid1(VALU_DEP_1)
	v_and_b32_e32 v17, s1, v17
	v_and_b32_e32 v18, 1, v17
	v_lshlrev_b32_e32 v19, 30, v17
	v_lshlrev_b32_e32 v21, 29, v17
	;; [unrolled: 1-line block ×4, first 2 shown]
	v_add_co_u32 v18, s0, v18, -1
	s_delay_alu instid0(VALU_DEP_1)
	v_cndmask_b32_e64 v23, 0, 1, s0
	v_not_b32_e32 v29, v19
	v_cmp_gt_i32_e64 s0, 0, v19
	v_not_b32_e32 v19, v21
	v_lshlrev_b32_e32 v26, 26, v17
	v_cmp_ne_u32_e32 vcc_lo, 0, v23
	v_ashrrev_i32_e32 v29, 31, v29
	v_lshlrev_b32_e32 v27, 25, v17
	v_ashrrev_i32_e32 v19, 31, v19
	v_lshlrev_b32_e32 v23, 24, v17
	v_xor_b32_e32 v18, vcc_lo, v18
	v_cmp_gt_i32_e32 vcc_lo, 0, v21
	v_not_b32_e32 v21, v22
	v_xor_b32_e32 v29, s0, v29
	v_cmp_gt_i32_e64 s0, 0, v22
	v_and_b32_e32 v18, exec_lo, v18
	v_not_b32_e32 v22, v25
	v_ashrrev_i32_e32 v21, 31, v21
	v_xor_b32_e32 v19, vcc_lo, v19
	v_cmp_gt_i32_e32 vcc_lo, 0, v25
	v_and_b32_e32 v18, v18, v29
	v_not_b32_e32 v25, v26
	v_ashrrev_i32_e32 v22, 31, v22
	v_xor_b32_e32 v21, s0, v21
	v_cmp_gt_i32_e64 s0, 0, v26
	v_and_b32_e32 v18, v18, v19
	v_not_b32_e32 v19, v27
	v_ashrrev_i32_e32 v25, 31, v25
	v_xor_b32_e32 v22, vcc_lo, v22
	v_cmp_gt_i32_e32 vcc_lo, 0, v27
	v_and_b32_e32 v18, v18, v21
	v_not_b32_e32 v21, v23
	v_ashrrev_i32_e32 v19, 31, v19
	v_xor_b32_e32 v25, s0, v25
	v_mul_u32_u24_e32 v17, 9, v17
	v_and_b32_e32 v18, v18, v22
	v_cmp_gt_i32_e64 s0, 0, v23
	v_ashrrev_i32_e32 v21, 31, v21
	v_xor_b32_e32 v22, vcc_lo, v19
	v_add_lshl_u32 v19, v3, v17, 2
	v_and_b32_e32 v18, v18, v25
	s_delay_alu instid0(VALU_DEP_4) | instskip(SKIP_2) | instid1(VALU_DEP_1)
	v_xor_b32_e32 v21, s0, v21
	ds_load_b32 v17, v19 offset:32
	v_and_b32_e32 v18, v18, v22
	; wave barrier
	v_and_b32_e32 v21, v18, v21
	s_delay_alu instid0(VALU_DEP_1) | instskip(SKIP_1) | instid1(VALU_DEP_2)
	v_mbcnt_lo_u32_b32 v18, v21, 0
	v_cmp_ne_u32_e64 s0, 0, v21
	v_cmp_eq_u32_e32 vcc_lo, 0, v18
	s_delay_alu instid0(VALU_DEP_2) | instskip(NEXT) | instid1(SALU_CYCLE_1)
	s_and_b32 s3, s0, vcc_lo
	s_and_saveexec_b32 s0, s3
	s_cbranch_execz .LBB39_223
; %bb.222:
	s_waitcnt lgkmcnt(0)
	v_bcnt_u32_b32 v21, v21, v17
	ds_store_b32 v19, v21 offset:32
.LBB39_223:
	s_or_b32 exec_lo, exec_lo, s0
	v_xor_b32_e32 v16, 0x7f, v16
	; wave barrier
	s_delay_alu instid0(VALU_DEP_1) | instskip(NEXT) | instid1(VALU_DEP_1)
	v_and_b32_e32 v21, 0xff, v16
	v_lshrrev_b32_e32 v21, s60, v21
	s_delay_alu instid0(VALU_DEP_1) | instskip(NEXT) | instid1(VALU_DEP_1)
	v_and_b32_e32 v21, s1, v21
	v_and_b32_e32 v22, 1, v21
	v_lshlrev_b32_e32 v23, 30, v21
	v_lshlrev_b32_e32 v25, 29, v21
	;; [unrolled: 1-line block ×4, first 2 shown]
	v_add_co_u32 v22, s0, v22, -1
	s_delay_alu instid0(VALU_DEP_1)
	v_cndmask_b32_e64 v27, 0, 1, s0
	v_not_b32_e32 v33, v23
	v_cmp_gt_i32_e64 s0, 0, v23
	v_not_b32_e32 v23, v25
	v_lshlrev_b32_e32 v30, 26, v21
	v_cmp_ne_u32_e32 vcc_lo, 0, v27
	v_ashrrev_i32_e32 v33, 31, v33
	v_lshlrev_b32_e32 v31, 25, v21
	v_ashrrev_i32_e32 v23, 31, v23
	v_lshlrev_b32_e32 v27, 24, v21
	v_xor_b32_e32 v22, vcc_lo, v22
	v_cmp_gt_i32_e32 vcc_lo, 0, v25
	v_not_b32_e32 v25, v26
	v_xor_b32_e32 v33, s0, v33
	v_cmp_gt_i32_e64 s0, 0, v26
	v_and_b32_e32 v22, exec_lo, v22
	v_not_b32_e32 v26, v29
	v_ashrrev_i32_e32 v25, 31, v25
	v_xor_b32_e32 v23, vcc_lo, v23
	v_cmp_gt_i32_e32 vcc_lo, 0, v29
	v_and_b32_e32 v22, v22, v33
	v_not_b32_e32 v29, v30
	v_ashrrev_i32_e32 v26, 31, v26
	v_xor_b32_e32 v25, s0, v25
	v_cmp_gt_i32_e64 s0, 0, v30
	v_and_b32_e32 v22, v22, v23
	v_not_b32_e32 v23, v31
	v_ashrrev_i32_e32 v29, 31, v29
	v_xor_b32_e32 v26, vcc_lo, v26
	v_cmp_gt_i32_e32 vcc_lo, 0, v31
	v_and_b32_e32 v22, v22, v25
	v_not_b32_e32 v25, v27
	v_ashrrev_i32_e32 v23, 31, v23
	v_xor_b32_e32 v29, s0, v29
	v_mul_u32_u24_e32 v21, 9, v21
	v_and_b32_e32 v22, v22, v26
	v_cmp_gt_i32_e64 s0, 0, v27
	v_ashrrev_i32_e32 v25, 31, v25
	v_xor_b32_e32 v26, vcc_lo, v23
	v_add_lshl_u32 v23, v3, v21, 2
	v_and_b32_e32 v22, v22, v29
	s_delay_alu instid0(VALU_DEP_4) | instskip(SKIP_2) | instid1(VALU_DEP_1)
	v_xor_b32_e32 v25, s0, v25
	ds_load_b32 v21, v23 offset:32
	v_and_b32_e32 v22, v22, v26
	; wave barrier
	v_and_b32_e32 v25, v22, v25
	s_delay_alu instid0(VALU_DEP_1) | instskip(SKIP_1) | instid1(VALU_DEP_2)
	v_mbcnt_lo_u32_b32 v22, v25, 0
	v_cmp_ne_u32_e64 s0, 0, v25
	v_cmp_eq_u32_e32 vcc_lo, 0, v22
	s_delay_alu instid0(VALU_DEP_2) | instskip(NEXT) | instid1(SALU_CYCLE_1)
	s_and_b32 s3, s0, vcc_lo
	s_and_saveexec_b32 s0, s3
	s_cbranch_execz .LBB39_225
; %bb.224:
	s_waitcnt lgkmcnt(0)
	v_bcnt_u32_b32 v25, v25, v21
	ds_store_b32 v23, v25 offset:32
.LBB39_225:
	s_or_b32 exec_lo, exec_lo, s0
	v_xor_b32_e32 v20, 0x7f, v20
	; wave barrier
	s_delay_alu instid0(VALU_DEP_1) | instskip(NEXT) | instid1(VALU_DEP_1)
	v_and_b32_e32 v25, 0xff, v20
	v_lshrrev_b32_e32 v25, s60, v25
	s_delay_alu instid0(VALU_DEP_1) | instskip(NEXT) | instid1(VALU_DEP_1)
	v_and_b32_e32 v25, s1, v25
	v_and_b32_e32 v26, 1, v25
	v_lshlrev_b32_e32 v27, 30, v25
	v_lshlrev_b32_e32 v29, 29, v25
	;; [unrolled: 1-line block ×4, first 2 shown]
	v_add_co_u32 v26, s0, v26, -1
	s_delay_alu instid0(VALU_DEP_1)
	v_cndmask_b32_e64 v31, 0, 1, s0
	v_not_b32_e32 v37, v27
	v_cmp_gt_i32_e64 s0, 0, v27
	v_not_b32_e32 v27, v29
	v_lshlrev_b32_e32 v34, 26, v25
	v_cmp_ne_u32_e32 vcc_lo, 0, v31
	v_ashrrev_i32_e32 v37, 31, v37
	v_lshlrev_b32_e32 v35, 25, v25
	v_ashrrev_i32_e32 v27, 31, v27
	v_lshlrev_b32_e32 v31, 24, v25
	v_xor_b32_e32 v26, vcc_lo, v26
	v_cmp_gt_i32_e32 vcc_lo, 0, v29
	v_not_b32_e32 v29, v30
	v_xor_b32_e32 v37, s0, v37
	v_cmp_gt_i32_e64 s0, 0, v30
	v_and_b32_e32 v26, exec_lo, v26
	v_not_b32_e32 v30, v33
	v_ashrrev_i32_e32 v29, 31, v29
	v_xor_b32_e32 v27, vcc_lo, v27
	v_cmp_gt_i32_e32 vcc_lo, 0, v33
	v_and_b32_e32 v26, v26, v37
	v_not_b32_e32 v33, v34
	v_ashrrev_i32_e32 v30, 31, v30
	v_xor_b32_e32 v29, s0, v29
	v_cmp_gt_i32_e64 s0, 0, v34
	v_and_b32_e32 v26, v26, v27
	v_not_b32_e32 v27, v35
	v_ashrrev_i32_e32 v33, 31, v33
	v_xor_b32_e32 v30, vcc_lo, v30
	v_cmp_gt_i32_e32 vcc_lo, 0, v35
	v_and_b32_e32 v26, v26, v29
	v_not_b32_e32 v29, v31
	v_ashrrev_i32_e32 v27, 31, v27
	v_xor_b32_e32 v33, s0, v33
	v_mul_u32_u24_e32 v25, 9, v25
	v_and_b32_e32 v26, v26, v30
	v_cmp_gt_i32_e64 s0, 0, v31
	v_ashrrev_i32_e32 v29, 31, v29
	v_xor_b32_e32 v30, vcc_lo, v27
	v_add_lshl_u32 v27, v3, v25, 2
	v_and_b32_e32 v26, v26, v33
	s_delay_alu instid0(VALU_DEP_4) | instskip(SKIP_2) | instid1(VALU_DEP_1)
	v_xor_b32_e32 v29, s0, v29
	ds_load_b32 v25, v27 offset:32
	v_and_b32_e32 v26, v26, v30
	; wave barrier
	v_and_b32_e32 v29, v26, v29
	s_delay_alu instid0(VALU_DEP_1) | instskip(SKIP_1) | instid1(VALU_DEP_2)
	v_mbcnt_lo_u32_b32 v26, v29, 0
	v_cmp_ne_u32_e64 s0, 0, v29
	v_cmp_eq_u32_e32 vcc_lo, 0, v26
	s_delay_alu instid0(VALU_DEP_2) | instskip(NEXT) | instid1(SALU_CYCLE_1)
	s_and_b32 s3, s0, vcc_lo
	s_and_saveexec_b32 s0, s3
	s_cbranch_execz .LBB39_227
; %bb.226:
	s_waitcnt lgkmcnt(0)
	v_bcnt_u32_b32 v29, v29, v25
	ds_store_b32 v27, v29 offset:32
.LBB39_227:
	s_or_b32 exec_lo, exec_lo, s0
	v_xor_b32_e32 v24, 0x7f, v24
	; wave barrier
	s_delay_alu instid0(VALU_DEP_1) | instskip(NEXT) | instid1(VALU_DEP_1)
	v_and_b32_e32 v29, 0xff, v24
	v_lshrrev_b32_e32 v29, s60, v29
	s_delay_alu instid0(VALU_DEP_1) | instskip(NEXT) | instid1(VALU_DEP_1)
	v_and_b32_e32 v29, s1, v29
	v_and_b32_e32 v30, 1, v29
	v_lshlrev_b32_e32 v31, 30, v29
	v_lshlrev_b32_e32 v33, 29, v29
	;; [unrolled: 1-line block ×4, first 2 shown]
	v_add_co_u32 v30, s0, v30, -1
	s_delay_alu instid0(VALU_DEP_1)
	v_cndmask_b32_e64 v35, 0, 1, s0
	v_not_b32_e32 v41, v31
	v_cmp_gt_i32_e64 s0, 0, v31
	v_not_b32_e32 v31, v33
	v_lshlrev_b32_e32 v38, 26, v29
	v_cmp_ne_u32_e32 vcc_lo, 0, v35
	v_ashrrev_i32_e32 v41, 31, v41
	v_lshlrev_b32_e32 v39, 25, v29
	v_ashrrev_i32_e32 v31, 31, v31
	v_lshlrev_b32_e32 v35, 24, v29
	v_xor_b32_e32 v30, vcc_lo, v30
	v_cmp_gt_i32_e32 vcc_lo, 0, v33
	v_not_b32_e32 v33, v34
	v_xor_b32_e32 v41, s0, v41
	v_cmp_gt_i32_e64 s0, 0, v34
	v_and_b32_e32 v30, exec_lo, v30
	v_not_b32_e32 v34, v37
	v_ashrrev_i32_e32 v33, 31, v33
	v_xor_b32_e32 v31, vcc_lo, v31
	v_cmp_gt_i32_e32 vcc_lo, 0, v37
	v_and_b32_e32 v30, v30, v41
	v_not_b32_e32 v37, v38
	v_ashrrev_i32_e32 v34, 31, v34
	v_xor_b32_e32 v33, s0, v33
	v_cmp_gt_i32_e64 s0, 0, v38
	v_and_b32_e32 v30, v30, v31
	v_not_b32_e32 v31, v39
	v_ashrrev_i32_e32 v37, 31, v37
	v_xor_b32_e32 v34, vcc_lo, v34
	v_cmp_gt_i32_e32 vcc_lo, 0, v39
	v_and_b32_e32 v30, v30, v33
	v_not_b32_e32 v33, v35
	v_ashrrev_i32_e32 v31, 31, v31
	v_xor_b32_e32 v37, s0, v37
	v_mul_u32_u24_e32 v29, 9, v29
	v_and_b32_e32 v30, v30, v34
	v_cmp_gt_i32_e64 s0, 0, v35
	v_ashrrev_i32_e32 v33, 31, v33
	v_xor_b32_e32 v34, vcc_lo, v31
	v_add_lshl_u32 v31, v3, v29, 2
	v_and_b32_e32 v30, v30, v37
	s_delay_alu instid0(VALU_DEP_4) | instskip(SKIP_2) | instid1(VALU_DEP_1)
	v_xor_b32_e32 v33, s0, v33
	ds_load_b32 v29, v31 offset:32
	v_and_b32_e32 v30, v30, v34
	; wave barrier
	v_and_b32_e32 v33, v30, v33
	s_delay_alu instid0(VALU_DEP_1) | instskip(SKIP_1) | instid1(VALU_DEP_2)
	v_mbcnt_lo_u32_b32 v30, v33, 0
	v_cmp_ne_u32_e64 s0, 0, v33
	v_cmp_eq_u32_e32 vcc_lo, 0, v30
	s_delay_alu instid0(VALU_DEP_2) | instskip(NEXT) | instid1(SALU_CYCLE_1)
	s_and_b32 s3, s0, vcc_lo
	s_and_saveexec_b32 s0, s3
	s_cbranch_execz .LBB39_229
; %bb.228:
	s_waitcnt lgkmcnt(0)
	v_bcnt_u32_b32 v33, v33, v29
	ds_store_b32 v31, v33 offset:32
.LBB39_229:
	s_or_b32 exec_lo, exec_lo, s0
	v_xor_b32_e32 v28, 0x7f, v28
	; wave barrier
	s_delay_alu instid0(VALU_DEP_1) | instskip(NEXT) | instid1(VALU_DEP_1)
	v_and_b32_e32 v33, 0xff, v28
	v_lshrrev_b32_e32 v33, s60, v33
	s_delay_alu instid0(VALU_DEP_1) | instskip(NEXT) | instid1(VALU_DEP_1)
	v_and_b32_e32 v33, s1, v33
	v_and_b32_e32 v34, 1, v33
	v_lshlrev_b32_e32 v35, 30, v33
	v_lshlrev_b32_e32 v37, 29, v33
	v_lshlrev_b32_e32 v38, 28, v33
	v_lshlrev_b32_e32 v41, 27, v33
	v_add_co_u32 v34, s0, v34, -1
	s_delay_alu instid0(VALU_DEP_1)
	v_cndmask_b32_e64 v39, 0, 1, s0
	v_not_b32_e32 v45, v35
	v_cmp_gt_i32_e64 s0, 0, v35
	v_not_b32_e32 v35, v37
	v_lshlrev_b32_e32 v42, 26, v33
	v_cmp_ne_u32_e32 vcc_lo, 0, v39
	v_ashrrev_i32_e32 v45, 31, v45
	v_lshlrev_b32_e32 v43, 25, v33
	v_ashrrev_i32_e32 v35, 31, v35
	v_lshlrev_b32_e32 v39, 24, v33
	v_xor_b32_e32 v34, vcc_lo, v34
	v_cmp_gt_i32_e32 vcc_lo, 0, v37
	v_not_b32_e32 v37, v38
	v_xor_b32_e32 v45, s0, v45
	v_cmp_gt_i32_e64 s0, 0, v38
	v_and_b32_e32 v34, exec_lo, v34
	v_not_b32_e32 v38, v41
	v_ashrrev_i32_e32 v37, 31, v37
	v_xor_b32_e32 v35, vcc_lo, v35
	v_cmp_gt_i32_e32 vcc_lo, 0, v41
	v_and_b32_e32 v34, v34, v45
	v_not_b32_e32 v41, v42
	v_ashrrev_i32_e32 v38, 31, v38
	v_xor_b32_e32 v37, s0, v37
	v_cmp_gt_i32_e64 s0, 0, v42
	v_and_b32_e32 v34, v34, v35
	v_not_b32_e32 v35, v43
	v_ashrrev_i32_e32 v41, 31, v41
	v_xor_b32_e32 v38, vcc_lo, v38
	v_cmp_gt_i32_e32 vcc_lo, 0, v43
	v_and_b32_e32 v34, v34, v37
	v_not_b32_e32 v37, v39
	v_ashrrev_i32_e32 v35, 31, v35
	v_xor_b32_e32 v41, s0, v41
	v_mul_u32_u24_e32 v33, 9, v33
	v_and_b32_e32 v34, v34, v38
	v_cmp_gt_i32_e64 s0, 0, v39
	v_ashrrev_i32_e32 v37, 31, v37
	v_xor_b32_e32 v38, vcc_lo, v35
	v_add_lshl_u32 v35, v3, v33, 2
	v_and_b32_e32 v34, v34, v41
	s_delay_alu instid0(VALU_DEP_4) | instskip(SKIP_2) | instid1(VALU_DEP_1)
	v_xor_b32_e32 v37, s0, v37
	ds_load_b32 v33, v35 offset:32
	v_and_b32_e32 v34, v34, v38
	; wave barrier
	v_and_b32_e32 v37, v34, v37
	s_delay_alu instid0(VALU_DEP_1) | instskip(SKIP_1) | instid1(VALU_DEP_2)
	v_mbcnt_lo_u32_b32 v34, v37, 0
	v_cmp_ne_u32_e64 s0, 0, v37
	v_cmp_eq_u32_e32 vcc_lo, 0, v34
	s_delay_alu instid0(VALU_DEP_2) | instskip(NEXT) | instid1(SALU_CYCLE_1)
	s_and_b32 s3, s0, vcc_lo
	s_and_saveexec_b32 s0, s3
	s_cbranch_execz .LBB39_231
; %bb.230:
	s_waitcnt lgkmcnt(0)
	v_bcnt_u32_b32 v37, v37, v33
	ds_store_b32 v35, v37 offset:32
.LBB39_231:
	s_or_b32 exec_lo, exec_lo, s0
	v_xor_b32_e32 v32, 0x7f, v32
	; wave barrier
	s_delay_alu instid0(VALU_DEP_1) | instskip(NEXT) | instid1(VALU_DEP_1)
	v_and_b32_e32 v37, 0xff, v32
	v_lshrrev_b32_e32 v37, s60, v37
	s_delay_alu instid0(VALU_DEP_1) | instskip(NEXT) | instid1(VALU_DEP_1)
	v_and_b32_e32 v37, s1, v37
	v_and_b32_e32 v38, 1, v37
	v_lshlrev_b32_e32 v39, 30, v37
	v_lshlrev_b32_e32 v41, 29, v37
	;; [unrolled: 1-line block ×4, first 2 shown]
	v_add_co_u32 v38, s0, v38, -1
	s_delay_alu instid0(VALU_DEP_1)
	v_cndmask_b32_e64 v43, 0, 1, s0
	v_not_b32_e32 v50, v39
	v_cmp_gt_i32_e64 s0, 0, v39
	v_not_b32_e32 v39, v41
	v_lshlrev_b32_e32 v46, 26, v37
	v_cmp_ne_u32_e32 vcc_lo, 0, v43
	v_ashrrev_i32_e32 v50, 31, v50
	v_lshlrev_b32_e32 v47, 25, v37
	v_ashrrev_i32_e32 v39, 31, v39
	v_lshlrev_b32_e32 v43, 24, v37
	v_xor_b32_e32 v38, vcc_lo, v38
	v_cmp_gt_i32_e32 vcc_lo, 0, v41
	v_not_b32_e32 v41, v42
	v_xor_b32_e32 v50, s0, v50
	v_cmp_gt_i32_e64 s0, 0, v42
	v_and_b32_e32 v38, exec_lo, v38
	v_not_b32_e32 v42, v45
	v_ashrrev_i32_e32 v41, 31, v41
	v_xor_b32_e32 v39, vcc_lo, v39
	v_cmp_gt_i32_e32 vcc_lo, 0, v45
	v_and_b32_e32 v38, v38, v50
	v_not_b32_e32 v45, v46
	v_ashrrev_i32_e32 v42, 31, v42
	v_xor_b32_e32 v41, s0, v41
	v_cmp_gt_i32_e64 s0, 0, v46
	v_and_b32_e32 v38, v38, v39
	v_not_b32_e32 v39, v47
	v_ashrrev_i32_e32 v45, 31, v45
	v_xor_b32_e32 v42, vcc_lo, v42
	v_cmp_gt_i32_e32 vcc_lo, 0, v47
	v_and_b32_e32 v38, v38, v41
	v_not_b32_e32 v41, v43
	v_ashrrev_i32_e32 v39, 31, v39
	v_xor_b32_e32 v45, s0, v45
	v_mul_u32_u24_e32 v37, 9, v37
	v_and_b32_e32 v38, v38, v42
	v_cmp_gt_i32_e64 s0, 0, v43
	v_ashrrev_i32_e32 v41, 31, v41
	v_xor_b32_e32 v42, vcc_lo, v39
	v_add_lshl_u32 v39, v3, v37, 2
	v_and_b32_e32 v38, v38, v45
	s_delay_alu instid0(VALU_DEP_4) | instskip(SKIP_2) | instid1(VALU_DEP_1)
	v_xor_b32_e32 v41, s0, v41
	ds_load_b32 v37, v39 offset:32
	v_and_b32_e32 v38, v38, v42
	; wave barrier
	v_and_b32_e32 v41, v38, v41
	s_delay_alu instid0(VALU_DEP_1) | instskip(SKIP_1) | instid1(VALU_DEP_2)
	v_mbcnt_lo_u32_b32 v38, v41, 0
	v_cmp_ne_u32_e64 s0, 0, v41
	v_cmp_eq_u32_e32 vcc_lo, 0, v38
	s_delay_alu instid0(VALU_DEP_2) | instskip(NEXT) | instid1(SALU_CYCLE_1)
	s_and_b32 s3, s0, vcc_lo
	s_and_saveexec_b32 s0, s3
	s_cbranch_execz .LBB39_233
; %bb.232:
	s_waitcnt lgkmcnt(0)
	v_bcnt_u32_b32 v41, v41, v37
	ds_store_b32 v39, v41 offset:32
.LBB39_233:
	s_or_b32 exec_lo, exec_lo, s0
	v_xor_b32_e32 v36, 0x7f, v36
	; wave barrier
	s_delay_alu instid0(VALU_DEP_1) | instskip(NEXT) | instid1(VALU_DEP_1)
	v_and_b32_e32 v41, 0xff, v36
	v_lshrrev_b32_e32 v41, s60, v41
	s_delay_alu instid0(VALU_DEP_1) | instskip(NEXT) | instid1(VALU_DEP_1)
	v_and_b32_e32 v41, s1, v41
	v_and_b32_e32 v42, 1, v41
	v_lshlrev_b32_e32 v43, 30, v41
	v_lshlrev_b32_e32 v45, 29, v41
	;; [unrolled: 1-line block ×4, first 2 shown]
	v_add_co_u32 v42, s0, v42, -1
	s_delay_alu instid0(VALU_DEP_1)
	v_cndmask_b32_e64 v47, 0, 1, s0
	v_not_b32_e32 v56, v43
	v_cmp_gt_i32_e64 s0, 0, v43
	v_not_b32_e32 v43, v45
	v_lshlrev_b32_e32 v52, 26, v41
	v_cmp_ne_u32_e32 vcc_lo, 0, v47
	v_ashrrev_i32_e32 v56, 31, v56
	v_lshlrev_b32_e32 v53, 25, v41
	v_ashrrev_i32_e32 v43, 31, v43
	v_lshlrev_b32_e32 v47, 24, v41
	v_xor_b32_e32 v42, vcc_lo, v42
	v_cmp_gt_i32_e32 vcc_lo, 0, v45
	v_not_b32_e32 v45, v46
	v_xor_b32_e32 v56, s0, v56
	v_cmp_gt_i32_e64 s0, 0, v46
	v_and_b32_e32 v42, exec_lo, v42
	v_not_b32_e32 v46, v50
	v_ashrrev_i32_e32 v45, 31, v45
	v_xor_b32_e32 v43, vcc_lo, v43
	v_cmp_gt_i32_e32 vcc_lo, 0, v50
	v_and_b32_e32 v42, v42, v56
	v_not_b32_e32 v50, v52
	v_ashrrev_i32_e32 v46, 31, v46
	v_xor_b32_e32 v45, s0, v45
	v_cmp_gt_i32_e64 s0, 0, v52
	v_and_b32_e32 v42, v42, v43
	v_not_b32_e32 v43, v53
	v_ashrrev_i32_e32 v50, 31, v50
	v_xor_b32_e32 v46, vcc_lo, v46
	v_cmp_gt_i32_e32 vcc_lo, 0, v53
	v_and_b32_e32 v42, v42, v45
	v_not_b32_e32 v45, v47
	v_ashrrev_i32_e32 v43, 31, v43
	v_xor_b32_e32 v50, s0, v50
	v_mul_u32_u24_e32 v41, 9, v41
	v_and_b32_e32 v42, v42, v46
	v_cmp_gt_i32_e64 s0, 0, v47
	v_ashrrev_i32_e32 v45, 31, v45
	v_xor_b32_e32 v46, vcc_lo, v43
	v_add_lshl_u32 v43, v3, v41, 2
	v_and_b32_e32 v42, v42, v50
	s_delay_alu instid0(VALU_DEP_4) | instskip(SKIP_2) | instid1(VALU_DEP_1)
	v_xor_b32_e32 v45, s0, v45
	ds_load_b32 v41, v43 offset:32
	v_and_b32_e32 v42, v42, v46
	; wave barrier
	v_and_b32_e32 v45, v42, v45
	s_delay_alu instid0(VALU_DEP_1) | instskip(SKIP_1) | instid1(VALU_DEP_2)
	v_mbcnt_lo_u32_b32 v42, v45, 0
	v_cmp_ne_u32_e64 s0, 0, v45
	v_cmp_eq_u32_e32 vcc_lo, 0, v42
	s_delay_alu instid0(VALU_DEP_2) | instskip(NEXT) | instid1(SALU_CYCLE_1)
	s_and_b32 s3, s0, vcc_lo
	s_and_saveexec_b32 s0, s3
	s_cbranch_execz .LBB39_235
; %bb.234:
	s_waitcnt lgkmcnt(0)
	v_bcnt_u32_b32 v45, v45, v41
	ds_store_b32 v43, v45 offset:32
.LBB39_235:
	s_or_b32 exec_lo, exec_lo, s0
	v_xor_b32_e32 v40, 0x7f, v40
	; wave barrier
	s_delay_alu instid0(VALU_DEP_1) | instskip(NEXT) | instid1(VALU_DEP_1)
	v_and_b32_e32 v45, 0xff, v40
	v_lshrrev_b32_e32 v45, s60, v45
	s_delay_alu instid0(VALU_DEP_1) | instskip(NEXT) | instid1(VALU_DEP_1)
	v_and_b32_e32 v45, s1, v45
	v_and_b32_e32 v46, 1, v45
	v_lshlrev_b32_e32 v47, 30, v45
	v_lshlrev_b32_e32 v50, 29, v45
	;; [unrolled: 1-line block ×4, first 2 shown]
	v_add_co_u32 v46, s0, v46, -1
	s_delay_alu instid0(VALU_DEP_1)
	v_cndmask_b32_e64 v53, 0, 1, s0
	v_not_b32_e32 v60, v47
	v_cmp_gt_i32_e64 s0, 0, v47
	v_not_b32_e32 v47, v50
	v_lshlrev_b32_e32 v57, 26, v45
	v_cmp_ne_u32_e32 vcc_lo, 0, v53
	v_ashrrev_i32_e32 v60, 31, v60
	v_lshlrev_b32_e32 v58, 25, v45
	v_ashrrev_i32_e32 v47, 31, v47
	v_lshlrev_b32_e32 v53, 24, v45
	v_xor_b32_e32 v46, vcc_lo, v46
	v_cmp_gt_i32_e32 vcc_lo, 0, v50
	v_not_b32_e32 v50, v52
	v_xor_b32_e32 v60, s0, v60
	v_cmp_gt_i32_e64 s0, 0, v52
	v_and_b32_e32 v46, exec_lo, v46
	v_not_b32_e32 v52, v56
	v_ashrrev_i32_e32 v50, 31, v50
	v_xor_b32_e32 v47, vcc_lo, v47
	v_cmp_gt_i32_e32 vcc_lo, 0, v56
	v_and_b32_e32 v46, v46, v60
	v_not_b32_e32 v56, v57
	v_ashrrev_i32_e32 v52, 31, v52
	v_xor_b32_e32 v50, s0, v50
	v_cmp_gt_i32_e64 s0, 0, v57
	v_and_b32_e32 v46, v46, v47
	v_not_b32_e32 v47, v58
	v_ashrrev_i32_e32 v56, 31, v56
	v_xor_b32_e32 v52, vcc_lo, v52
	v_cmp_gt_i32_e32 vcc_lo, 0, v58
	v_and_b32_e32 v46, v46, v50
	v_not_b32_e32 v50, v53
	v_ashrrev_i32_e32 v47, 31, v47
	v_xor_b32_e32 v56, s0, v56
	v_mul_u32_u24_e32 v45, 9, v45
	v_and_b32_e32 v46, v46, v52
	v_cmp_gt_i32_e64 s0, 0, v53
	v_ashrrev_i32_e32 v50, 31, v50
	v_xor_b32_e32 v52, vcc_lo, v47
	v_add_lshl_u32 v47, v3, v45, 2
	v_and_b32_e32 v46, v46, v56
	s_delay_alu instid0(VALU_DEP_4) | instskip(SKIP_2) | instid1(VALU_DEP_1)
	v_xor_b32_e32 v50, s0, v50
	ds_load_b32 v45, v47 offset:32
	v_and_b32_e32 v46, v46, v52
	; wave barrier
	v_and_b32_e32 v50, v46, v50
	s_delay_alu instid0(VALU_DEP_1) | instskip(SKIP_1) | instid1(VALU_DEP_2)
	v_mbcnt_lo_u32_b32 v46, v50, 0
	v_cmp_ne_u32_e64 s0, 0, v50
	v_cmp_eq_u32_e32 vcc_lo, 0, v46
	s_delay_alu instid0(VALU_DEP_2) | instskip(NEXT) | instid1(SALU_CYCLE_1)
	s_and_b32 s3, s0, vcc_lo
	s_and_saveexec_b32 s0, s3
	s_cbranch_execz .LBB39_237
; %bb.236:
	s_waitcnt lgkmcnt(0)
	v_bcnt_u32_b32 v50, v50, v45
	ds_store_b32 v47, v50 offset:32
.LBB39_237:
	s_or_b32 exec_lo, exec_lo, s0
	v_xor_b32_e32 v44, 0x7f, v44
	; wave barrier
	s_delay_alu instid0(VALU_DEP_1) | instskip(NEXT) | instid1(VALU_DEP_1)
	v_and_b32_e32 v50, 0xff, v44
	v_lshrrev_b32_e32 v50, s60, v50
	s_delay_alu instid0(VALU_DEP_1) | instskip(NEXT) | instid1(VALU_DEP_1)
	v_and_b32_e32 v50, s1, v50
	v_and_b32_e32 v52, 1, v50
	v_lshlrev_b32_e32 v53, 30, v50
	v_lshlrev_b32_e32 v56, 29, v50
	;; [unrolled: 1-line block ×4, first 2 shown]
	v_add_co_u32 v52, s0, v52, -1
	s_delay_alu instid0(VALU_DEP_1)
	v_cndmask_b32_e64 v58, 0, 1, s0
	v_not_b32_e32 v63, v53
	v_cmp_gt_i32_e64 s0, 0, v53
	v_not_b32_e32 v53, v56
	v_lshlrev_b32_e32 v61, 26, v50
	v_cmp_ne_u32_e32 vcc_lo, 0, v58
	v_ashrrev_i32_e32 v63, 31, v63
	v_lshlrev_b32_e32 v62, 25, v50
	v_ashrrev_i32_e32 v53, 31, v53
	v_lshlrev_b32_e32 v58, 24, v50
	v_xor_b32_e32 v52, vcc_lo, v52
	v_cmp_gt_i32_e32 vcc_lo, 0, v56
	v_not_b32_e32 v56, v57
	v_xor_b32_e32 v63, s0, v63
	v_cmp_gt_i32_e64 s0, 0, v57
	v_and_b32_e32 v52, exec_lo, v52
	v_not_b32_e32 v57, v60
	v_ashrrev_i32_e32 v56, 31, v56
	v_xor_b32_e32 v53, vcc_lo, v53
	v_cmp_gt_i32_e32 vcc_lo, 0, v60
	v_and_b32_e32 v52, v52, v63
	v_not_b32_e32 v60, v61
	v_ashrrev_i32_e32 v57, 31, v57
	v_xor_b32_e32 v56, s0, v56
	v_cmp_gt_i32_e64 s0, 0, v61
	v_and_b32_e32 v52, v52, v53
	v_not_b32_e32 v53, v62
	v_ashrrev_i32_e32 v60, 31, v60
	v_xor_b32_e32 v57, vcc_lo, v57
	v_cmp_gt_i32_e32 vcc_lo, 0, v62
	v_and_b32_e32 v52, v52, v56
	v_not_b32_e32 v56, v58
	v_ashrrev_i32_e32 v53, 31, v53
	v_xor_b32_e32 v60, s0, v60
	v_mul_u32_u24_e32 v50, 9, v50
	v_and_b32_e32 v52, v52, v57
	v_cmp_gt_i32_e64 s0, 0, v58
	v_ashrrev_i32_e32 v56, 31, v56
	v_xor_b32_e32 v57, vcc_lo, v53
	v_add_lshl_u32 v53, v3, v50, 2
	v_and_b32_e32 v52, v52, v60
	s_delay_alu instid0(VALU_DEP_4) | instskip(SKIP_2) | instid1(VALU_DEP_1)
	v_xor_b32_e32 v56, s0, v56
	ds_load_b32 v50, v53 offset:32
	v_and_b32_e32 v52, v52, v57
	; wave barrier
	v_and_b32_e32 v56, v52, v56
	s_delay_alu instid0(VALU_DEP_1) | instskip(SKIP_1) | instid1(VALU_DEP_2)
	v_mbcnt_lo_u32_b32 v52, v56, 0
	v_cmp_ne_u32_e64 s0, 0, v56
	v_cmp_eq_u32_e32 vcc_lo, 0, v52
	s_delay_alu instid0(VALU_DEP_2) | instskip(NEXT) | instid1(SALU_CYCLE_1)
	s_and_b32 s3, s0, vcc_lo
	s_and_saveexec_b32 s0, s3
	s_cbranch_execz .LBB39_239
; %bb.238:
	s_waitcnt lgkmcnt(0)
	v_bcnt_u32_b32 v56, v56, v50
	ds_store_b32 v53, v56 offset:32
.LBB39_239:
	s_or_b32 exec_lo, exec_lo, s0
	v_xor_b32_e32 v49, 0x7f, v49
	; wave barrier
	s_delay_alu instid0(VALU_DEP_1) | instskip(NEXT) | instid1(VALU_DEP_1)
	v_and_b32_e32 v56, 0xff, v49
	v_lshrrev_b32_e32 v56, s60, v56
	s_delay_alu instid0(VALU_DEP_1) | instskip(NEXT) | instid1(VALU_DEP_1)
	v_and_b32_e32 v56, s1, v56
	v_and_b32_e32 v57, 1, v56
	v_lshlrev_b32_e32 v58, 30, v56
	v_lshlrev_b32_e32 v60, 29, v56
	v_lshlrev_b32_e32 v61, 28, v56
	v_lshlrev_b32_e32 v63, 27, v56
	v_add_co_u32 v57, s0, v57, -1
	s_delay_alu instid0(VALU_DEP_1)
	v_cndmask_b32_e64 v62, 0, 1, s0
	v_not_b32_e32 v66, v58
	v_cmp_gt_i32_e64 s0, 0, v58
	v_not_b32_e32 v58, v60
	v_lshlrev_b32_e32 v64, 26, v56
	v_cmp_ne_u32_e32 vcc_lo, 0, v62
	v_ashrrev_i32_e32 v66, 31, v66
	v_lshlrev_b32_e32 v65, 25, v56
	v_ashrrev_i32_e32 v58, 31, v58
	v_lshlrev_b32_e32 v62, 24, v56
	v_xor_b32_e32 v57, vcc_lo, v57
	v_cmp_gt_i32_e32 vcc_lo, 0, v60
	v_not_b32_e32 v60, v61
	v_xor_b32_e32 v66, s0, v66
	v_cmp_gt_i32_e64 s0, 0, v61
	v_and_b32_e32 v57, exec_lo, v57
	v_not_b32_e32 v61, v63
	v_ashrrev_i32_e32 v60, 31, v60
	v_xor_b32_e32 v58, vcc_lo, v58
	v_cmp_gt_i32_e32 vcc_lo, 0, v63
	v_and_b32_e32 v57, v57, v66
	v_not_b32_e32 v63, v64
	v_ashrrev_i32_e32 v61, 31, v61
	v_xor_b32_e32 v60, s0, v60
	v_cmp_gt_i32_e64 s0, 0, v64
	v_and_b32_e32 v57, v57, v58
	v_not_b32_e32 v58, v65
	v_ashrrev_i32_e32 v63, 31, v63
	v_xor_b32_e32 v61, vcc_lo, v61
	v_cmp_gt_i32_e32 vcc_lo, 0, v65
	v_and_b32_e32 v57, v57, v60
	v_not_b32_e32 v60, v62
	v_ashrrev_i32_e32 v58, 31, v58
	v_xor_b32_e32 v63, s0, v63
	v_mul_u32_u24_e32 v56, 9, v56
	v_and_b32_e32 v57, v57, v61
	v_cmp_gt_i32_e64 s0, 0, v62
	v_ashrrev_i32_e32 v60, 31, v60
	v_xor_b32_e32 v61, vcc_lo, v58
	v_add_lshl_u32 v58, v3, v56, 2
	v_and_b32_e32 v57, v57, v63
	s_delay_alu instid0(VALU_DEP_4) | instskip(SKIP_2) | instid1(VALU_DEP_1)
	v_xor_b32_e32 v60, s0, v60
	ds_load_b32 v56, v58 offset:32
	v_and_b32_e32 v57, v57, v61
	; wave barrier
	v_and_b32_e32 v60, v57, v60
	s_delay_alu instid0(VALU_DEP_1) | instskip(SKIP_1) | instid1(VALU_DEP_2)
	v_mbcnt_lo_u32_b32 v57, v60, 0
	v_cmp_ne_u32_e64 s0, 0, v60
	v_cmp_eq_u32_e32 vcc_lo, 0, v57
	s_delay_alu instid0(VALU_DEP_2) | instskip(NEXT) | instid1(SALU_CYCLE_1)
	s_and_b32 s3, s0, vcc_lo
	s_and_saveexec_b32 s0, s3
	s_cbranch_execz .LBB39_241
; %bb.240:
	s_waitcnt lgkmcnt(0)
	v_bcnt_u32_b32 v60, v60, v56
	ds_store_b32 v58, v60 offset:32
.LBB39_241:
	s_or_b32 exec_lo, exec_lo, s0
	v_xor_b32_e32 v55, 0x7f, v55
	; wave barrier
	s_delay_alu instid0(VALU_DEP_1) | instskip(NEXT) | instid1(VALU_DEP_1)
	v_and_b32_e32 v60, 0xff, v55
	v_lshrrev_b32_e32 v60, s60, v60
	s_delay_alu instid0(VALU_DEP_1) | instskip(NEXT) | instid1(VALU_DEP_1)
	v_and_b32_e32 v60, s1, v60
	v_and_b32_e32 v61, 1, v60
	v_lshlrev_b32_e32 v62, 30, v60
	v_lshlrev_b32_e32 v63, 29, v60
	;; [unrolled: 1-line block ×4, first 2 shown]
	v_add_co_u32 v61, s0, v61, -1
	s_delay_alu instid0(VALU_DEP_1)
	v_cndmask_b32_e64 v65, 0, 1, s0
	v_not_b32_e32 v69, v62
	v_cmp_gt_i32_e64 s0, 0, v62
	v_not_b32_e32 v62, v63
	v_lshlrev_b32_e32 v67, 26, v60
	v_cmp_ne_u32_e32 vcc_lo, 0, v65
	v_ashrrev_i32_e32 v69, 31, v69
	v_lshlrev_b32_e32 v68, 25, v60
	v_ashrrev_i32_e32 v62, 31, v62
	v_lshlrev_b32_e32 v65, 24, v60
	v_xor_b32_e32 v61, vcc_lo, v61
	v_cmp_gt_i32_e32 vcc_lo, 0, v63
	v_not_b32_e32 v63, v64
	v_xor_b32_e32 v69, s0, v69
	v_cmp_gt_i32_e64 s0, 0, v64
	v_and_b32_e32 v61, exec_lo, v61
	v_not_b32_e32 v64, v66
	v_ashrrev_i32_e32 v63, 31, v63
	v_xor_b32_e32 v62, vcc_lo, v62
	v_cmp_gt_i32_e32 vcc_lo, 0, v66
	v_and_b32_e32 v61, v61, v69
	v_not_b32_e32 v66, v67
	v_ashrrev_i32_e32 v64, 31, v64
	v_xor_b32_e32 v63, s0, v63
	v_cmp_gt_i32_e64 s0, 0, v67
	v_and_b32_e32 v61, v61, v62
	v_not_b32_e32 v62, v68
	v_ashrrev_i32_e32 v66, 31, v66
	v_xor_b32_e32 v64, vcc_lo, v64
	v_cmp_gt_i32_e32 vcc_lo, 0, v68
	v_and_b32_e32 v61, v61, v63
	v_not_b32_e32 v63, v65
	v_ashrrev_i32_e32 v62, 31, v62
	v_xor_b32_e32 v66, s0, v66
	v_mul_u32_u24_e32 v60, 9, v60
	v_and_b32_e32 v61, v61, v64
	v_cmp_gt_i32_e64 s0, 0, v65
	v_ashrrev_i32_e32 v63, 31, v63
	v_xor_b32_e32 v64, vcc_lo, v62
	v_add_lshl_u32 v62, v3, v60, 2
	v_and_b32_e32 v61, v61, v66
	s_delay_alu instid0(VALU_DEP_4) | instskip(SKIP_2) | instid1(VALU_DEP_1)
	v_xor_b32_e32 v63, s0, v63
	ds_load_b32 v60, v62 offset:32
	v_and_b32_e32 v61, v61, v64
	; wave barrier
	v_and_b32_e32 v63, v61, v63
	s_delay_alu instid0(VALU_DEP_1) | instskip(SKIP_1) | instid1(VALU_DEP_2)
	v_mbcnt_lo_u32_b32 v61, v63, 0
	v_cmp_ne_u32_e64 s0, 0, v63
	v_cmp_eq_u32_e32 vcc_lo, 0, v61
	s_delay_alu instid0(VALU_DEP_2) | instskip(NEXT) | instid1(SALU_CYCLE_1)
	s_and_b32 s3, s0, vcc_lo
	s_and_saveexec_b32 s0, s3
	s_cbranch_execz .LBB39_243
; %bb.242:
	s_waitcnt lgkmcnt(0)
	v_bcnt_u32_b32 v63, v63, v60
	ds_store_b32 v62, v63 offset:32
.LBB39_243:
	s_or_b32 exec_lo, exec_lo, s0
	v_xor_b32_e32 v59, 0x7f, v59
	; wave barrier
	s_delay_alu instid0(VALU_DEP_1) | instskip(NEXT) | instid1(VALU_DEP_1)
	v_and_b32_e32 v63, 0xff, v59
	v_lshrrev_b32_e32 v63, s60, v63
	s_delay_alu instid0(VALU_DEP_1) | instskip(NEXT) | instid1(VALU_DEP_1)
	v_and_b32_e32 v63, s1, v63
	v_and_b32_e32 v64, 1, v63
	v_lshlrev_b32_e32 v65, 30, v63
	v_lshlrev_b32_e32 v66, 29, v63
	;; [unrolled: 1-line block ×4, first 2 shown]
	v_add_co_u32 v64, s0, v64, -1
	s_delay_alu instid0(VALU_DEP_1)
	v_cndmask_b32_e64 v68, 0, 1, s0
	v_not_b32_e32 v72, v65
	v_cmp_gt_i32_e64 s0, 0, v65
	v_not_b32_e32 v65, v66
	v_lshlrev_b32_e32 v70, 26, v63
	v_cmp_ne_u32_e32 vcc_lo, 0, v68
	v_ashrrev_i32_e32 v72, 31, v72
	v_lshlrev_b32_e32 v71, 25, v63
	v_ashrrev_i32_e32 v65, 31, v65
	v_lshlrev_b32_e32 v68, 24, v63
	v_xor_b32_e32 v64, vcc_lo, v64
	v_cmp_gt_i32_e32 vcc_lo, 0, v66
	v_not_b32_e32 v66, v67
	v_xor_b32_e32 v72, s0, v72
	v_cmp_gt_i32_e64 s0, 0, v67
	v_and_b32_e32 v64, exec_lo, v64
	v_not_b32_e32 v67, v69
	v_ashrrev_i32_e32 v66, 31, v66
	v_xor_b32_e32 v65, vcc_lo, v65
	v_cmp_gt_i32_e32 vcc_lo, 0, v69
	v_and_b32_e32 v64, v64, v72
	v_not_b32_e32 v69, v70
	v_ashrrev_i32_e32 v67, 31, v67
	v_xor_b32_e32 v66, s0, v66
	v_cmp_gt_i32_e64 s0, 0, v70
	v_and_b32_e32 v64, v64, v65
	v_not_b32_e32 v65, v71
	v_ashrrev_i32_e32 v69, 31, v69
	v_xor_b32_e32 v67, vcc_lo, v67
	v_cmp_gt_i32_e32 vcc_lo, 0, v71
	v_and_b32_e32 v64, v64, v66
	v_not_b32_e32 v66, v68
	v_ashrrev_i32_e32 v65, 31, v65
	v_xor_b32_e32 v69, s0, v69
	v_mul_u32_u24_e32 v63, 9, v63
	v_and_b32_e32 v64, v64, v67
	v_cmp_gt_i32_e64 s0, 0, v68
	v_ashrrev_i32_e32 v66, 31, v66
	v_xor_b32_e32 v67, vcc_lo, v65
	v_add_lshl_u32 v65, v3, v63, 2
	v_and_b32_e32 v64, v64, v69
	s_delay_alu instid0(VALU_DEP_4) | instskip(SKIP_2) | instid1(VALU_DEP_1)
	v_xor_b32_e32 v66, s0, v66
	ds_load_b32 v63, v65 offset:32
	v_and_b32_e32 v64, v64, v67
	; wave barrier
	v_and_b32_e32 v66, v64, v66
	s_delay_alu instid0(VALU_DEP_1) | instskip(SKIP_1) | instid1(VALU_DEP_2)
	v_mbcnt_lo_u32_b32 v64, v66, 0
	v_cmp_ne_u32_e64 s0, 0, v66
	v_cmp_eq_u32_e32 vcc_lo, 0, v64
	s_delay_alu instid0(VALU_DEP_2) | instskip(NEXT) | instid1(SALU_CYCLE_1)
	s_and_b32 s3, s0, vcc_lo
	s_and_saveexec_b32 s0, s3
	s_cbranch_execz .LBB39_245
; %bb.244:
	s_waitcnt lgkmcnt(0)
	v_bcnt_u32_b32 v66, v66, v63
	ds_store_b32 v65, v66 offset:32
.LBB39_245:
	s_or_b32 exec_lo, exec_lo, s0
	v_xor_b32_e32 v54, 0x7f, v54
	; wave barrier
	s_delay_alu instid0(VALU_DEP_1) | instskip(NEXT) | instid1(VALU_DEP_1)
	v_and_b32_e32 v66, 0xff, v54
	v_lshrrev_b32_e32 v66, s60, v66
	s_delay_alu instid0(VALU_DEP_1) | instskip(NEXT) | instid1(VALU_DEP_1)
	v_and_b32_e32 v66, s1, v66
	v_and_b32_e32 v67, 1, v66
	v_lshlrev_b32_e32 v68, 30, v66
	v_lshlrev_b32_e32 v69, 29, v66
	;; [unrolled: 1-line block ×4, first 2 shown]
	v_add_co_u32 v67, s0, v67, -1
	s_delay_alu instid0(VALU_DEP_1)
	v_cndmask_b32_e64 v71, 0, 1, s0
	v_not_b32_e32 v75, v68
	v_cmp_gt_i32_e64 s0, 0, v68
	v_not_b32_e32 v68, v69
	v_lshlrev_b32_e32 v73, 26, v66
	v_cmp_ne_u32_e32 vcc_lo, 0, v71
	v_ashrrev_i32_e32 v75, 31, v75
	v_lshlrev_b32_e32 v74, 25, v66
	v_ashrrev_i32_e32 v68, 31, v68
	v_lshlrev_b32_e32 v71, 24, v66
	v_xor_b32_e32 v67, vcc_lo, v67
	v_cmp_gt_i32_e32 vcc_lo, 0, v69
	v_not_b32_e32 v69, v70
	v_xor_b32_e32 v75, s0, v75
	v_cmp_gt_i32_e64 s0, 0, v70
	v_and_b32_e32 v67, exec_lo, v67
	v_not_b32_e32 v70, v72
	v_ashrrev_i32_e32 v69, 31, v69
	v_xor_b32_e32 v68, vcc_lo, v68
	v_cmp_gt_i32_e32 vcc_lo, 0, v72
	v_and_b32_e32 v67, v67, v75
	v_not_b32_e32 v72, v73
	v_ashrrev_i32_e32 v70, 31, v70
	v_xor_b32_e32 v69, s0, v69
	v_cmp_gt_i32_e64 s0, 0, v73
	v_and_b32_e32 v67, v67, v68
	v_not_b32_e32 v68, v74
	v_ashrrev_i32_e32 v72, 31, v72
	v_xor_b32_e32 v70, vcc_lo, v70
	v_cmp_gt_i32_e32 vcc_lo, 0, v74
	v_and_b32_e32 v67, v67, v69
	v_not_b32_e32 v69, v71
	v_ashrrev_i32_e32 v68, 31, v68
	v_xor_b32_e32 v72, s0, v72
	v_mul_u32_u24_e32 v66, 9, v66
	v_and_b32_e32 v67, v67, v70
	v_cmp_gt_i32_e64 s0, 0, v71
	v_ashrrev_i32_e32 v69, 31, v69
	v_xor_b32_e32 v70, vcc_lo, v68
	v_add_lshl_u32 v68, v3, v66, 2
	v_and_b32_e32 v67, v67, v72
	s_delay_alu instid0(VALU_DEP_4) | instskip(SKIP_2) | instid1(VALU_DEP_1)
	v_xor_b32_e32 v69, s0, v69
	ds_load_b32 v66, v68 offset:32
	v_and_b32_e32 v67, v67, v70
	; wave barrier
	v_and_b32_e32 v69, v67, v69
	s_delay_alu instid0(VALU_DEP_1) | instskip(SKIP_1) | instid1(VALU_DEP_2)
	v_mbcnt_lo_u32_b32 v67, v69, 0
	v_cmp_ne_u32_e64 s0, 0, v69
	v_cmp_eq_u32_e32 vcc_lo, 0, v67
	s_delay_alu instid0(VALU_DEP_2) | instskip(NEXT) | instid1(SALU_CYCLE_1)
	s_and_b32 s3, s0, vcc_lo
	s_and_saveexec_b32 s0, s3
	s_cbranch_execz .LBB39_247
; %bb.246:
	s_waitcnt lgkmcnt(0)
	v_bcnt_u32_b32 v69, v69, v66
	ds_store_b32 v68, v69 offset:32
.LBB39_247:
	s_or_b32 exec_lo, exec_lo, s0
	v_xor_b32_e32 v48, 0x7f, v48
	; wave barrier
	s_delay_alu instid0(VALU_DEP_1) | instskip(NEXT) | instid1(VALU_DEP_1)
	v_and_b32_e32 v69, 0xff, v48
	v_lshrrev_b32_e32 v69, s60, v69
	s_delay_alu instid0(VALU_DEP_1) | instskip(NEXT) | instid1(VALU_DEP_1)
	v_and_b32_e32 v69, s1, v69
	v_and_b32_e32 v70, 1, v69
	v_lshlrev_b32_e32 v71, 30, v69
	v_lshlrev_b32_e32 v72, 29, v69
	;; [unrolled: 1-line block ×4, first 2 shown]
	v_add_co_u32 v70, s0, v70, -1
	s_delay_alu instid0(VALU_DEP_1)
	v_cndmask_b32_e64 v74, 0, 1, s0
	v_not_b32_e32 v78, v71
	v_cmp_gt_i32_e64 s0, 0, v71
	v_not_b32_e32 v71, v72
	v_lshlrev_b32_e32 v76, 26, v69
	v_cmp_ne_u32_e32 vcc_lo, 0, v74
	v_ashrrev_i32_e32 v78, 31, v78
	v_lshlrev_b32_e32 v77, 25, v69
	v_ashrrev_i32_e32 v71, 31, v71
	v_lshlrev_b32_e32 v74, 24, v69
	v_xor_b32_e32 v70, vcc_lo, v70
	v_cmp_gt_i32_e32 vcc_lo, 0, v72
	v_not_b32_e32 v72, v73
	v_xor_b32_e32 v78, s0, v78
	v_cmp_gt_i32_e64 s0, 0, v73
	v_and_b32_e32 v70, exec_lo, v70
	v_not_b32_e32 v73, v75
	v_ashrrev_i32_e32 v72, 31, v72
	v_xor_b32_e32 v71, vcc_lo, v71
	v_cmp_gt_i32_e32 vcc_lo, 0, v75
	v_and_b32_e32 v70, v70, v78
	v_not_b32_e32 v75, v76
	v_ashrrev_i32_e32 v73, 31, v73
	v_xor_b32_e32 v72, s0, v72
	v_cmp_gt_i32_e64 s0, 0, v76
	v_and_b32_e32 v70, v70, v71
	v_not_b32_e32 v71, v77
	v_ashrrev_i32_e32 v75, 31, v75
	v_xor_b32_e32 v73, vcc_lo, v73
	v_cmp_gt_i32_e32 vcc_lo, 0, v77
	v_and_b32_e32 v70, v70, v72
	v_not_b32_e32 v72, v74
	v_ashrrev_i32_e32 v71, 31, v71
	v_xor_b32_e32 v75, s0, v75
	v_mul_u32_u24_e32 v69, 9, v69
	v_and_b32_e32 v70, v70, v73
	v_cmp_gt_i32_e64 s0, 0, v74
	v_ashrrev_i32_e32 v73, 31, v72
	v_xor_b32_e32 v71, vcc_lo, v71
	v_add_lshl_u32 v72, v3, v69, 2
	v_and_b32_e32 v70, v70, v75
	s_delay_alu instid0(VALU_DEP_4) | instskip(NEXT) | instid1(VALU_DEP_2)
	v_xor_b32_e32 v69, s0, v73
	v_and_b32_e32 v71, v70, v71
	ds_load_b32 v70, v72 offset:32
	; wave barrier
	v_and_b32_e32 v69, v71, v69
	s_delay_alu instid0(VALU_DEP_1) | instskip(SKIP_1) | instid1(VALU_DEP_2)
	v_mbcnt_lo_u32_b32 v71, v69, 0
	v_cmp_ne_u32_e64 s0, 0, v69
	v_cmp_eq_u32_e32 vcc_lo, 0, v71
	s_delay_alu instid0(VALU_DEP_2) | instskip(NEXT) | instid1(SALU_CYCLE_1)
	s_and_b32 s3, s0, vcc_lo
	s_and_saveexec_b32 s0, s3
	s_cbranch_execz .LBB39_249
; %bb.248:
	s_waitcnt lgkmcnt(0)
	v_bcnt_u32_b32 v69, v69, v70
	ds_store_b32 v72, v69 offset:32
.LBB39_249:
	s_or_b32 exec_lo, exec_lo, s0
	v_xor_b32_e32 v69, 0x7f, v9
	; wave barrier
	s_delay_alu instid0(VALU_DEP_1) | instskip(NEXT) | instid1(VALU_DEP_1)
	v_and_b32_e32 v9, 0xff, v69
	v_lshrrev_b32_e32 v9, s60, v9
	s_delay_alu instid0(VALU_DEP_1) | instskip(NEXT) | instid1(VALU_DEP_1)
	v_and_b32_e32 v9, s1, v9
	v_and_b32_e32 v73, 1, v9
	v_lshlrev_b32_e32 v74, 30, v9
	v_lshlrev_b32_e32 v75, 29, v9
	;; [unrolled: 1-line block ×4, first 2 shown]
	v_add_co_u32 v73, s0, v73, -1
	s_delay_alu instid0(VALU_DEP_1)
	v_cndmask_b32_e64 v77, 0, 1, s0
	v_not_b32_e32 v81, v74
	v_cmp_gt_i32_e64 s0, 0, v74
	v_not_b32_e32 v74, v75
	v_lshlrev_b32_e32 v79, 26, v9
	v_cmp_ne_u32_e32 vcc_lo, 0, v77
	v_ashrrev_i32_e32 v81, 31, v81
	v_lshlrev_b32_e32 v80, 25, v9
	v_ashrrev_i32_e32 v74, 31, v74
	v_lshlrev_b32_e32 v77, 24, v9
	v_xor_b32_e32 v73, vcc_lo, v73
	v_cmp_gt_i32_e32 vcc_lo, 0, v75
	v_not_b32_e32 v75, v76
	v_xor_b32_e32 v81, s0, v81
	v_cmp_gt_i32_e64 s0, 0, v76
	v_and_b32_e32 v73, exec_lo, v73
	v_not_b32_e32 v76, v78
	v_ashrrev_i32_e32 v75, 31, v75
	v_xor_b32_e32 v74, vcc_lo, v74
	v_cmp_gt_i32_e32 vcc_lo, 0, v78
	v_and_b32_e32 v73, v73, v81
	v_not_b32_e32 v78, v79
	v_ashrrev_i32_e32 v76, 31, v76
	v_xor_b32_e32 v75, s0, v75
	v_cmp_gt_i32_e64 s0, 0, v79
	v_and_b32_e32 v73, v73, v74
	v_not_b32_e32 v74, v80
	v_ashrrev_i32_e32 v78, 31, v78
	v_xor_b32_e32 v76, vcc_lo, v76
	v_cmp_gt_i32_e32 vcc_lo, 0, v80
	v_and_b32_e32 v73, v73, v75
	v_not_b32_e32 v75, v77
	v_ashrrev_i32_e32 v74, 31, v74
	v_xor_b32_e32 v78, s0, v78
	v_mul_u32_u24_e32 v9, 9, v9
	v_and_b32_e32 v73, v73, v76
	v_cmp_gt_i32_e64 s0, 0, v77
	v_ashrrev_i32_e32 v75, 31, v75
	v_xor_b32_e32 v74, vcc_lo, v74
	v_add_lshl_u32 v76, v3, v9, 2
	v_and_b32_e32 v73, v73, v78
	s_delay_alu instid0(VALU_DEP_4) | instskip(NEXT) | instid1(VALU_DEP_2)
	v_xor_b32_e32 v9, s0, v75
	v_and_b32_e32 v73, v73, v74
	ds_load_b32 v74, v76 offset:32
	; wave barrier
	v_and_b32_e32 v9, v73, v9
	s_delay_alu instid0(VALU_DEP_1) | instskip(SKIP_1) | instid1(VALU_DEP_2)
	v_mbcnt_lo_u32_b32 v75, v9, 0
	v_cmp_ne_u32_e64 s0, 0, v9
	v_cmp_eq_u32_e32 vcc_lo, 0, v75
	s_delay_alu instid0(VALU_DEP_2) | instskip(NEXT) | instid1(SALU_CYCLE_1)
	s_and_b32 s3, s0, vcc_lo
	s_and_saveexec_b32 s0, s3
	s_cbranch_execz .LBB39_251
; %bb.250:
	s_waitcnt lgkmcnt(0)
	v_bcnt_u32_b32 v9, v9, v74
	ds_store_b32 v76, v9 offset:32
.LBB39_251:
	s_or_b32 exec_lo, exec_lo, s0
	v_xor_b32_e32 v73, 0x7f, v8
	; wave barrier
	s_delay_alu instid0(VALU_DEP_1) | instskip(NEXT) | instid1(VALU_DEP_1)
	v_and_b32_e32 v8, 0xff, v73
	v_lshrrev_b32_e32 v8, s60, v8
	s_delay_alu instid0(VALU_DEP_1) | instskip(NEXT) | instid1(VALU_DEP_1)
	v_and_b32_e32 v8, s1, v8
	v_and_b32_e32 v9, 1, v8
	v_lshlrev_b32_e32 v77, 30, v8
	v_lshlrev_b32_e32 v78, 29, v8
	v_lshlrev_b32_e32 v79, 28, v8
	v_lshlrev_b32_e32 v81, 27, v8
	v_add_co_u32 v9, s0, v9, -1
	s_delay_alu instid0(VALU_DEP_1)
	v_cndmask_b32_e64 v80, 0, 1, s0
	v_not_b32_e32 v84, v77
	v_cmp_gt_i32_e64 s0, 0, v77
	v_not_b32_e32 v77, v78
	v_lshlrev_b32_e32 v82, 26, v8
	v_cmp_ne_u32_e32 vcc_lo, 0, v80
	v_ashrrev_i32_e32 v84, 31, v84
	v_lshlrev_b32_e32 v83, 25, v8
	v_ashrrev_i32_e32 v77, 31, v77
	v_lshlrev_b32_e32 v80, 24, v8
	v_xor_b32_e32 v9, vcc_lo, v9
	v_cmp_gt_i32_e32 vcc_lo, 0, v78
	v_not_b32_e32 v78, v79
	v_xor_b32_e32 v84, s0, v84
	v_cmp_gt_i32_e64 s0, 0, v79
	v_and_b32_e32 v9, exec_lo, v9
	v_not_b32_e32 v79, v81
	v_ashrrev_i32_e32 v78, 31, v78
	v_xor_b32_e32 v77, vcc_lo, v77
	v_cmp_gt_i32_e32 vcc_lo, 0, v81
	v_and_b32_e32 v9, v9, v84
	v_not_b32_e32 v81, v82
	v_ashrrev_i32_e32 v79, 31, v79
	v_xor_b32_e32 v78, s0, v78
	v_cmp_gt_i32_e64 s0, 0, v82
	v_and_b32_e32 v9, v9, v77
	v_not_b32_e32 v77, v83
	v_ashrrev_i32_e32 v81, 31, v81
	v_xor_b32_e32 v79, vcc_lo, v79
	v_cmp_gt_i32_e32 vcc_lo, 0, v83
	v_and_b32_e32 v9, v9, v78
	v_not_b32_e32 v78, v80
	v_ashrrev_i32_e32 v77, 31, v77
	v_xor_b32_e32 v81, s0, v81
	v_mul_u32_u24_e32 v8, 9, v8
	v_and_b32_e32 v9, v9, v79
	v_cmp_gt_i32_e64 s0, 0, v80
	v_ashrrev_i32_e32 v78, 31, v78
	v_xor_b32_e32 v77, vcc_lo, v77
	v_add_lshl_u32 v80, v3, v8, 2
	v_and_b32_e32 v9, v9, v81
	s_delay_alu instid0(VALU_DEP_4) | instskip(SKIP_2) | instid1(VALU_DEP_1)
	v_xor_b32_e32 v8, s0, v78
	ds_load_b32 v78, v80 offset:32
	v_and_b32_e32 v9, v9, v77
	; wave barrier
	v_and_b32_e32 v8, v9, v8
	s_delay_alu instid0(VALU_DEP_1) | instskip(SKIP_1) | instid1(VALU_DEP_2)
	v_mbcnt_lo_u32_b32 v79, v8, 0
	v_cmp_ne_u32_e64 s0, 0, v8
	v_cmp_eq_u32_e32 vcc_lo, 0, v79
	s_delay_alu instid0(VALU_DEP_2) | instskip(NEXT) | instid1(SALU_CYCLE_1)
	s_and_b32 s3, s0, vcc_lo
	s_and_saveexec_b32 s0, s3
	s_cbranch_execz .LBB39_253
; %bb.252:
	s_waitcnt lgkmcnt(0)
	v_bcnt_u32_b32 v8, v8, v78
	ds_store_b32 v80, v8 offset:32
.LBB39_253:
	s_or_b32 exec_lo, exec_lo, s0
	v_xor_b32_e32 v77, 0x7f, v7
	; wave barrier
	s_delay_alu instid0(VALU_DEP_1) | instskip(NEXT) | instid1(VALU_DEP_1)
	v_and_b32_e32 v7, 0xff, v77
	v_lshrrev_b32_e32 v7, s60, v7
	s_delay_alu instid0(VALU_DEP_1) | instskip(NEXT) | instid1(VALU_DEP_1)
	v_and_b32_e32 v7, s1, v7
	v_and_b32_e32 v8, 1, v7
	v_lshlrev_b32_e32 v9, 30, v7
	v_lshlrev_b32_e32 v81, 29, v7
	;; [unrolled: 1-line block ×4, first 2 shown]
	v_add_co_u32 v8, s0, v8, -1
	s_delay_alu instid0(VALU_DEP_1)
	v_cndmask_b32_e64 v83, 0, 1, s0
	v_not_b32_e32 v87, v9
	v_cmp_gt_i32_e64 s0, 0, v9
	v_not_b32_e32 v9, v81
	v_lshlrev_b32_e32 v85, 26, v7
	v_cmp_ne_u32_e32 vcc_lo, 0, v83
	v_ashrrev_i32_e32 v87, 31, v87
	v_lshlrev_b32_e32 v86, 25, v7
	v_ashrrev_i32_e32 v9, 31, v9
	v_lshlrev_b32_e32 v83, 24, v7
	v_xor_b32_e32 v8, vcc_lo, v8
	v_cmp_gt_i32_e32 vcc_lo, 0, v81
	v_not_b32_e32 v81, v82
	v_xor_b32_e32 v87, s0, v87
	v_cmp_gt_i32_e64 s0, 0, v82
	v_and_b32_e32 v8, exec_lo, v8
	v_not_b32_e32 v82, v84
	v_ashrrev_i32_e32 v81, 31, v81
	v_xor_b32_e32 v9, vcc_lo, v9
	v_cmp_gt_i32_e32 vcc_lo, 0, v84
	v_and_b32_e32 v8, v8, v87
	v_not_b32_e32 v84, v85
	v_ashrrev_i32_e32 v82, 31, v82
	v_xor_b32_e32 v81, s0, v81
	v_cmp_gt_i32_e64 s0, 0, v85
	v_and_b32_e32 v8, v8, v9
	v_not_b32_e32 v9, v86
	v_ashrrev_i32_e32 v84, 31, v84
	v_xor_b32_e32 v82, vcc_lo, v82
	v_cmp_gt_i32_e32 vcc_lo, 0, v86
	v_and_b32_e32 v8, v8, v81
	v_not_b32_e32 v81, v83
	v_ashrrev_i32_e32 v9, 31, v9
	v_xor_b32_e32 v84, s0, v84
	v_mul_u32_u24_e32 v7, 9, v7
	v_and_b32_e32 v8, v8, v82
	v_cmp_gt_i32_e64 s0, 0, v83
	v_ashrrev_i32_e32 v81, 31, v81
	v_xor_b32_e32 v9, vcc_lo, v9
	s_delay_alu instid0(VALU_DEP_4) | instskip(SKIP_1) | instid1(VALU_DEP_4)
	v_and_b32_e32 v8, v8, v84
	v_add_lshl_u32 v84, v3, v7, 2
	v_xor_b32_e32 v7, s0, v81
	s_delay_alu instid0(VALU_DEP_3) | instskip(SKIP_2) | instid1(VALU_DEP_1)
	v_and_b32_e32 v8, v8, v9
	ds_load_b32 v82, v84 offset:32
	; wave barrier
	v_and_b32_e32 v7, v8, v7
	v_mbcnt_lo_u32_b32 v83, v7, 0
	v_cmp_ne_u32_e64 s0, 0, v7
	s_delay_alu instid0(VALU_DEP_2) | instskip(NEXT) | instid1(VALU_DEP_2)
	v_cmp_eq_u32_e32 vcc_lo, 0, v83
	s_and_b32 s3, s0, vcc_lo
	s_delay_alu instid0(SALU_CYCLE_1)
	s_and_saveexec_b32 s0, s3
	s_cbranch_execz .LBB39_255
; %bb.254:
	s_waitcnt lgkmcnt(0)
	v_bcnt_u32_b32 v7, v7, v82
	ds_store_b32 v84, v7 offset:32
.LBB39_255:
	s_or_b32 exec_lo, exec_lo, s0
	v_xor_b32_e32 v81, 0x7f, v6
	; wave barrier
	s_delay_alu instid0(VALU_DEP_1) | instskip(NEXT) | instid1(VALU_DEP_1)
	v_and_b32_e32 v6, 0xff, v81
	v_lshrrev_b32_e32 v6, s60, v6
	s_delay_alu instid0(VALU_DEP_1) | instskip(NEXT) | instid1(VALU_DEP_1)
	v_and_b32_e32 v6, s1, v6
	v_and_b32_e32 v7, 1, v6
	v_lshlrev_b32_e32 v8, 30, v6
	v_lshlrev_b32_e32 v9, 29, v6
	v_lshlrev_b32_e32 v85, 28, v6
	v_lshlrev_b32_e32 v87, 27, v6
	v_add_co_u32 v7, s0, v7, -1
	s_delay_alu instid0(VALU_DEP_1)
	v_cndmask_b32_e64 v86, 0, 1, s0
	v_not_b32_e32 v90, v8
	v_cmp_gt_i32_e64 s0, 0, v8
	v_not_b32_e32 v8, v9
	v_lshlrev_b32_e32 v88, 26, v6
	v_cmp_ne_u32_e32 vcc_lo, 0, v86
	v_ashrrev_i32_e32 v90, 31, v90
	v_lshlrev_b32_e32 v89, 25, v6
	v_ashrrev_i32_e32 v8, 31, v8
	v_lshlrev_b32_e32 v86, 24, v6
	v_xor_b32_e32 v7, vcc_lo, v7
	v_cmp_gt_i32_e32 vcc_lo, 0, v9
	v_not_b32_e32 v9, v85
	v_xor_b32_e32 v90, s0, v90
	v_cmp_gt_i32_e64 s0, 0, v85
	v_and_b32_e32 v7, exec_lo, v7
	v_not_b32_e32 v85, v87
	v_ashrrev_i32_e32 v9, 31, v9
	v_xor_b32_e32 v8, vcc_lo, v8
	v_cmp_gt_i32_e32 vcc_lo, 0, v87
	v_and_b32_e32 v7, v7, v90
	v_not_b32_e32 v87, v88
	v_ashrrev_i32_e32 v85, 31, v85
	v_xor_b32_e32 v9, s0, v9
	v_cmp_gt_i32_e64 s0, 0, v88
	v_and_b32_e32 v7, v7, v8
	v_not_b32_e32 v8, v89
	v_ashrrev_i32_e32 v87, 31, v87
	v_xor_b32_e32 v85, vcc_lo, v85
	v_cmp_gt_i32_e32 vcc_lo, 0, v89
	v_and_b32_e32 v7, v7, v9
	v_not_b32_e32 v9, v86
	v_ashrrev_i32_e32 v8, 31, v8
	v_xor_b32_e32 v87, s0, v87
	v_mul_u32_u24_e32 v6, 9, v6
	v_and_b32_e32 v7, v7, v85
	v_cmp_gt_i32_e64 s0, 0, v86
	v_ashrrev_i32_e32 v9, 31, v9
	v_xor_b32_e32 v8, vcc_lo, v8
	v_add_lshl_u32 v88, v3, v6, 2
	v_and_b32_e32 v7, v7, v87
	s_delay_alu instid0(VALU_DEP_4) | instskip(SKIP_2) | instid1(VALU_DEP_1)
	v_xor_b32_e32 v6, s0, v9
	ds_load_b32 v86, v88 offset:32
	v_and_b32_e32 v7, v7, v8
	; wave barrier
	v_and_b32_e32 v6, v7, v6
	s_delay_alu instid0(VALU_DEP_1) | instskip(SKIP_1) | instid1(VALU_DEP_2)
	v_mbcnt_lo_u32_b32 v87, v6, 0
	v_cmp_ne_u32_e64 s0, 0, v6
	v_cmp_eq_u32_e32 vcc_lo, 0, v87
	s_delay_alu instid0(VALU_DEP_2) | instskip(NEXT) | instid1(SALU_CYCLE_1)
	s_and_b32 s3, s0, vcc_lo
	s_and_saveexec_b32 s0, s3
	s_cbranch_execz .LBB39_257
; %bb.256:
	s_waitcnt lgkmcnt(0)
	v_bcnt_u32_b32 v6, v6, v86
	ds_store_b32 v88, v6 offset:32
.LBB39_257:
	s_or_b32 exec_lo, exec_lo, s0
	v_xor_b32_e32 v85, 0x7f, v5
	; wave barrier
	s_delay_alu instid0(VALU_DEP_1) | instskip(NEXT) | instid1(VALU_DEP_1)
	v_and_b32_e32 v5, 0xff, v85
	v_lshrrev_b32_e32 v5, s60, v5
	s_delay_alu instid0(VALU_DEP_1) | instskip(NEXT) | instid1(VALU_DEP_1)
	v_and_b32_e32 v5, s1, v5
	v_and_b32_e32 v6, 1, v5
	v_lshlrev_b32_e32 v7, 30, v5
	v_lshlrev_b32_e32 v8, 29, v5
	;; [unrolled: 1-line block ×4, first 2 shown]
	v_add_co_u32 v6, s0, v6, -1
	s_delay_alu instid0(VALU_DEP_1)
	v_cndmask_b32_e64 v89, 0, 1, s0
	v_not_b32_e32 v93, v7
	v_cmp_gt_i32_e64 s0, 0, v7
	v_not_b32_e32 v7, v8
	v_lshlrev_b32_e32 v91, 26, v5
	v_cmp_ne_u32_e32 vcc_lo, 0, v89
	v_ashrrev_i32_e32 v93, 31, v93
	v_lshlrev_b32_e32 v92, 25, v5
	v_ashrrev_i32_e32 v7, 31, v7
	v_lshlrev_b32_e32 v89, 24, v5
	v_xor_b32_e32 v6, vcc_lo, v6
	v_cmp_gt_i32_e32 vcc_lo, 0, v8
	v_not_b32_e32 v8, v9
	v_xor_b32_e32 v93, s0, v93
	v_cmp_gt_i32_e64 s0, 0, v9
	v_and_b32_e32 v6, exec_lo, v6
	v_not_b32_e32 v9, v90
	v_ashrrev_i32_e32 v8, 31, v8
	v_xor_b32_e32 v7, vcc_lo, v7
	v_cmp_gt_i32_e32 vcc_lo, 0, v90
	v_and_b32_e32 v6, v6, v93
	v_not_b32_e32 v90, v91
	v_ashrrev_i32_e32 v9, 31, v9
	v_xor_b32_e32 v8, s0, v8
	v_cmp_gt_i32_e64 s0, 0, v91
	v_and_b32_e32 v6, v6, v7
	v_not_b32_e32 v7, v92
	v_ashrrev_i32_e32 v90, 31, v90
	v_xor_b32_e32 v9, vcc_lo, v9
	v_cmp_gt_i32_e32 vcc_lo, 0, v92
	v_and_b32_e32 v6, v6, v8
	v_not_b32_e32 v8, v89
	v_ashrrev_i32_e32 v7, 31, v7
	v_xor_b32_e32 v90, s0, v90
	v_mul_u32_u24_e32 v5, 9, v5
	v_and_b32_e32 v6, v6, v9
	v_cmp_gt_i32_e64 s0, 0, v89
	v_ashrrev_i32_e32 v8, 31, v8
	v_xor_b32_e32 v7, vcc_lo, v7
	v_add_lshl_u32 v92, v3, v5, 2
	v_and_b32_e32 v6, v6, v90
	s_delay_alu instid0(VALU_DEP_4) | instskip(SKIP_2) | instid1(VALU_DEP_1)
	v_xor_b32_e32 v5, s0, v8
	ds_load_b32 v90, v92 offset:32
	v_and_b32_e32 v6, v6, v7
	; wave barrier
	v_and_b32_e32 v5, v6, v5
	s_delay_alu instid0(VALU_DEP_1) | instskip(SKIP_1) | instid1(VALU_DEP_2)
	v_mbcnt_lo_u32_b32 v91, v5, 0
	v_cmp_ne_u32_e64 s0, 0, v5
	v_cmp_eq_u32_e32 vcc_lo, 0, v91
	s_delay_alu instid0(VALU_DEP_2) | instskip(NEXT) | instid1(SALU_CYCLE_1)
	s_and_b32 s3, s0, vcc_lo
	s_and_saveexec_b32 s0, s3
	s_cbranch_execz .LBB39_259
; %bb.258:
	s_waitcnt lgkmcnt(0)
	v_bcnt_u32_b32 v5, v5, v90
	ds_store_b32 v92, v5 offset:32
.LBB39_259:
	s_or_b32 exec_lo, exec_lo, s0
	v_xor_b32_e32 v89, 0x7f, v4
	; wave barrier
	s_delay_alu instid0(VALU_DEP_1) | instskip(NEXT) | instid1(VALU_DEP_1)
	v_and_b32_e32 v4, 0xff, v89
	v_lshrrev_b32_e32 v4, s60, v4
	s_delay_alu instid0(VALU_DEP_1) | instskip(NEXT) | instid1(VALU_DEP_1)
	v_and_b32_e32 v4, s1, v4
	v_and_b32_e32 v5, 1, v4
	v_lshlrev_b32_e32 v6, 30, v4
	v_lshlrev_b32_e32 v7, 29, v4
	v_lshlrev_b32_e32 v8, 28, v4
	v_lshlrev_b32_e32 v93, 27, v4
	v_add_co_u32 v5, s0, v5, -1
	s_delay_alu instid0(VALU_DEP_1)
	v_cndmask_b32_e64 v9, 0, 1, s0
	v_not_b32_e32 v96, v6
	v_cmp_gt_i32_e64 s0, 0, v6
	v_not_b32_e32 v6, v7
	v_lshlrev_b32_e32 v94, 26, v4
	v_cmp_ne_u32_e32 vcc_lo, 0, v9
	v_ashrrev_i32_e32 v96, 31, v96
	v_lshlrev_b32_e32 v95, 25, v4
	v_ashrrev_i32_e32 v6, 31, v6
	v_lshlrev_b32_e32 v9, 24, v4
	v_xor_b32_e32 v5, vcc_lo, v5
	v_cmp_gt_i32_e32 vcc_lo, 0, v7
	v_not_b32_e32 v7, v8
	v_xor_b32_e32 v96, s0, v96
	v_cmp_gt_i32_e64 s0, 0, v8
	v_and_b32_e32 v5, exec_lo, v5
	v_not_b32_e32 v8, v93
	v_ashrrev_i32_e32 v7, 31, v7
	v_xor_b32_e32 v6, vcc_lo, v6
	v_cmp_gt_i32_e32 vcc_lo, 0, v93
	v_and_b32_e32 v5, v5, v96
	v_not_b32_e32 v93, v94
	v_ashrrev_i32_e32 v8, 31, v8
	v_xor_b32_e32 v7, s0, v7
	v_cmp_gt_i32_e64 s0, 0, v94
	v_and_b32_e32 v5, v5, v6
	v_not_b32_e32 v6, v95
	v_ashrrev_i32_e32 v93, 31, v93
	v_xor_b32_e32 v8, vcc_lo, v8
	v_cmp_gt_i32_e32 vcc_lo, 0, v95
	v_and_b32_e32 v5, v5, v7
	v_not_b32_e32 v7, v9
	v_ashrrev_i32_e32 v6, 31, v6
	v_xor_b32_e32 v93, s0, v93
	v_mul_u32_u24_e32 v4, 9, v4
	v_and_b32_e32 v5, v5, v8
	v_cmp_gt_i32_e64 s0, 0, v9
	v_ashrrev_i32_e32 v7, 31, v7
	v_xor_b32_e32 v6, vcc_lo, v6
	v_add_lshl_u32 v96, v3, v4, 2
	v_and_b32_e32 v5, v5, v93
	s_delay_alu instid0(VALU_DEP_4) | instskip(SKIP_2) | instid1(VALU_DEP_1)
	v_xor_b32_e32 v4, s0, v7
	ds_load_b32 v94, v96 offset:32
	v_and_b32_e32 v5, v5, v6
	; wave barrier
	v_and_b32_e32 v4, v5, v4
	s_delay_alu instid0(VALU_DEP_1) | instskip(SKIP_1) | instid1(VALU_DEP_2)
	v_mbcnt_lo_u32_b32 v95, v4, 0
	v_cmp_ne_u32_e64 s0, 0, v4
	v_cmp_eq_u32_e32 vcc_lo, 0, v95
	s_delay_alu instid0(VALU_DEP_2) | instskip(NEXT) | instid1(SALU_CYCLE_1)
	s_and_b32 s3, s0, vcc_lo
	s_and_saveexec_b32 s0, s3
	s_cbranch_execz .LBB39_261
; %bb.260:
	s_waitcnt lgkmcnt(0)
	v_bcnt_u32_b32 v4, v4, v94
	ds_store_b32 v96, v4 offset:32
.LBB39_261:
	s_or_b32 exec_lo, exec_lo, s0
	v_xor_b32_e32 v93, 0x7f, v2
	; wave barrier
	v_add_nc_u32_e32 v100, 32, v14
	s_delay_alu instid0(VALU_DEP_2) | instskip(NEXT) | instid1(VALU_DEP_1)
	v_and_b32_e32 v2, 0xff, v93
	v_lshrrev_b32_e32 v2, s60, v2
	s_delay_alu instid0(VALU_DEP_1) | instskip(NEXT) | instid1(VALU_DEP_1)
	v_and_b32_e32 v2, s1, v2
	v_and_b32_e32 v4, 1, v2
	v_lshlrev_b32_e32 v5, 30, v2
	v_lshlrev_b32_e32 v6, 29, v2
	;; [unrolled: 1-line block ×4, first 2 shown]
	v_add_co_u32 v4, s0, v4, -1
	s_delay_alu instid0(VALU_DEP_1)
	v_cndmask_b32_e64 v8, 0, 1, s0
	v_not_b32_e32 v99, v5
	v_cmp_gt_i32_e64 s0, 0, v5
	v_not_b32_e32 v5, v6
	v_lshlrev_b32_e32 v97, 26, v2
	v_cmp_ne_u32_e32 vcc_lo, 0, v8
	v_ashrrev_i32_e32 v99, 31, v99
	v_lshlrev_b32_e32 v98, 25, v2
	v_ashrrev_i32_e32 v5, 31, v5
	v_lshlrev_b32_e32 v8, 24, v2
	v_xor_b32_e32 v4, vcc_lo, v4
	v_cmp_gt_i32_e32 vcc_lo, 0, v6
	v_not_b32_e32 v6, v7
	v_xor_b32_e32 v99, s0, v99
	v_cmp_gt_i32_e64 s0, 0, v7
	v_and_b32_e32 v4, exec_lo, v4
	v_not_b32_e32 v7, v9
	v_ashrrev_i32_e32 v6, 31, v6
	v_xor_b32_e32 v5, vcc_lo, v5
	v_cmp_gt_i32_e32 vcc_lo, 0, v9
	v_and_b32_e32 v4, v4, v99
	v_not_b32_e32 v9, v97
	v_ashrrev_i32_e32 v7, 31, v7
	v_xor_b32_e32 v6, s0, v6
	v_cmp_gt_i32_e64 s0, 0, v97
	v_and_b32_e32 v4, v4, v5
	v_not_b32_e32 v5, v98
	v_ashrrev_i32_e32 v9, 31, v9
	v_xor_b32_e32 v7, vcc_lo, v7
	v_cmp_gt_i32_e32 vcc_lo, 0, v98
	v_and_b32_e32 v4, v4, v6
	v_not_b32_e32 v6, v8
	v_ashrrev_i32_e32 v5, 31, v5
	v_xor_b32_e32 v9, s0, v9
	v_mul_u32_u24_e32 v2, 9, v2
	v_and_b32_e32 v4, v4, v7
	v_cmp_gt_i32_e64 s0, 0, v8
	v_ashrrev_i32_e32 v6, 31, v6
	v_xor_b32_e32 v5, vcc_lo, v5
	v_add_lshl_u32 v99, v3, v2, 2
	v_and_b32_e32 v4, v4, v9
	s_delay_alu instid0(VALU_DEP_4) | instskip(SKIP_2) | instid1(VALU_DEP_1)
	v_xor_b32_e32 v2, s0, v6
	ds_load_b32 v97, v99 offset:32
	v_and_b32_e32 v3, v4, v5
	; wave barrier
	v_and_b32_e32 v2, v3, v2
	s_delay_alu instid0(VALU_DEP_1) | instskip(SKIP_1) | instid1(VALU_DEP_2)
	v_mbcnt_lo_u32_b32 v98, v2, 0
	v_cmp_ne_u32_e64 s0, 0, v2
	v_cmp_eq_u32_e32 vcc_lo, 0, v98
	s_delay_alu instid0(VALU_DEP_2) | instskip(NEXT) | instid1(SALU_CYCLE_1)
	s_and_b32 s3, s0, vcc_lo
	s_and_saveexec_b32 s0, s3
	s_cbranch_execz .LBB39_263
; %bb.262:
	s_waitcnt lgkmcnt(0)
	v_bcnt_u32_b32 v2, v2, v97
	ds_store_b32 v99, v2 offset:32
.LBB39_263:
	s_or_b32 exec_lo, exec_lo, s0
	; wave barrier
	s_waitcnt lgkmcnt(0)
	s_barrier
	buffer_gl0_inv
	ds_load_2addr_b32 v[8:9], v14 offset0:8 offset1:9
	ds_load_2addr_b32 v[6:7], v100 offset0:2 offset1:3
	;; [unrolled: 1-line block ×4, first 2 shown]
	ds_load_b32 v101, v100 offset:32
	v_min_u32_e32 v12, 0xe0, v12
	s_mov_b32 s0, exec_lo
	s_delay_alu instid0(VALU_DEP_1) | instskip(SKIP_3) | instid1(VALU_DEP_1)
	v_or_b32_e32 v104, 31, v12
	s_waitcnt lgkmcnt(3)
	v_add3_u32 v102, v9, v8, v6
	s_waitcnt lgkmcnt(2)
	v_add3_u32 v102, v102, v7, v4
	s_waitcnt lgkmcnt(1)
	s_delay_alu instid0(VALU_DEP_1) | instskip(SKIP_1) | instid1(VALU_DEP_1)
	v_add3_u32 v102, v102, v5, v2
	s_waitcnt lgkmcnt(0)
	v_add3_u32 v101, v102, v3, v101
	v_and_b32_e32 v102, 15, v51
	s_delay_alu instid0(VALU_DEP_2) | instskip(NEXT) | instid1(VALU_DEP_2)
	v_mov_b32_dpp v103, v101 row_shr:1 row_mask:0xf bank_mask:0xf
	v_cmp_ne_u32_e32 vcc_lo, 0, v102
	s_delay_alu instid0(VALU_DEP_2) | instskip(SKIP_1) | instid1(VALU_DEP_2)
	v_cndmask_b32_e32 v103, 0, v103, vcc_lo
	v_cmp_lt_u32_e32 vcc_lo, 1, v102
	v_add_nc_u32_e32 v101, v103, v101
	s_delay_alu instid0(VALU_DEP_1) | instskip(NEXT) | instid1(VALU_DEP_1)
	v_mov_b32_dpp v103, v101 row_shr:2 row_mask:0xf bank_mask:0xf
	v_cndmask_b32_e32 v103, 0, v103, vcc_lo
	v_cmp_lt_u32_e32 vcc_lo, 3, v102
	s_delay_alu instid0(VALU_DEP_2) | instskip(NEXT) | instid1(VALU_DEP_1)
	v_add_nc_u32_e32 v101, v101, v103
	v_mov_b32_dpp v103, v101 row_shr:4 row_mask:0xf bank_mask:0xf
	s_delay_alu instid0(VALU_DEP_1) | instskip(SKIP_1) | instid1(VALU_DEP_2)
	v_cndmask_b32_e32 v103, 0, v103, vcc_lo
	v_cmp_lt_u32_e32 vcc_lo, 7, v102
	v_add_nc_u32_e32 v101, v101, v103
	s_delay_alu instid0(VALU_DEP_1) | instskip(NEXT) | instid1(VALU_DEP_1)
	v_mov_b32_dpp v103, v101 row_shr:8 row_mask:0xf bank_mask:0xf
	v_cndmask_b32_e32 v102, 0, v103, vcc_lo
	v_bfe_i32 v103, v51, 4, 1
	s_delay_alu instid0(VALU_DEP_2) | instskip(SKIP_4) | instid1(VALU_DEP_2)
	v_add_nc_u32_e32 v102, v101, v102
	ds_swizzle_b32 v101, v102 offset:swizzle(BROADCAST,32,15)
	s_waitcnt lgkmcnt(0)
	v_and_b32_e32 v103, v103, v101
	v_lshrrev_b32_e32 v101, 5, v1
	v_add_nc_u32_e32 v12, v102, v103
	v_cmpx_eq_u32_e64 v104, v1
	s_cbranch_execz .LBB39_265
; %bb.264:
	s_delay_alu instid0(VALU_DEP_3)
	v_lshlrev_b32_e32 v102, 2, v101
	ds_store_b32 v102, v12
.LBB39_265:
	s_or_b32 exec_lo, exec_lo, s0
	s_delay_alu instid0(SALU_CYCLE_1)
	s_mov_b32 s0, exec_lo
	s_waitcnt lgkmcnt(0)
	s_barrier
	buffer_gl0_inv
	v_cmpx_gt_u32_e32 8, v1
	s_cbranch_execz .LBB39_267
; %bb.266:
	v_lshlrev_b32_e32 v102, 2, v1
	ds_load_b32 v103, v102
	s_waitcnt lgkmcnt(0)
	v_mov_b32_dpp v105, v103 row_shr:1 row_mask:0xf bank_mask:0xf
	v_and_b32_e32 v104, 7, v51
	s_delay_alu instid0(VALU_DEP_1) | instskip(NEXT) | instid1(VALU_DEP_3)
	v_cmp_ne_u32_e32 vcc_lo, 0, v104
	v_cndmask_b32_e32 v105, 0, v105, vcc_lo
	v_cmp_lt_u32_e32 vcc_lo, 1, v104
	s_delay_alu instid0(VALU_DEP_2) | instskip(NEXT) | instid1(VALU_DEP_1)
	v_add_nc_u32_e32 v103, v105, v103
	v_mov_b32_dpp v105, v103 row_shr:2 row_mask:0xf bank_mask:0xf
	s_delay_alu instid0(VALU_DEP_1) | instskip(SKIP_1) | instid1(VALU_DEP_2)
	v_cndmask_b32_e32 v105, 0, v105, vcc_lo
	v_cmp_lt_u32_e32 vcc_lo, 3, v104
	v_add_nc_u32_e32 v103, v103, v105
	s_delay_alu instid0(VALU_DEP_1) | instskip(NEXT) | instid1(VALU_DEP_1)
	v_mov_b32_dpp v105, v103 row_shr:4 row_mask:0xf bank_mask:0xf
	v_cndmask_b32_e32 v104, 0, v105, vcc_lo
	s_delay_alu instid0(VALU_DEP_1)
	v_add_nc_u32_e32 v103, v103, v104
	ds_store_b32 v102, v103
.LBB39_267:
	s_or_b32 exec_lo, exec_lo, s0
	v_mov_b32_e32 v102, 0
	s_mov_b32 s0, exec_lo
	s_waitcnt lgkmcnt(0)
	s_barrier
	buffer_gl0_inv
	v_cmpx_lt_u32_e32 31, v1
	s_cbranch_execz .LBB39_269
; %bb.268:
	v_lshl_add_u32 v101, v101, 2, -4
	ds_load_b32 v102, v101
.LBB39_269:
	s_or_b32 exec_lo, exec_lo, s0
	v_add_nc_u32_e32 v101, -1, v51
	s_mov_b32 s0, 0
	s_mov_b32 s3, exec_lo
	s_waitcnt lgkmcnt(0)
	v_add_nc_u32_e32 v12, v102, v12
	v_cmp_gt_i32_e32 vcc_lo, 0, v101
	v_cndmask_b32_e32 v101, v101, v51, vcc_lo
	v_cmp_eq_u32_e32 vcc_lo, 0, v51
	s_delay_alu instid0(VALU_DEP_2) | instskip(SKIP_4) | instid1(VALU_DEP_2)
	v_lshlrev_b32_e32 v101, 2, v101
	ds_bpermute_b32 v12, v101, v12
	s_waitcnt lgkmcnt(0)
	v_cndmask_b32_e32 v12, v12, v102, vcc_lo
	v_cmp_ne_u32_e32 vcc_lo, 0, v1
	v_cndmask_b32_e32 v12, 0, v12, vcc_lo
	s_delay_alu instid0(VALU_DEP_1) | instskip(NEXT) | instid1(VALU_DEP_1)
	v_add_nc_u32_e32 v8, v12, v8
	v_add_nc_u32_e32 v9, v8, v9
	s_delay_alu instid0(VALU_DEP_1) | instskip(NEXT) | instid1(VALU_DEP_1)
	v_add_nc_u32_e32 v6, v9, v6
	v_add_nc_u32_e32 v7, v6, v7
	;; [unrolled: 3-line block ×4, first 2 shown]
	ds_store_2addr_b32 v14, v12, v8 offset0:8 offset1:9
	ds_store_2addr_b32 v100, v9, v6 offset0:2 offset1:3
	;; [unrolled: 1-line block ×4, first 2 shown]
	ds_store_b32 v100, v3 offset:32
	v_mov_b32_e32 v2, 0x1600
	s_waitcnt lgkmcnt(0)
	s_barrier
	buffer_gl0_inv
	ds_load_b32 v4, v19 offset:32
	ds_load_b32 v5, v23 offset:32
	;; [unrolled: 1-line block ×23, first 2 shown]
	v_add_nc_u32_e32 v14, 1, v1
	s_delay_alu instid0(VALU_DEP_1)
	v_cmpx_ne_u32_e32 0x100, v14
	s_cbranch_execz .LBB39_271
; %bb.270:
	v_mul_u32_u24_e32 v2, 9, v14
	s_delay_alu instid0(VALU_DEP_1)
	v_lshlrev_b32_e32 v2, 2, v2
	ds_load_b32 v2, v2 offset:32
.LBB39_271:
	s_or_b32 exec_lo, exec_lo, s3
	s_waitcnt lgkmcnt(1)
	v_add_nc_u32_e32 v58, v15, v13
	v_add3_u32 v47, v18, v17, v4
	v_add3_u32 v43, v22, v21, v5
	v_mov_b32_e32 v5, 0
	v_lshl_add_u32 v4, s15, 8, v1
	v_add3_u32 v39, v26, v25, v6
	v_add3_u32 v35, v30, v29, v7
	;; [unrolled: 1-line block ×3, first 2 shown]
	s_waitcnt lgkmcnt(0)
	v_sub_nc_u32_e32 v52, v2, v3
	v_lshlrev_b64 v[6:7], 2, v[4:5]
	v_add3_u32 v33, v34, v33, v8
	v_add3_u32 v31, v38, v37, v9
	;; [unrolled: 1-line block ×5, first 2 shown]
	v_add_co_u32 v6, vcc_lo, s66, v6
	v_add3_u32 v25, v61, v60, v62
	v_add3_u32 v23, v64, v63, v65
	;; [unrolled: 1-line block ×11, first 2 shown]
	s_barrier
	buffer_gl0_inv
	ds_store_b8 v58, v11 offset:2048
	ds_store_b8 v47, v0 offset:2048
	;; [unrolled: 1-line block ×15, first 2 shown]
	v_add_co_ci_u32_e32 v7, vcc_lo, s67, v7, vcc_lo
	v_or_b32_e32 v2, 2.0, v52
	v_mov_b32_e32 v0, 0
	ds_store_b8 v19, v69 offset:2048
	ds_store_b8 v18, v73 offset:2048
	;; [unrolled: 1-line block ×7, first 2 shown]
	s_waitcnt lgkmcnt(0)
	s_barrier
	buffer_gl0_inv
	global_store_b32 v[6:7], v2, off
                                        ; implicit-def: $sgpr3
	s_branch .LBB39_274
	.p2align	6
.LBB39_272:                             ;   in Loop: Header=BB39_274 Depth=1
	s_or_b32 exec_lo, exec_lo, s4
.LBB39_273:                             ;   in Loop: Header=BB39_274 Depth=1
	s_delay_alu instid0(SALU_CYCLE_1) | instskip(SKIP_2) | instid1(VALU_DEP_2)
	s_or_b32 exec_lo, exec_lo, s3
	v_and_b32_e32 v4, 0x3fffffff, v4
	v_cmp_eq_u32_e64 s3, 0x80000000, v2
	v_add_nc_u32_e32 v0, v4, v0
	s_delay_alu instid0(VALU_DEP_2) | instskip(NEXT) | instid1(SALU_CYCLE_1)
	s_and_b32 s4, exec_lo, s3
	s_or_b32 s0, s4, s0
	s_delay_alu instid0(SALU_CYCLE_1)
	s_and_not1_b32 exec_lo, exec_lo, s0
	s_cbranch_execz .LBB39_279
.LBB39_274:                             ; =>This Loop Header: Depth=1
                                        ;     Child Loop BB39_277 Depth 2
	s_or_b32 s3, s3, exec_lo
	s_cmp_eq_u32 s63, 0
	s_cbranch_scc1 .LBB39_278
; %bb.275:                              ;   in Loop: Header=BB39_274 Depth=1
	s_add_i32 s63, s63, -1
	s_mov_b32 s3, exec_lo
	v_lshl_add_u32 v4, s63, 8, v1
	s_delay_alu instid0(VALU_DEP_1) | instskip(NEXT) | instid1(VALU_DEP_1)
	v_lshlrev_b64 v[8:9], 2, v[4:5]
	v_add_co_u32 v8, vcc_lo, s66, v8
	s_delay_alu instid0(VALU_DEP_2) | instskip(SKIP_3) | instid1(VALU_DEP_1)
	v_add_co_ci_u32_e32 v9, vcc_lo, s67, v9, vcc_lo
	global_load_b32 v4, v[8:9], off glc
	s_waitcnt vmcnt(0)
	v_and_b32_e32 v2, -2.0, v4
	v_cmpx_eq_u32_e32 0, v2
	s_cbranch_execz .LBB39_273
; %bb.276:                              ;   in Loop: Header=BB39_274 Depth=1
	s_mov_b32 s4, 0
.LBB39_277:                             ;   Parent Loop BB39_274 Depth=1
                                        ; =>  This Inner Loop Header: Depth=2
	global_load_b32 v4, v[8:9], off glc
	s_waitcnt vmcnt(0)
	v_and_b32_e32 v2, -2.0, v4
	s_delay_alu instid0(VALU_DEP_1) | instskip(SKIP_1) | instid1(SALU_CYCLE_1)
	v_cmp_ne_u32_e32 vcc_lo, 0, v2
	s_or_b32 s4, vcc_lo, s4
	s_and_not1_b32 exec_lo, exec_lo, s4
	s_cbranch_execnz .LBB39_277
	s_branch .LBB39_272
.LBB39_278:                             ;   in Loop: Header=BB39_274 Depth=1
                                        ; implicit-def: $sgpr63
	s_and_b32 s4, exec_lo, s3
	s_delay_alu instid0(SALU_CYCLE_1) | instskip(NEXT) | instid1(SALU_CYCLE_1)
	s_or_b32 s0, s4, s0
	s_and_not1_b32 exec_lo, exec_lo, s0
	s_cbranch_execnz .LBB39_274
.LBB39_279:
	s_or_b32 exec_lo, exec_lo, s0
	v_add_nc_u32_e32 v2, v0, v52
	v_lshlrev_b32_e32 v53, 3, v1
	v_lshlrev_b32_e32 v9, 3, v51
	s_lshl_b64 s[4:5], s[64:65], 3
	v_lshlrev_b32_e32 v10, 3, v10
	v_or_b32_e32 v2, 0x80000000, v2
	v_add_nc_u32_e32 v5, 0x1100, v1
	v_or_b32_e32 v8, 0x1400, v1
	v_lshlrev_b32_e32 v58, 3, v58
	v_lshlrev_b32_e32 v47, 3, v47
	global_store_b32 v[6:7], v2, off
	global_load_b64 v[36:37], v53, s[56:57]
	v_sub_co_u32 v2, s0, v0, v3
	s_delay_alu instid0(VALU_DEP_1) | instskip(SKIP_3) | instid1(VALU_DEP_1)
	v_sub_co_ci_u32_e64 v4, null, 0, 0, s0
	s_add_u32 s0, s52, s4
	s_addc_u32 s3, s53, s5
	v_add_co_u32 v11, s0, s0, v9
	v_add_co_ci_u32_e64 v16, null, s3, 0, s0
	v_or_b32_e32 v0, 0x1000, v1
	s_delay_alu instid0(VALU_DEP_3) | instskip(NEXT) | instid1(VALU_DEP_3)
	v_add_co_u32 v54, vcc_lo, v11, v10
	v_add_co_ci_u32_e32 v55, vcc_lo, 0, v16, vcc_lo
	v_add_nc_u32_e32 v6, 0x1200, v1
	v_add_nc_u32_e32 v7, 0x1300, v1
	;; [unrolled: 1-line block ×3, first 2 shown]
	v_lshlrev_b32_e32 v43, 3, v43
	v_lshlrev_b32_e32 v39, 3, v39
	;; [unrolled: 1-line block ×20, first 2 shown]
	s_add_i32 s2, s2, -1
	s_delay_alu instid0(SALU_CYCLE_1)
	s_cmp_eq_u32 s15, s2
	s_cselect_b32 s2, -1, 0
	s_waitcnt vmcnt(0)
	v_add_co_u32 v10, vcc_lo, v2, v36
	v_add_co_ci_u32_e32 v11, vcc_lo, v4, v37, vcc_lo
	v_add_co_u32 v56, vcc_lo, 0x1000, v54
	v_add_co_ci_u32_e32 v57, vcc_lo, 0, v55, vcc_lo
	ds_store_b64 v53, v[10:11]
	s_waitcnt lgkmcnt(0)
	s_waitcnt_vscnt null, 0x0
	s_barrier
	buffer_gl0_inv
	ds_load_u8 v2, v1 offset:2304
	ds_load_u8 v4, v1 offset:2560
	;; [unrolled: 1-line block ×22, first 2 shown]
	s_waitcnt lgkmcnt(19)
	v_and_b32_e32 v59, 0xff, v10
	v_xor_b32_e32 v103, 0x7f, v10
	s_waitcnt lgkmcnt(18)
	v_and_b32_e32 v10, 0xff, v11
	v_xor_b32_e32 v104, 0x7f, v11
	;; [unrolled: 3-line block ×18, first 2 shown]
	s_waitcnt lgkmcnt(1)
	v_and_b32_e32 v48, 0xff, v49
	v_lshrrev_b32_e32 v10, s60, v10
	v_lshrrev_b32_e32 v11, s60, v11
	;; [unrolled: 1-line block ×6, first 2 shown]
	v_and_b32_e32 v50, 0xff, v2
	v_and_b32_e32 v51, 0xff, v4
	v_lshrrev_b32_e32 v24, s60, v24
	v_lshrrev_b32_e32 v28, s60, v28
	;; [unrolled: 1-line block ×12, first 2 shown]
	v_and_b32_e32 v10, s1, v10
	v_and_b32_e32 v65, s1, v46
	;; [unrolled: 1-line block ×6, first 2 shown]
	v_xor_b32_e32 v121, 0x7f, v49
	v_lshrrev_b32_e32 v49, s60, v50
	v_lshrrev_b32_e32 v50, s60, v51
	v_lshrrev_b32_e32 v51, s60, v59
	v_and_b32_e32 v24, s1, v24
	v_and_b32_e32 v28, s1, v28
	;; [unrolled: 1-line block ×12, first 2 shown]
	v_lshlrev_b32_e32 v44, 3, v10
	v_lshlrev_b32_e32 v10, 3, v65
	;; [unrolled: 1-line block ×18, first 2 shown]
	ds_load_b64 v[59:60], v10
	ds_load_b64 v[61:62], v11
	s_waitcnt lgkmcnt(2)
	v_and_b32_e32 v71, 0xff, v67
	v_xor_b32_e32 v122, 0x7f, v67
	ds_load_b64 v[63:64], v44
	ds_load_b64 v[65:66], v45
	;; [unrolled: 1-line block ×4, first 2 shown]
	v_and_b32_e32 v49, s1, v49
	v_and_b32_e32 v50, s1, v50
	v_lshrrev_b32_e32 v79, s60, v71
	ds_load_b64 v[71:72], v38
	ds_load_b64 v[73:74], v40
	;; [unrolled: 1-line block ×4, first 2 shown]
	v_and_b32_e32 v51, s1, v51
	v_lshlrev_b32_e32 v49, 3, v49
	v_lshlrev_b32_e32 v50, 3, v50
	v_and_b32_e32 v87, s1, v79
	ds_load_b64 v[79:80], v20
	ds_load_b64 v[81:82], v24
	ds_load_b64 v[83:84], v28
	ds_load_b64 v[85:86], v32
	v_lshlrev_b32_e32 v51, 3, v51
	v_xor_b32_e32 v2, 0x7f, v2
	v_xor_b32_e32 v4, 0x7f, v4
	v_lshlrev_b32_e32 v123, 3, v87
	ds_load_b64 v[87:88], v16
	ds_load_b64 v[89:90], v34
	;; [unrolled: 1-line block ×8, first 2 shown]
	s_waitcnt lgkmcnt(19)
	v_add_co_u32 v63, vcc_lo, s50, v63
	v_add_co_ci_u32_e32 v64, vcc_lo, s51, v64, vcc_lo
	s_waitcnt lgkmcnt(18)
	v_add_co_u32 v65, vcc_lo, s50, v65
	v_add_co_ci_u32_e32 v66, vcc_lo, s51, v66, vcc_lo
	s_waitcnt lgkmcnt(17)
	v_add_co_u32 v67, vcc_lo, s50, v67
	v_add_co_ci_u32_e32 v68, vcc_lo, s51, v68, vcc_lo
	s_waitcnt lgkmcnt(16)
	v_add_co_u32 v69, vcc_lo, s50, v69
	v_add_co_ci_u32_e32 v70, vcc_lo, s51, v70, vcc_lo
	s_waitcnt lgkmcnt(15)
	v_add_co_u32 v71, vcc_lo, s50, v71
	v_add_co_ci_u32_e32 v72, vcc_lo, s51, v72, vcc_lo
	s_waitcnt lgkmcnt(14)
	v_add_co_u32 v73, vcc_lo, s50, v73
	v_add_co_ci_u32_e32 v74, vcc_lo, s51, v74, vcc_lo
	s_waitcnt lgkmcnt(13)
	v_add_co_u32 v75, vcc_lo, s50, v75
	v_add_co_ci_u32_e32 v76, vcc_lo, s51, v76, vcc_lo
	s_waitcnt lgkmcnt(12)
	v_add_co_u32 v77, vcc_lo, s50, v77
	v_add_co_ci_u32_e32 v78, vcc_lo, s51, v78, vcc_lo
	s_waitcnt lgkmcnt(11)
	v_add_co_u32 v79, vcc_lo, s50, v79
	v_add_co_ci_u32_e32 v80, vcc_lo, s51, v80, vcc_lo
	s_waitcnt lgkmcnt(10)
	v_add_co_u32 v81, vcc_lo, s50, v81
	v_add_co_ci_u32_e32 v82, vcc_lo, s51, v82, vcc_lo
	s_waitcnt lgkmcnt(9)
	v_add_co_u32 v83, vcc_lo, s50, v83
	v_add_co_ci_u32_e32 v84, vcc_lo, s51, v84, vcc_lo
	s_waitcnt lgkmcnt(8)
	v_add_co_u32 v85, vcc_lo, s50, v85
	v_add_co_ci_u32_e32 v86, vcc_lo, s51, v86, vcc_lo
	s_waitcnt lgkmcnt(7)
	v_add_co_u32 v87, vcc_lo, s50, v87
	v_add_co_ci_u32_e32 v88, vcc_lo, s51, v88, vcc_lo
	s_waitcnt lgkmcnt(6)
	v_add_co_u32 v89, vcc_lo, s50, v89
	v_add_co_ci_u32_e32 v90, vcc_lo, s51, v90, vcc_lo
	s_waitcnt lgkmcnt(5)
	v_add_co_u32 v91, vcc_lo, s50, v91
	v_add_co_ci_u32_e32 v92, vcc_lo, s51, v92, vcc_lo
	s_waitcnt lgkmcnt(4)
	v_add_co_u32 v93, vcc_lo, s50, v93
	v_add_co_ci_u32_e32 v94, vcc_lo, s51, v94, vcc_lo
	v_add_co_u32 v124, vcc_lo, s50, v59
	v_add_co_ci_u32_e32 v125, vcc_lo, s51, v60, vcc_lo
	v_add_co_u32 v126, vcc_lo, s50, v61
	v_add_co_ci_u32_e32 v127, vcc_lo, s51, v62, vcc_lo
	;; [unrolled: 2-line block ×19, first 2 shown]
	s_waitcnt lgkmcnt(3)
	v_add_co_u32 v93, vcc_lo, s50, v95
	v_add_co_ci_u32_e32 v94, vcc_lo, s51, v96, vcc_lo
	s_waitcnt lgkmcnt(2)
	v_add_co_u32 v95, vcc_lo, s50, v97
	v_add_co_ci_u32_e32 v96, vcc_lo, s51, v98, vcc_lo
	s_waitcnt lgkmcnt(1)
	v_add_co_u32 v97, vcc_lo, s50, v99
	v_add_co_ci_u32_e32 v98, vcc_lo, s51, v100, vcc_lo
	s_waitcnt lgkmcnt(0)
	v_add_co_u32 v99, vcc_lo, s50, v101
	v_add_co_ci_u32_e32 v100, vcc_lo, s51, v102, vcc_lo
	v_add_co_u32 v93, vcc_lo, v93, v1
	v_add_co_ci_u32_e32 v94, vcc_lo, 0, v94, vcc_lo
	v_add_co_u32 v95, vcc_lo, v95, v1
	v_add_co_ci_u32_e32 v96, vcc_lo, 0, v96, vcc_lo
	;; [unrolled: 2-line block ×5, first 2 shown]
	s_clause 0x15
	global_store_b8 v[93:94], v122, off
	global_store_b8 v[95:96], v2, off offset:256
	global_store_b8 v[97:98], v4, off offset:512
	;; [unrolled: 1-line block ×15, first 2 shown]
	global_store_b8 v[83:84], v116, off
	global_store_b8 v[85:86], v117, off
	;; [unrolled: 1-line block ×6, first 2 shown]
	s_clause 0x15
	global_load_b64 v[59:60], v[54:55], off
	global_load_b64 v[61:62], v[54:55], off offset:256
	global_load_b64 v[63:64], v[54:55], off offset:512
	;; [unrolled: 1-line block ×15, first 2 shown]
	global_load_b64 v[89:90], v[56:57], off
	global_load_b64 v[91:92], v[56:57], off offset:256
	global_load_b64 v[93:94], v[56:57], off offset:512
	global_load_b64 v[95:96], v[56:57], off offset:768
	global_load_b64 v[97:98], v[56:57], off offset:1024
	global_load_b64 v[56:57], v[56:57], off offset:1280
	v_dual_mov_b32 v2, 0 :: v_dual_lshlrev_b32 v115, 3, v6
	v_lshlrev_b32_e32 v116, 3, v7
	v_lshlrev_b32_e32 v117, 3, v8
	;; [unrolled: 1-line block ×3, first 2 shown]
	s_delay_alu instid0(VALU_DEP_4)
	v_mov_b32_e32 v4, v2
	v_lshlrev_b32_e32 v114, 3, v5
	s_waitcnt vmcnt(0)
	s_waitcnt_vscnt null, 0x0
	s_barrier
	buffer_gl0_inv
	v_add_nc_u32_e32 v100, 0x1000, v53
	v_add_nc_u32_e32 v101, 0x1800, v53
	v_or_b32_e32 v102, 0x2000, v53
	v_add_nc_u32_e32 v103, 0x2800, v53
	v_add_nc_u32_e32 v104, 0x3000, v53
	v_add_nc_u32_e32 v105, 0x3800, v53
	v_or_b32_e32 v106, 0x4000, v53
	v_add_nc_u32_e32 v107, 0x4800, v53
	;; [unrolled: 4-line block ×3, first 2 shown]
	v_add_nc_u32_e32 v112, 0x7000, v53
	v_add_nc_u32_e32 v113, 0x7800, v53
	v_lshlrev_b32_e32 v0, 3, v0
	ds_store_b64 v58, v[59:60] offset:2048
	ds_store_b64 v47, v[61:62] offset:2048
	;; [unrolled: 1-line block ×22, first 2 shown]
	s_waitcnt lgkmcnt(0)
	s_barrier
	buffer_gl0_inv
	ds_load_2addr_stride64_b64 v[5:8], v53 offset0:4 offset1:8
	ds_load_2addr_stride64_b64 v[12:15], v53 offset0:12 offset1:16
	ds_load_b64 v[29:30], v123
	ds_load_b64 v[66:67], v49
	ds_load_b64 v[68:69], v50
	ds_load_b64 v[70:71], v51
	ds_load_2addr_stride64_b64 v[54:57], v53 offset0:20 offset1:24
	ds_load_2addr_stride64_b64 v[58:61], v53 offset0:28 offset1:32
	ds_load_b64 v[72:73], v44
	ds_load_b64 v[74:75], v45
	ds_load_b64 v[76:77], v46
	ds_load_b64 v[78:79], v48
	;; [unrolled: 6-line block ×5, first 2 shown]
	ds_load_2addr_stride64_b64 v[25:28], v53 offset0:84 offset1:88
	ds_load_b64 v[9:10], v10
	ds_load_b64 v[98:99], v11
	s_waitcnt lgkmcnt(30)
	v_lshlrev_b64 v[29:30], 3, v[29:30]
	s_waitcnt lgkmcnt(29)
	v_lshlrev_b64 v[66:67], 3, v[66:67]
	;; [unrolled: 2-line block ×6, first 2 shown]
	v_add_co_u32 v11, vcc_lo, s54, v29
	v_add_co_ci_u32_e32 v16, vcc_lo, s55, v30, vcc_lo
	v_add_co_u32 v29, vcc_lo, s54, v66
	v_add_co_ci_u32_e32 v30, vcc_lo, s55, v67, vcc_lo
	;; [unrolled: 2-line block ×4, first 2 shown]
	s_waitcnt lgkmcnt(22)
	v_lshlrev_b64 v[76:77], 3, v[76:77]
	v_add_co_u32 v67, vcc_lo, s54, v72
	v_add_co_ci_u32_e32 v68, vcc_lo, s55, v73, vcc_lo
	s_waitcnt lgkmcnt(21)
	v_lshlrev_b64 v[78:79], 3, v[78:79]
	v_add_co_u32 v69, vcc_lo, s54, v74
	v_add_co_ci_u32_e32 v70, vcc_lo, s55, v75, vcc_lo
	;; [unrolled: 4-line block ×16, first 2 shown]
	v_add_co_u32 v120, vcc_lo, s54, v9
	v_add_co_ci_u32_e32 v121, vcc_lo, s55, v10, vcc_lo
	v_add_co_u32 v98, vcc_lo, s54, v98
	v_add_co_ci_u32_e32 v99, vcc_lo, s55, v99, vcc_lo
	;; [unrolled: 2-line block ×24, first 2 shown]
	s_clause 0x15
	global_store_b64 v[9:10], v[5:6], off
	global_store_b64 v[29:30], v[7:8], off offset:2048
	global_store_b64 v[31:32], v[12:13], off
	global_store_b64 v[33:34], v[14:15], off
	;; [unrolled: 1-line block ×20, first 2 shown]
.LBB39_280:
	s_and_b32 vcc_lo, exec_lo, s2
	s_cbranch_vccnz .LBB39_282
; %bb.281:
	s_nop 0
	s_sendmsg sendmsg(MSG_DEALLOC_VGPRS)
	s_endpgm
.LBB39_282:
	ds_load_b64 v[5:6], v53
	v_lshlrev_b64 v[0:1], 3, v[1:2]
	v_add_co_u32 v2, vcc_lo, v3, v52
	v_add_co_ci_u32_e32 v3, vcc_lo, 0, v4, vcc_lo
	s_delay_alu instid0(VALU_DEP_3) | instskip(NEXT) | instid1(VALU_DEP_4)
	v_add_co_u32 v0, vcc_lo, s58, v0
	v_add_co_ci_u32_e32 v1, vcc_lo, s59, v1, vcc_lo
	s_waitcnt lgkmcnt(0)
	v_add_co_u32 v2, vcc_lo, v2, v5
	v_add_co_ci_u32_e32 v3, vcc_lo, v3, v6, vcc_lo
	global_store_b64 v[0:1], v[2:3], off
	s_nop 0
	s_sendmsg sendmsg(MSG_DEALLOC_VGPRS)
	s_endpgm
.LBB39_283:
	global_load_b64 v[5:6], v[49:50], off
	s_or_b32 exec_lo, exec_lo, s47
                                        ; implicit-def: $vgpr7_vgpr8
	s_and_saveexec_b32 s47, s2
	s_cbranch_execz .LBB39_151
.LBB39_284:
	global_load_b64 v[7:8], v[49:50], off offset:256
	s_or_b32 exec_lo, exec_lo, s47
                                        ; implicit-def: $vgpr9_vgpr10
	s_and_saveexec_b32 s2, s3
	s_cbranch_execz .LBB39_152
.LBB39_285:
	global_load_b64 v[9:10], v[49:50], off offset:512
	s_or_b32 exec_lo, exec_lo, s2
                                        ; implicit-def: $vgpr11_vgpr12
	s_and_saveexec_b32 s2, s4
	s_cbranch_execz .LBB39_153
.LBB39_286:
	global_load_b64 v[11:12], v[49:50], off offset:768
	s_or_b32 exec_lo, exec_lo, s2
                                        ; implicit-def: $vgpr13_vgpr14
	s_and_saveexec_b32 s2, s5
	s_cbranch_execz .LBB39_154
.LBB39_287:
	global_load_b64 v[13:14], v[49:50], off offset:1024
	s_or_b32 exec_lo, exec_lo, s2
                                        ; implicit-def: $vgpr15_vgpr16
	s_and_saveexec_b32 s2, s6
	s_cbranch_execz .LBB39_155
.LBB39_288:
	global_load_b64 v[15:16], v[49:50], off offset:1280
	s_or_b32 exec_lo, exec_lo, s2
                                        ; implicit-def: $vgpr17_vgpr18
	s_and_saveexec_b32 s2, s7
	s_cbranch_execz .LBB39_156
.LBB39_289:
	global_load_b64 v[17:18], v[49:50], off offset:1536
	s_or_b32 exec_lo, exec_lo, s2
                                        ; implicit-def: $vgpr19_vgpr20
	s_and_saveexec_b32 s2, s8
	s_cbranch_execz .LBB39_157
.LBB39_290:
	global_load_b64 v[19:20], v[49:50], off offset:1792
	s_or_b32 exec_lo, exec_lo, s2
                                        ; implicit-def: $vgpr21_vgpr22
	s_and_saveexec_b32 s2, s9
	s_cbranch_execz .LBB39_158
.LBB39_291:
	global_load_b64 v[21:22], v[49:50], off offset:2048
	s_or_b32 exec_lo, exec_lo, s2
                                        ; implicit-def: $vgpr23_vgpr24
	s_and_saveexec_b32 s2, s10
	s_cbranch_execz .LBB39_159
.LBB39_292:
	global_load_b64 v[23:24], v[49:50], off offset:2304
	s_or_b32 exec_lo, exec_lo, s2
                                        ; implicit-def: $vgpr25_vgpr26
	s_and_saveexec_b32 s2, s11
	s_cbranch_execz .LBB39_160
.LBB39_293:
	global_load_b64 v[25:26], v[49:50], off offset:2560
	s_or_b32 exec_lo, exec_lo, s2
                                        ; implicit-def: $vgpr27_vgpr28
	s_and_saveexec_b32 s2, s12
	s_cbranch_execz .LBB39_161
.LBB39_294:
	global_load_b64 v[27:28], v[49:50], off offset:2816
	s_or_b32 exec_lo, exec_lo, s2
                                        ; implicit-def: $vgpr29_vgpr30
	s_and_saveexec_b32 s2, s13
	s_cbranch_execz .LBB39_162
.LBB39_295:
	global_load_b64 v[29:30], v[49:50], off offset:3072
	s_or_b32 exec_lo, exec_lo, s2
                                        ; implicit-def: $vgpr31_vgpr32
	s_and_saveexec_b32 s2, s14
	s_cbranch_execz .LBB39_163
.LBB39_296:
	global_load_b64 v[31:32], v[49:50], off offset:3328
	s_or_b32 exec_lo, exec_lo, s2
                                        ; implicit-def: $vgpr33_vgpr34
	s_and_saveexec_b32 s2, s16
	s_cbranch_execz .LBB39_164
.LBB39_297:
	global_load_b64 v[33:34], v[49:50], off offset:3584
	s_or_b32 exec_lo, exec_lo, s2
                                        ; implicit-def: $vgpr35_vgpr36
	s_and_saveexec_b32 s2, s18
	s_cbranch_execz .LBB39_165
.LBB39_298:
	global_load_b64 v[35:36], v[49:50], off offset:3840
	s_or_b32 exec_lo, exec_lo, s2
                                        ; implicit-def: $vgpr37_vgpr38
	s_and_saveexec_b32 s2, s23
	s_cbranch_execz .LBB39_166
.LBB39_299:
	v_add_co_u32 v37, vcc_lo, 0x1000, v49
	v_add_co_ci_u32_e32 v38, vcc_lo, 0, v50, vcc_lo
	global_load_b64 v[37:38], v[37:38], off
	s_or_b32 exec_lo, exec_lo, s2
                                        ; implicit-def: $vgpr39_vgpr40
	s_and_saveexec_b32 s2, s21
	s_cbranch_execz .LBB39_167
.LBB39_300:
	v_add_co_u32 v39, vcc_lo, 0x1000, v49
	v_add_co_ci_u32_e32 v40, vcc_lo, 0, v50, vcc_lo
	global_load_b64 v[39:40], v[39:40], off offset:256
	s_or_b32 exec_lo, exec_lo, s2
                                        ; implicit-def: $vgpr41_vgpr42
	s_and_saveexec_b32 s2, s22
	s_cbranch_execz .LBB39_168
.LBB39_301:
	v_add_co_u32 v41, vcc_lo, 0x1000, v49
	v_add_co_ci_u32_e32 v42, vcc_lo, 0, v50, vcc_lo
	global_load_b64 v[41:42], v[41:42], off offset:512
	s_or_b32 exec_lo, exec_lo, s2
                                        ; implicit-def: $vgpr43_vgpr44
	s_and_saveexec_b32 s2, s19
	s_cbranch_execz .LBB39_169
.LBB39_302:
	v_add_co_u32 v43, vcc_lo, 0x1000, v49
	v_add_co_ci_u32_e32 v44, vcc_lo, 0, v50, vcc_lo
	global_load_b64 v[43:44], v[43:44], off offset:768
	s_or_b32 exec_lo, exec_lo, s2
                                        ; implicit-def: $vgpr45_vgpr46
	s_and_saveexec_b32 s2, s20
	s_cbranch_execz .LBB39_170
.LBB39_303:
	v_add_co_u32 v45, vcc_lo, 0x1000, v49
	v_add_co_ci_u32_e32 v46, vcc_lo, 0, v50, vcc_lo
	global_load_b64 v[45:46], v[45:46], off offset:1024
	s_or_b32 exec_lo, exec_lo, s2
                                        ; implicit-def: $vgpr47_vgpr48
	s_and_saveexec_b32 s2, s17
	s_cbranch_execz .LBB39_171
.LBB39_304:
	v_add_co_u32 v47, vcc_lo, 0x1000, v49
	v_add_co_ci_u32_e32 v48, vcc_lo, 0, v50, vcc_lo
	global_load_b64 v[47:48], v[47:48], off offset:1280
	s_or_b32 exec_lo, exec_lo, s2
                                        ; implicit-def: $vgpr115
	s_and_saveexec_b32 s2, s24
	s_cbranch_execz .LBB39_172
.LBB39_305:
	ds_load_u8 v49, v1 offset:2048
	s_waitcnt lgkmcnt(0)
	v_lshrrev_b32_e32 v49, s60, v49
	s_delay_alu instid0(VALU_DEP_1)
	v_and_b32_e32 v115, s68, v49
	s_or_b32 exec_lo, exec_lo, s2
                                        ; implicit-def: $vgpr114
	s_and_saveexec_b32 s2, s25
	s_cbranch_execz .LBB39_173
.LBB39_306:
	ds_load_u8 v49, v1 offset:2304
	s_waitcnt lgkmcnt(0)
	v_lshrrev_b32_e32 v49, s60, v49
	s_delay_alu instid0(VALU_DEP_1)
	v_and_b32_e32 v114, s68, v49
	s_or_b32 exec_lo, exec_lo, s2
                                        ; implicit-def: $vgpr113
	s_and_saveexec_b32 s2, s26
	s_cbranch_execz .LBB39_174
.LBB39_307:
	ds_load_u8 v49, v1 offset:2560
	s_waitcnt lgkmcnt(0)
	v_lshrrev_b32_e32 v49, s60, v49
	s_delay_alu instid0(VALU_DEP_1)
	v_and_b32_e32 v113, s68, v49
	s_or_b32 exec_lo, exec_lo, s2
                                        ; implicit-def: $vgpr112
	s_and_saveexec_b32 s2, s27
	s_cbranch_execz .LBB39_175
.LBB39_308:
	ds_load_u8 v49, v1 offset:2816
	s_waitcnt lgkmcnt(0)
	v_lshrrev_b32_e32 v49, s60, v49
	s_delay_alu instid0(VALU_DEP_1)
	v_and_b32_e32 v112, s68, v49
	s_or_b32 exec_lo, exec_lo, s2
                                        ; implicit-def: $vgpr111
	s_and_saveexec_b32 s2, s28
	s_cbranch_execz .LBB39_176
.LBB39_309:
	ds_load_u8 v49, v1 offset:3072
	s_waitcnt lgkmcnt(0)
	v_lshrrev_b32_e32 v49, s60, v49
	s_delay_alu instid0(VALU_DEP_1)
	v_and_b32_e32 v111, s68, v49
	s_or_b32 exec_lo, exec_lo, s2
                                        ; implicit-def: $vgpr110
	s_and_saveexec_b32 s2, s29
	s_cbranch_execz .LBB39_177
.LBB39_310:
	ds_load_u8 v49, v1 offset:3328
	s_waitcnt lgkmcnt(0)
	v_lshrrev_b32_e32 v49, s60, v49
	s_delay_alu instid0(VALU_DEP_1)
	v_and_b32_e32 v110, s68, v49
	s_or_b32 exec_lo, exec_lo, s2
                                        ; implicit-def: $vgpr109
	s_and_saveexec_b32 s2, s30
	s_cbranch_execz .LBB39_178
.LBB39_311:
	ds_load_u8 v49, v1 offset:3584
	s_waitcnt lgkmcnt(0)
	v_lshrrev_b32_e32 v49, s60, v49
	s_delay_alu instid0(VALU_DEP_1)
	v_and_b32_e32 v109, s68, v49
	s_or_b32 exec_lo, exec_lo, s2
                                        ; implicit-def: $vgpr108
	s_and_saveexec_b32 s2, s31
	s_cbranch_execz .LBB39_179
.LBB39_312:
	ds_load_u8 v49, v1 offset:3840
	s_waitcnt lgkmcnt(0)
	v_lshrrev_b32_e32 v49, s60, v49
	s_delay_alu instid0(VALU_DEP_1)
	v_and_b32_e32 v108, s68, v49
	s_or_b32 exec_lo, exec_lo, s2
                                        ; implicit-def: $vgpr107
	s_and_saveexec_b32 s2, s33
	s_cbranch_execz .LBB39_180
.LBB39_313:
	ds_load_u8 v49, v1 offset:4096
	s_waitcnt lgkmcnt(0)
	v_lshrrev_b32_e32 v49, s60, v49
	s_delay_alu instid0(VALU_DEP_1)
	v_and_b32_e32 v107, s68, v49
	s_or_b32 exec_lo, exec_lo, s2
                                        ; implicit-def: $vgpr106
	s_and_saveexec_b32 s2, s34
	s_cbranch_execz .LBB39_181
.LBB39_314:
	ds_load_u8 v49, v1 offset:4352
	s_waitcnt lgkmcnt(0)
	v_lshrrev_b32_e32 v49, s60, v49
	s_delay_alu instid0(VALU_DEP_1)
	v_and_b32_e32 v106, s68, v49
	s_or_b32 exec_lo, exec_lo, s2
                                        ; implicit-def: $vgpr105
	s_and_saveexec_b32 s2, s35
	s_cbranch_execz .LBB39_182
.LBB39_315:
	ds_load_u8 v49, v1 offset:4608
	s_waitcnt lgkmcnt(0)
	v_lshrrev_b32_e32 v49, s60, v49
	s_delay_alu instid0(VALU_DEP_1)
	v_and_b32_e32 v105, s68, v49
	s_or_b32 exec_lo, exec_lo, s2
                                        ; implicit-def: $vgpr104
	s_and_saveexec_b32 s2, s36
	s_cbranch_execz .LBB39_183
.LBB39_316:
	ds_load_u8 v49, v1 offset:4864
	s_waitcnt lgkmcnt(0)
	v_lshrrev_b32_e32 v49, s60, v49
	s_delay_alu instid0(VALU_DEP_1)
	v_and_b32_e32 v104, s68, v49
	s_or_b32 exec_lo, exec_lo, s2
                                        ; implicit-def: $vgpr103
	s_and_saveexec_b32 s2, s37
	s_cbranch_execz .LBB39_184
.LBB39_317:
	ds_load_u8 v49, v1 offset:5120
	s_waitcnt lgkmcnt(0)
	v_lshrrev_b32_e32 v49, s60, v49
	s_delay_alu instid0(VALU_DEP_1)
	v_and_b32_e32 v103, s68, v49
	s_or_b32 exec_lo, exec_lo, s2
                                        ; implicit-def: $vgpr102
	s_and_saveexec_b32 s2, s38
	s_cbranch_execz .LBB39_185
.LBB39_318:
	ds_load_u8 v49, v1 offset:5376
	s_waitcnt lgkmcnt(0)
	v_lshrrev_b32_e32 v49, s60, v49
	s_delay_alu instid0(VALU_DEP_1)
	v_and_b32_e32 v102, s68, v49
	s_or_b32 exec_lo, exec_lo, s2
                                        ; implicit-def: $vgpr101
	s_and_saveexec_b32 s2, s39
	s_cbranch_execz .LBB39_186
.LBB39_319:
	ds_load_u8 v49, v1 offset:5632
	s_waitcnt lgkmcnt(0)
	v_lshrrev_b32_e32 v49, s60, v49
	s_delay_alu instid0(VALU_DEP_1)
	v_and_b32_e32 v101, s68, v49
	s_or_b32 exec_lo, exec_lo, s2
                                        ; implicit-def: $vgpr100
	s_and_saveexec_b32 s2, s40
	s_cbranch_execz .LBB39_187
.LBB39_320:
	ds_load_u8 v49, v1 offset:5888
	s_waitcnt lgkmcnt(0)
	v_lshrrev_b32_e32 v49, s60, v49
	s_delay_alu instid0(VALU_DEP_1)
	v_and_b32_e32 v100, s68, v49
	s_or_b32 exec_lo, exec_lo, s2
                                        ; implicit-def: $vgpr99
	s_and_saveexec_b32 s2, s41
	s_cbranch_execz .LBB39_188
.LBB39_321:
	ds_load_u8 v49, v1 offset:6144
	s_waitcnt lgkmcnt(0)
	v_lshrrev_b32_e32 v49, s60, v49
	s_delay_alu instid0(VALU_DEP_1)
	v_and_b32_e32 v99, s68, v49
	s_or_b32 exec_lo, exec_lo, s2
                                        ; implicit-def: $vgpr98
	s_and_saveexec_b32 s2, s42
	s_cbranch_execz .LBB39_189
.LBB39_322:
	ds_load_u8 v49, v1 offset:6400
	s_waitcnt lgkmcnt(0)
	v_lshrrev_b32_e32 v49, s60, v49
	s_delay_alu instid0(VALU_DEP_1)
	v_and_b32_e32 v98, s68, v49
	s_or_b32 exec_lo, exec_lo, s2
                                        ; implicit-def: $vgpr97
	s_and_saveexec_b32 s2, s43
	s_cbranch_execz .LBB39_190
.LBB39_323:
	ds_load_u8 v49, v1 offset:6656
	s_waitcnt lgkmcnt(0)
	v_lshrrev_b32_e32 v49, s60, v49
	s_delay_alu instid0(VALU_DEP_1)
	v_and_b32_e32 v97, s68, v49
	s_or_b32 exec_lo, exec_lo, s2
                                        ; implicit-def: $vgpr96
	s_and_saveexec_b32 s2, s44
	s_cbranch_execz .LBB39_191
.LBB39_324:
	ds_load_u8 v49, v1 offset:6912
	s_waitcnt lgkmcnt(0)
	v_lshrrev_b32_e32 v49, s60, v49
	s_delay_alu instid0(VALU_DEP_1)
	v_and_b32_e32 v96, s68, v49
	s_or_b32 exec_lo, exec_lo, s2
                                        ; implicit-def: $vgpr50
	s_and_saveexec_b32 s2, s45
	s_cbranch_execz .LBB39_192
.LBB39_325:
	ds_load_u8 v49, v1 offset:7168
	s_waitcnt lgkmcnt(0)
	v_lshrrev_b32_e32 v49, s60, v49
	s_delay_alu instid0(VALU_DEP_1)
	v_and_b32_e32 v50, s68, v49
	s_or_b32 exec_lo, exec_lo, s2
                                        ; implicit-def: $vgpr49
	s_and_saveexec_b32 s2, s46
	s_cbranch_execnz .LBB39_193
	s_branch .LBB39_194
.LBB39_326:
	v_lshlrev_b32_e32 v5, 3, v115
	ds_load_b64 v[5:6], v5
	ds_load_b64 v[7:8], v53 offset:2048
	s_waitcnt lgkmcnt(1)
	v_lshlrev_b64 v[5:6], 3, v[5:6]
	s_delay_alu instid0(VALU_DEP_1) | instskip(NEXT) | instid1(VALU_DEP_2)
	v_add_co_u32 v5, vcc_lo, s54, v5
	v_add_co_ci_u32_e32 v6, vcc_lo, s55, v6, vcc_lo
	s_delay_alu instid0(VALU_DEP_2) | instskip(NEXT) | instid1(VALU_DEP_2)
	v_add_co_u32 v5, vcc_lo, v5, v53
	v_add_co_ci_u32_e32 v6, vcc_lo, 0, v6, vcc_lo
	s_waitcnt lgkmcnt(0)
	global_store_b64 v[5:6], v[7:8], off
	s_or_b32 exec_lo, exec_lo, s2
	s_and_saveexec_b32 s2, s25
	s_cbranch_execz .LBB39_196
.LBB39_327:
	v_lshlrev_b32_e32 v5, 3, v114
	v_lshlrev_b32_e32 v9, 3, v1
	ds_load_b64 v[5:6], v5
	ds_load_b64 v[7:8], v9 offset:4096
	s_waitcnt lgkmcnt(1)
	v_lshlrev_b64 v[5:6], 3, v[5:6]
	s_delay_alu instid0(VALU_DEP_1) | instskip(NEXT) | instid1(VALU_DEP_2)
	v_add_co_u32 v5, vcc_lo, s54, v5
	v_add_co_ci_u32_e32 v6, vcc_lo, s55, v6, vcc_lo
	s_delay_alu instid0(VALU_DEP_2) | instskip(NEXT) | instid1(VALU_DEP_2)
	v_add_co_u32 v5, vcc_lo, v5, v9
	v_add_co_ci_u32_e32 v6, vcc_lo, 0, v6, vcc_lo
	s_waitcnt lgkmcnt(0)
	global_store_b64 v[5:6], v[7:8], off offset:2048
	s_or_b32 exec_lo, exec_lo, s2
	s_and_saveexec_b32 s2, s26
	s_cbranch_execz .LBB39_197
.LBB39_328:
	v_lshlrev_b32_e32 v5, 3, v113
	v_lshlrev_b32_e32 v7, 3, v1
	;; [unrolled: 1-line block ×3, first 2 shown]
	ds_load_b64 v[5:6], v5
	ds_load_b64 v[7:8], v7 offset:6144
	s_waitcnt lgkmcnt(1)
	v_lshlrev_b64 v[5:6], 3, v[5:6]
	s_delay_alu instid0(VALU_DEP_1) | instskip(NEXT) | instid1(VALU_DEP_2)
	v_add_co_u32 v5, vcc_lo, s54, v5
	v_add_co_ci_u32_e32 v6, vcc_lo, s55, v6, vcc_lo
	s_delay_alu instid0(VALU_DEP_2) | instskip(NEXT) | instid1(VALU_DEP_2)
	v_add_co_u32 v5, vcc_lo, v5, v9
	v_add_co_ci_u32_e32 v6, vcc_lo, 0, v6, vcc_lo
	s_waitcnt lgkmcnt(0)
	global_store_b64 v[5:6], v[7:8], off
	s_or_b32 exec_lo, exec_lo, s2
	s_and_saveexec_b32 s2, s27
	s_cbranch_execz .LBB39_198
.LBB39_329:
	v_lshlrev_b32_e32 v5, 3, v112
	v_lshlrev_b32_e32 v7, 3, v1
	;; [unrolled: 1-line block ×3, first 2 shown]
	ds_load_b64 v[5:6], v5
	ds_load_b64 v[7:8], v7 offset:8192
	s_waitcnt lgkmcnt(1)
	v_lshlrev_b64 v[5:6], 3, v[5:6]
	s_delay_alu instid0(VALU_DEP_1) | instskip(NEXT) | instid1(VALU_DEP_2)
	v_add_co_u32 v5, vcc_lo, s54, v5
	v_add_co_ci_u32_e32 v6, vcc_lo, s55, v6, vcc_lo
	s_delay_alu instid0(VALU_DEP_2) | instskip(NEXT) | instid1(VALU_DEP_2)
	v_add_co_u32 v5, vcc_lo, v5, v9
	v_add_co_ci_u32_e32 v6, vcc_lo, 0, v6, vcc_lo
	s_waitcnt lgkmcnt(0)
	global_store_b64 v[5:6], v[7:8], off
	s_or_b32 exec_lo, exec_lo, s2
	s_and_saveexec_b32 s2, s28
	s_cbranch_execz .LBB39_199
.LBB39_330:
	v_lshlrev_b32_e32 v5, 3, v111
	v_lshlrev_b32_e32 v7, 3, v1
	;; [unrolled: 1-line block ×3, first 2 shown]
	ds_load_b64 v[5:6], v5
	ds_load_b64 v[7:8], v7 offset:10240
	s_waitcnt lgkmcnt(1)
	v_lshlrev_b64 v[5:6], 3, v[5:6]
	s_delay_alu instid0(VALU_DEP_1) | instskip(NEXT) | instid1(VALU_DEP_2)
	v_add_co_u32 v5, vcc_lo, s54, v5
	v_add_co_ci_u32_e32 v6, vcc_lo, s55, v6, vcc_lo
	s_delay_alu instid0(VALU_DEP_2) | instskip(NEXT) | instid1(VALU_DEP_2)
	v_add_co_u32 v5, vcc_lo, v5, v9
	v_add_co_ci_u32_e32 v6, vcc_lo, 0, v6, vcc_lo
	s_waitcnt lgkmcnt(0)
	global_store_b64 v[5:6], v[7:8], off
	s_or_b32 exec_lo, exec_lo, s2
	s_and_saveexec_b32 s2, s29
	s_cbranch_execz .LBB39_200
.LBB39_331:
	v_lshlrev_b32_e32 v5, 3, v110
	v_lshlrev_b32_e32 v7, 3, v1
	;; [unrolled: 1-line block ×3, first 2 shown]
	ds_load_b64 v[5:6], v5
	ds_load_b64 v[7:8], v7 offset:12288
	s_waitcnt lgkmcnt(1)
	v_lshlrev_b64 v[5:6], 3, v[5:6]
	s_delay_alu instid0(VALU_DEP_1) | instskip(NEXT) | instid1(VALU_DEP_2)
	v_add_co_u32 v5, vcc_lo, s54, v5
	v_add_co_ci_u32_e32 v6, vcc_lo, s55, v6, vcc_lo
	s_delay_alu instid0(VALU_DEP_2) | instskip(NEXT) | instid1(VALU_DEP_2)
	v_add_co_u32 v5, vcc_lo, v5, v9
	v_add_co_ci_u32_e32 v6, vcc_lo, 0, v6, vcc_lo
	s_waitcnt lgkmcnt(0)
	global_store_b64 v[5:6], v[7:8], off
	s_or_b32 exec_lo, exec_lo, s2
	s_and_saveexec_b32 s2, s30
	s_cbranch_execz .LBB39_201
.LBB39_332:
	v_lshlrev_b32_e32 v5, 3, v109
	v_lshlrev_b32_e32 v7, 3, v1
	;; [unrolled: 1-line block ×3, first 2 shown]
	ds_load_b64 v[5:6], v5
	ds_load_b64 v[7:8], v7 offset:14336
	s_waitcnt lgkmcnt(1)
	v_lshlrev_b64 v[5:6], 3, v[5:6]
	s_delay_alu instid0(VALU_DEP_1) | instskip(NEXT) | instid1(VALU_DEP_2)
	v_add_co_u32 v5, vcc_lo, s54, v5
	v_add_co_ci_u32_e32 v6, vcc_lo, s55, v6, vcc_lo
	s_delay_alu instid0(VALU_DEP_2) | instskip(NEXT) | instid1(VALU_DEP_2)
	v_add_co_u32 v5, vcc_lo, v5, v9
	v_add_co_ci_u32_e32 v6, vcc_lo, 0, v6, vcc_lo
	s_waitcnt lgkmcnt(0)
	global_store_b64 v[5:6], v[7:8], off
	s_or_b32 exec_lo, exec_lo, s2
	s_and_saveexec_b32 s2, s31
	s_cbranch_execz .LBB39_202
.LBB39_333:
	v_lshlrev_b32_e32 v5, 3, v108
	v_lshlrev_b32_e32 v7, 3, v1
	;; [unrolled: 1-line block ×3, first 2 shown]
	ds_load_b64 v[5:6], v5
	ds_load_b64 v[7:8], v7 offset:16384
	s_waitcnt lgkmcnt(1)
	v_lshlrev_b64 v[5:6], 3, v[5:6]
	s_delay_alu instid0(VALU_DEP_1) | instskip(NEXT) | instid1(VALU_DEP_2)
	v_add_co_u32 v5, vcc_lo, s54, v5
	v_add_co_ci_u32_e32 v6, vcc_lo, s55, v6, vcc_lo
	s_delay_alu instid0(VALU_DEP_2) | instskip(NEXT) | instid1(VALU_DEP_2)
	v_add_co_u32 v5, vcc_lo, v5, v9
	v_add_co_ci_u32_e32 v6, vcc_lo, 0, v6, vcc_lo
	s_waitcnt lgkmcnt(0)
	global_store_b64 v[5:6], v[7:8], off
	s_or_b32 exec_lo, exec_lo, s2
	s_and_saveexec_b32 s2, s33
	s_cbranch_execz .LBB39_203
.LBB39_334:
	v_lshlrev_b32_e32 v5, 3, v107
	v_lshlrev_b32_e32 v7, 3, v1
	;; [unrolled: 1-line block ×3, first 2 shown]
	ds_load_b64 v[5:6], v5
	ds_load_b64 v[7:8], v7 offset:18432
	s_waitcnt lgkmcnt(1)
	v_lshlrev_b64 v[5:6], 3, v[5:6]
	s_delay_alu instid0(VALU_DEP_1) | instskip(NEXT) | instid1(VALU_DEP_2)
	v_add_co_u32 v5, vcc_lo, s54, v5
	v_add_co_ci_u32_e32 v6, vcc_lo, s55, v6, vcc_lo
	s_delay_alu instid0(VALU_DEP_2) | instskip(NEXT) | instid1(VALU_DEP_2)
	v_add_co_u32 v5, vcc_lo, v5, v9
	v_add_co_ci_u32_e32 v6, vcc_lo, 0, v6, vcc_lo
	s_waitcnt lgkmcnt(0)
	global_store_b64 v[5:6], v[7:8], off
	s_or_b32 exec_lo, exec_lo, s2
	s_and_saveexec_b32 s2, s34
	s_cbranch_execz .LBB39_204
.LBB39_335:
	v_lshlrev_b32_e32 v5, 3, v106
	v_lshlrev_b32_e32 v7, 3, v1
	;; [unrolled: 1-line block ×3, first 2 shown]
	ds_load_b64 v[5:6], v5
	ds_load_b64 v[7:8], v7 offset:20480
	s_waitcnt lgkmcnt(1)
	v_lshlrev_b64 v[5:6], 3, v[5:6]
	s_delay_alu instid0(VALU_DEP_1) | instskip(NEXT) | instid1(VALU_DEP_2)
	v_add_co_u32 v5, vcc_lo, s54, v5
	v_add_co_ci_u32_e32 v6, vcc_lo, s55, v6, vcc_lo
	s_delay_alu instid0(VALU_DEP_2) | instskip(NEXT) | instid1(VALU_DEP_2)
	v_add_co_u32 v5, vcc_lo, v5, v9
	v_add_co_ci_u32_e32 v6, vcc_lo, 0, v6, vcc_lo
	s_waitcnt lgkmcnt(0)
	global_store_b64 v[5:6], v[7:8], off
	s_or_b32 exec_lo, exec_lo, s2
	s_and_saveexec_b32 s2, s35
	s_cbranch_execz .LBB39_205
.LBB39_336:
	v_lshlrev_b32_e32 v5, 3, v105
	v_lshlrev_b32_e32 v7, 3, v1
	;; [unrolled: 1-line block ×3, first 2 shown]
	ds_load_b64 v[5:6], v5
	ds_load_b64 v[7:8], v7 offset:22528
	s_waitcnt lgkmcnt(1)
	v_lshlrev_b64 v[5:6], 3, v[5:6]
	s_delay_alu instid0(VALU_DEP_1) | instskip(NEXT) | instid1(VALU_DEP_2)
	v_add_co_u32 v5, vcc_lo, s54, v5
	v_add_co_ci_u32_e32 v6, vcc_lo, s55, v6, vcc_lo
	s_delay_alu instid0(VALU_DEP_2) | instskip(NEXT) | instid1(VALU_DEP_2)
	v_add_co_u32 v5, vcc_lo, v5, v9
	v_add_co_ci_u32_e32 v6, vcc_lo, 0, v6, vcc_lo
	s_waitcnt lgkmcnt(0)
	global_store_b64 v[5:6], v[7:8], off
	s_or_b32 exec_lo, exec_lo, s2
	s_and_saveexec_b32 s2, s36
	s_cbranch_execz .LBB39_206
.LBB39_337:
	v_lshlrev_b32_e32 v5, 3, v104
	v_lshlrev_b32_e32 v7, 3, v1
	;; [unrolled: 1-line block ×3, first 2 shown]
	ds_load_b64 v[5:6], v5
	ds_load_b64 v[7:8], v7 offset:24576
	s_waitcnt lgkmcnt(1)
	v_lshlrev_b64 v[5:6], 3, v[5:6]
	s_delay_alu instid0(VALU_DEP_1) | instskip(NEXT) | instid1(VALU_DEP_2)
	v_add_co_u32 v5, vcc_lo, s54, v5
	v_add_co_ci_u32_e32 v6, vcc_lo, s55, v6, vcc_lo
	s_delay_alu instid0(VALU_DEP_2) | instskip(NEXT) | instid1(VALU_DEP_2)
	v_add_co_u32 v5, vcc_lo, v5, v9
	v_add_co_ci_u32_e32 v6, vcc_lo, 0, v6, vcc_lo
	s_waitcnt lgkmcnt(0)
	global_store_b64 v[5:6], v[7:8], off
	s_or_b32 exec_lo, exec_lo, s2
	s_and_saveexec_b32 s2, s37
	s_cbranch_execz .LBB39_207
.LBB39_338:
	v_lshlrev_b32_e32 v5, 3, v103
	v_lshlrev_b32_e32 v7, 3, v1
	;; [unrolled: 1-line block ×3, first 2 shown]
	ds_load_b64 v[5:6], v5
	ds_load_b64 v[7:8], v7 offset:26624
	s_waitcnt lgkmcnt(1)
	v_lshlrev_b64 v[5:6], 3, v[5:6]
	s_delay_alu instid0(VALU_DEP_1) | instskip(NEXT) | instid1(VALU_DEP_2)
	v_add_co_u32 v5, vcc_lo, s54, v5
	v_add_co_ci_u32_e32 v6, vcc_lo, s55, v6, vcc_lo
	s_delay_alu instid0(VALU_DEP_2) | instskip(NEXT) | instid1(VALU_DEP_2)
	v_add_co_u32 v5, vcc_lo, v5, v9
	v_add_co_ci_u32_e32 v6, vcc_lo, 0, v6, vcc_lo
	s_waitcnt lgkmcnt(0)
	global_store_b64 v[5:6], v[7:8], off
	s_or_b32 exec_lo, exec_lo, s2
	s_and_saveexec_b32 s2, s38
	s_cbranch_execz .LBB39_208
.LBB39_339:
	v_lshlrev_b32_e32 v5, 3, v102
	v_lshlrev_b32_e32 v7, 3, v1
	v_lshlrev_b32_e32 v9, 3, v87
	ds_load_b64 v[5:6], v5
	ds_load_b64 v[7:8], v7 offset:28672
	s_waitcnt lgkmcnt(1)
	v_lshlrev_b64 v[5:6], 3, v[5:6]
	s_delay_alu instid0(VALU_DEP_1) | instskip(NEXT) | instid1(VALU_DEP_2)
	v_add_co_u32 v5, vcc_lo, s54, v5
	v_add_co_ci_u32_e32 v6, vcc_lo, s55, v6, vcc_lo
	s_delay_alu instid0(VALU_DEP_2) | instskip(NEXT) | instid1(VALU_DEP_2)
	v_add_co_u32 v5, vcc_lo, v5, v9
	v_add_co_ci_u32_e32 v6, vcc_lo, 0, v6, vcc_lo
	s_waitcnt lgkmcnt(0)
	global_store_b64 v[5:6], v[7:8], off
	s_or_b32 exec_lo, exec_lo, s2
	s_and_saveexec_b32 s2, s39
	s_cbranch_execz .LBB39_209
.LBB39_340:
	v_lshlrev_b32_e32 v5, 3, v101
	v_lshlrev_b32_e32 v7, 3, v1
	;; [unrolled: 1-line block ×3, first 2 shown]
	ds_load_b64 v[5:6], v5
	ds_load_b64 v[7:8], v7 offset:30720
	s_waitcnt lgkmcnt(1)
	v_lshlrev_b64 v[5:6], 3, v[5:6]
	s_delay_alu instid0(VALU_DEP_1) | instskip(NEXT) | instid1(VALU_DEP_2)
	v_add_co_u32 v5, vcc_lo, s54, v5
	v_add_co_ci_u32_e32 v6, vcc_lo, s55, v6, vcc_lo
	s_delay_alu instid0(VALU_DEP_2) | instskip(NEXT) | instid1(VALU_DEP_2)
	v_add_co_u32 v5, vcc_lo, v5, v9
	v_add_co_ci_u32_e32 v6, vcc_lo, 0, v6, vcc_lo
	s_waitcnt lgkmcnt(0)
	global_store_b64 v[5:6], v[7:8], off
	s_or_b32 exec_lo, exec_lo, s2
	s_and_saveexec_b32 s2, s40
	s_cbranch_execz .LBB39_210
.LBB39_341:
	v_lshlrev_b32_e32 v5, 3, v100
	v_lshlrev_b32_e32 v7, 3, v1
	;; [unrolled: 1-line block ×3, first 2 shown]
	ds_load_b64 v[5:6], v5
	ds_load_b64 v[7:8], v7 offset:32768
	s_waitcnt lgkmcnt(1)
	v_lshlrev_b64 v[5:6], 3, v[5:6]
	s_delay_alu instid0(VALU_DEP_1) | instskip(NEXT) | instid1(VALU_DEP_2)
	v_add_co_u32 v5, vcc_lo, s54, v5
	v_add_co_ci_u32_e32 v6, vcc_lo, s55, v6, vcc_lo
	s_delay_alu instid0(VALU_DEP_2) | instskip(NEXT) | instid1(VALU_DEP_2)
	v_add_co_u32 v5, vcc_lo, v5, v9
	v_add_co_ci_u32_e32 v6, vcc_lo, 0, v6, vcc_lo
	s_waitcnt lgkmcnt(0)
	global_store_b64 v[5:6], v[7:8], off
	s_or_b32 exec_lo, exec_lo, s2
	s_and_saveexec_b32 s2, s41
	s_cbranch_execz .LBB39_211
.LBB39_342:
	v_lshlrev_b32_e32 v5, 3, v99
	v_lshlrev_b32_e32 v7, 3, v1
	;; [unrolled: 1-line block ×3, first 2 shown]
	ds_load_b64 v[5:6], v5
	ds_load_b64 v[7:8], v7 offset:34816
	s_waitcnt lgkmcnt(1)
	v_lshlrev_b64 v[5:6], 3, v[5:6]
	s_delay_alu instid0(VALU_DEP_1) | instskip(NEXT) | instid1(VALU_DEP_2)
	v_add_co_u32 v5, vcc_lo, s54, v5
	v_add_co_ci_u32_e32 v6, vcc_lo, s55, v6, vcc_lo
	s_delay_alu instid0(VALU_DEP_2) | instskip(NEXT) | instid1(VALU_DEP_2)
	v_add_co_u32 v5, vcc_lo, v5, v9
	v_add_co_ci_u32_e32 v6, vcc_lo, 0, v6, vcc_lo
	s_waitcnt lgkmcnt(0)
	global_store_b64 v[5:6], v[7:8], off
	s_or_b32 exec_lo, exec_lo, s2
	s_and_saveexec_b32 s2, s42
	s_cbranch_execz .LBB39_212
.LBB39_343:
	v_lshlrev_b32_e32 v5, 3, v98
	v_lshlrev_b32_e32 v7, 3, v1
	;; [unrolled: 1-line block ×3, first 2 shown]
	ds_load_b64 v[5:6], v5
	ds_load_b64 v[7:8], v7 offset:36864
	s_waitcnt lgkmcnt(1)
	v_lshlrev_b64 v[5:6], 3, v[5:6]
	s_delay_alu instid0(VALU_DEP_1) | instskip(NEXT) | instid1(VALU_DEP_2)
	v_add_co_u32 v5, vcc_lo, s54, v5
	v_add_co_ci_u32_e32 v6, vcc_lo, s55, v6, vcc_lo
	s_delay_alu instid0(VALU_DEP_2) | instskip(NEXT) | instid1(VALU_DEP_2)
	v_add_co_u32 v5, vcc_lo, v5, v9
	v_add_co_ci_u32_e32 v6, vcc_lo, 0, v6, vcc_lo
	s_waitcnt lgkmcnt(0)
	global_store_b64 v[5:6], v[7:8], off
	s_or_b32 exec_lo, exec_lo, s2
	s_and_saveexec_b32 s2, s43
	s_cbranch_execz .LBB39_213
.LBB39_344:
	v_lshlrev_b32_e32 v5, 3, v97
	v_lshlrev_b32_e32 v7, 3, v1
	;; [unrolled: 1-line block ×3, first 2 shown]
	ds_load_b64 v[5:6], v5
	ds_load_b64 v[7:8], v7 offset:38912
	s_waitcnt lgkmcnt(1)
	v_lshlrev_b64 v[5:6], 3, v[5:6]
	s_delay_alu instid0(VALU_DEP_1) | instskip(NEXT) | instid1(VALU_DEP_2)
	v_add_co_u32 v5, vcc_lo, s54, v5
	v_add_co_ci_u32_e32 v6, vcc_lo, s55, v6, vcc_lo
	s_delay_alu instid0(VALU_DEP_2) | instskip(NEXT) | instid1(VALU_DEP_2)
	v_add_co_u32 v5, vcc_lo, v5, v9
	v_add_co_ci_u32_e32 v6, vcc_lo, 0, v6, vcc_lo
	s_waitcnt lgkmcnt(0)
	global_store_b64 v[5:6], v[7:8], off
	s_or_b32 exec_lo, exec_lo, s2
	s_and_saveexec_b32 s2, s44
	s_cbranch_execz .LBB39_214
.LBB39_345:
	v_lshlrev_b32_e32 v5, 3, v96
	v_lshlrev_b32_e32 v7, 3, v1
	;; [unrolled: 1-line block ×3, first 2 shown]
	ds_load_b64 v[5:6], v5
	ds_load_b64 v[7:8], v7 offset:40960
	s_waitcnt lgkmcnt(1)
	v_lshlrev_b64 v[5:6], 3, v[5:6]
	s_delay_alu instid0(VALU_DEP_1) | instskip(NEXT) | instid1(VALU_DEP_2)
	v_add_co_u32 v5, vcc_lo, s54, v5
	v_add_co_ci_u32_e32 v6, vcc_lo, s55, v6, vcc_lo
	s_delay_alu instid0(VALU_DEP_2) | instskip(NEXT) | instid1(VALU_DEP_2)
	v_add_co_u32 v5, vcc_lo, v5, v9
	v_add_co_ci_u32_e32 v6, vcc_lo, 0, v6, vcc_lo
	s_waitcnt lgkmcnt(0)
	global_store_b64 v[5:6], v[7:8], off
	s_or_b32 exec_lo, exec_lo, s2
	s_and_saveexec_b32 s2, s45
	s_cbranch_execz .LBB39_215
.LBB39_346:
	v_lshlrev_b32_e32 v5, 3, v50
	v_lshlrev_b32_e32 v7, 3, v1
	;; [unrolled: 1-line block ×3, first 2 shown]
	ds_load_b64 v[5:6], v5
	ds_load_b64 v[7:8], v7 offset:43008
	s_waitcnt lgkmcnt(1)
	v_lshlrev_b64 v[5:6], 3, v[5:6]
	s_delay_alu instid0(VALU_DEP_1) | instskip(NEXT) | instid1(VALU_DEP_2)
	v_add_co_u32 v5, vcc_lo, s54, v5
	v_add_co_ci_u32_e32 v6, vcc_lo, s55, v6, vcc_lo
	s_delay_alu instid0(VALU_DEP_2) | instskip(NEXT) | instid1(VALU_DEP_2)
	v_add_co_u32 v5, vcc_lo, v5, v9
	v_add_co_ci_u32_e32 v6, vcc_lo, 0, v6, vcc_lo
	s_waitcnt lgkmcnt(0)
	global_store_b64 v[5:6], v[7:8], off
	s_or_b32 exec_lo, exec_lo, s2
	s_and_saveexec_b32 s2, s46
	s_cbranch_execnz .LBB39_216
	s_branch .LBB39_217
	.section	.rodata,"a",@progbits
	.p2align	6, 0x0
	.amdhsa_kernel _ZN7rocprim17ROCPRIM_304000_NS6detail25onesweep_iteration_kernelINS1_34wrapped_radix_sort_onesweep_configINS0_14default_configEaN2at4cuda3cub6detail10OpaqueTypeILi8EEEEELb1EPaSC_PSA_SD_mNS0_19identity_decomposerEEEvT1_T2_T3_T4_jPT5_SK_PNS1_23onesweep_lookback_stateET6_jjj
		.amdhsa_group_segment_fixed_size 47104
		.amdhsa_private_segment_fixed_size 0
		.amdhsa_kernarg_size 336
		.amdhsa_user_sgpr_count 15
		.amdhsa_user_sgpr_dispatch_ptr 0
		.amdhsa_user_sgpr_queue_ptr 0
		.amdhsa_user_sgpr_kernarg_segment_ptr 1
		.amdhsa_user_sgpr_dispatch_id 0
		.amdhsa_user_sgpr_private_segment_size 0
		.amdhsa_wavefront_size32 1
		.amdhsa_uses_dynamic_stack 0
		.amdhsa_enable_private_segment 0
		.amdhsa_system_sgpr_workgroup_id_x 1
		.amdhsa_system_sgpr_workgroup_id_y 0
		.amdhsa_system_sgpr_workgroup_id_z 0
		.amdhsa_system_sgpr_workgroup_info 0
		.amdhsa_system_vgpr_workitem_id 2
		.amdhsa_next_free_vgpr 128
		.amdhsa_next_free_sgpr 72
		.amdhsa_reserve_vcc 1
		.amdhsa_float_round_mode_32 0
		.amdhsa_float_round_mode_16_64 0
		.amdhsa_float_denorm_mode_32 3
		.amdhsa_float_denorm_mode_16_64 3
		.amdhsa_dx10_clamp 1
		.amdhsa_ieee_mode 1
		.amdhsa_fp16_overflow 0
		.amdhsa_workgroup_processor_mode 1
		.amdhsa_memory_ordered 1
		.amdhsa_forward_progress 0
		.amdhsa_shared_vgpr_count 0
		.amdhsa_exception_fp_ieee_invalid_op 0
		.amdhsa_exception_fp_denorm_src 0
		.amdhsa_exception_fp_ieee_div_zero 0
		.amdhsa_exception_fp_ieee_overflow 0
		.amdhsa_exception_fp_ieee_underflow 0
		.amdhsa_exception_fp_ieee_inexact 0
		.amdhsa_exception_int_div_zero 0
	.end_amdhsa_kernel
	.section	.text._ZN7rocprim17ROCPRIM_304000_NS6detail25onesweep_iteration_kernelINS1_34wrapped_radix_sort_onesweep_configINS0_14default_configEaN2at4cuda3cub6detail10OpaqueTypeILi8EEEEELb1EPaSC_PSA_SD_mNS0_19identity_decomposerEEEvT1_T2_T3_T4_jPT5_SK_PNS1_23onesweep_lookback_stateET6_jjj,"axG",@progbits,_ZN7rocprim17ROCPRIM_304000_NS6detail25onesweep_iteration_kernelINS1_34wrapped_radix_sort_onesweep_configINS0_14default_configEaN2at4cuda3cub6detail10OpaqueTypeILi8EEEEELb1EPaSC_PSA_SD_mNS0_19identity_decomposerEEEvT1_T2_T3_T4_jPT5_SK_PNS1_23onesweep_lookback_stateET6_jjj,comdat
.Lfunc_end39:
	.size	_ZN7rocprim17ROCPRIM_304000_NS6detail25onesweep_iteration_kernelINS1_34wrapped_radix_sort_onesweep_configINS0_14default_configEaN2at4cuda3cub6detail10OpaqueTypeILi8EEEEELb1EPaSC_PSA_SD_mNS0_19identity_decomposerEEEvT1_T2_T3_T4_jPT5_SK_PNS1_23onesweep_lookback_stateET6_jjj, .Lfunc_end39-_ZN7rocprim17ROCPRIM_304000_NS6detail25onesweep_iteration_kernelINS1_34wrapped_radix_sort_onesweep_configINS0_14default_configEaN2at4cuda3cub6detail10OpaqueTypeILi8EEEEELb1EPaSC_PSA_SD_mNS0_19identity_decomposerEEEvT1_T2_T3_T4_jPT5_SK_PNS1_23onesweep_lookback_stateET6_jjj
                                        ; -- End function
	.section	.AMDGPU.csdata,"",@progbits
; Kernel info:
; codeLenInByte = 32132
; NumSgprs: 74
; NumVgprs: 128
; ScratchSize: 0
; MemoryBound: 0
; FloatMode: 240
; IeeeMode: 1
; LDSByteSize: 47104 bytes/workgroup (compile time only)
; SGPRBlocks: 9
; VGPRBlocks: 15
; NumSGPRsForWavesPerEU: 74
; NumVGPRsForWavesPerEU: 128
; Occupancy: 4
; WaveLimiterHint : 1
; COMPUTE_PGM_RSRC2:SCRATCH_EN: 0
; COMPUTE_PGM_RSRC2:USER_SGPR: 15
; COMPUTE_PGM_RSRC2:TRAP_HANDLER: 0
; COMPUTE_PGM_RSRC2:TGID_X_EN: 1
; COMPUTE_PGM_RSRC2:TGID_Y_EN: 0
; COMPUTE_PGM_RSRC2:TGID_Z_EN: 0
; COMPUTE_PGM_RSRC2:TIDIG_COMP_CNT: 2
	.section	.text._ZN7rocprim17ROCPRIM_304000_NS6detail28radix_sort_block_sort_kernelINS1_36wrapped_radix_sort_block_sort_configINS0_13kernel_configILj256ELj4ELj4294967295EEEaN2at4cuda3cub6detail10OpaqueTypeILi8EEEEELb0EPKaPaPKSB_PSB_NS0_19identity_decomposerEEEvT1_T2_T3_T4_jT5_jj,"axG",@progbits,_ZN7rocprim17ROCPRIM_304000_NS6detail28radix_sort_block_sort_kernelINS1_36wrapped_radix_sort_block_sort_configINS0_13kernel_configILj256ELj4ELj4294967295EEEaN2at4cuda3cub6detail10OpaqueTypeILi8EEEEELb0EPKaPaPKSB_PSB_NS0_19identity_decomposerEEEvT1_T2_T3_T4_jT5_jj,comdat
	.protected	_ZN7rocprim17ROCPRIM_304000_NS6detail28radix_sort_block_sort_kernelINS1_36wrapped_radix_sort_block_sort_configINS0_13kernel_configILj256ELj4ELj4294967295EEEaN2at4cuda3cub6detail10OpaqueTypeILi8EEEEELb0EPKaPaPKSB_PSB_NS0_19identity_decomposerEEEvT1_T2_T3_T4_jT5_jj ; -- Begin function _ZN7rocprim17ROCPRIM_304000_NS6detail28radix_sort_block_sort_kernelINS1_36wrapped_radix_sort_block_sort_configINS0_13kernel_configILj256ELj4ELj4294967295EEEaN2at4cuda3cub6detail10OpaqueTypeILi8EEEEELb0EPKaPaPKSB_PSB_NS0_19identity_decomposerEEEvT1_T2_T3_T4_jT5_jj
	.globl	_ZN7rocprim17ROCPRIM_304000_NS6detail28radix_sort_block_sort_kernelINS1_36wrapped_radix_sort_block_sort_configINS0_13kernel_configILj256ELj4ELj4294967295EEEaN2at4cuda3cub6detail10OpaqueTypeILi8EEEEELb0EPKaPaPKSB_PSB_NS0_19identity_decomposerEEEvT1_T2_T3_T4_jT5_jj
	.p2align	8
	.type	_ZN7rocprim17ROCPRIM_304000_NS6detail28radix_sort_block_sort_kernelINS1_36wrapped_radix_sort_block_sort_configINS0_13kernel_configILj256ELj4ELj4294967295EEEaN2at4cuda3cub6detail10OpaqueTypeILi8EEEEELb0EPKaPaPKSB_PSB_NS0_19identity_decomposerEEEvT1_T2_T3_T4_jT5_jj,@function
_ZN7rocprim17ROCPRIM_304000_NS6detail28radix_sort_block_sort_kernelINS1_36wrapped_radix_sort_block_sort_configINS0_13kernel_configILj256ELj4ELj4294967295EEEaN2at4cuda3cub6detail10OpaqueTypeILi8EEEEELb0EPKaPaPKSB_PSB_NS0_19identity_decomposerEEEvT1_T2_T3_T4_jT5_jj: ; @_ZN7rocprim17ROCPRIM_304000_NS6detail28radix_sort_block_sort_kernelINS1_36wrapped_radix_sort_block_sort_configINS0_13kernel_configILj256ELj4ELj4294967295EEEaN2at4cuda3cub6detail10OpaqueTypeILi8EEEEELb0EPKaPaPKSB_PSB_NS0_19identity_decomposerEEEvT1_T2_T3_T4_jT5_jj
; %bb.0:
	s_clause 0x1
	s_load_b32 s2, s[0:1], 0x20
	s_load_b256 s[16:23], s[0:1], 0x0
	v_and_b32_e32 v8, 0x3ff, v0
	v_mbcnt_lo_u32_b32 v7, -1, 0
	s_lshl_b32 s24, s15, 10
	s_mov_b32 s25, 0
	s_delay_alu instid0(VALU_DEP_2) | instskip(NEXT) | instid1(VALU_DEP_2)
	v_lshlrev_b32_e32 v1, 2, v8
	v_lshlrev_b32_e32 v16, 3, v7
	s_delay_alu instid0(VALU_DEP_2) | instskip(NEXT) | instid1(VALU_DEP_1)
	v_and_b32_e32 v18, 0x380, v1
	v_lshlrev_b32_e32 v17, 3, v18
	v_add_nc_u32_e32 v15, v7, v18
	s_waitcnt lgkmcnt(0)
	s_lshr_b32 s3, s2, 10
	s_delay_alu instid0(SALU_CYCLE_1) | instskip(SKIP_4) | instid1(VALU_DEP_1)
	s_cmp_lg_u32 s15, s3
	s_cselect_b32 s26, -1, 0
	s_add_u32 s4, s16, s24
	s_addc_u32 s5, s17, 0
	v_add_co_u32 v1, s4, s4, v7
	v_add_co_ci_u32_e64 v2, null, s5, 0, s4
	s_cmp_eq_u32 s15, s3
	s_delay_alu instid0(VALU_DEP_2) | instskip(NEXT) | instid1(VALU_DEP_2)
	v_add_co_u32 v9, vcc_lo, v1, v18
	v_add_co_ci_u32_e32 v10, vcc_lo, 0, v2, vcc_lo
	s_mov_b32 s3, -1
	s_cbranch_scc1 .LBB40_2
; %bb.1:
	s_lshl_b64 s[4:5], s[24:25], 3
	v_add_nc_u32_e32 v28, v7, v18
	s_add_u32 s3, s20, s4
	s_addc_u32 s4, s21, s5
	v_add_co_u32 v1, s3, s3, v16
	s_delay_alu instid0(VALU_DEP_1) | instskip(SKIP_1) | instid1(VALU_DEP_3)
	v_add_co_ci_u32_e64 v2, null, s4, 0, s3
	v_add_nc_u32_e32 v25, 32, v28
	v_add_co_u32 v19, vcc_lo, v1, v17
	s_delay_alu instid0(VALU_DEP_3)
	v_add_co_ci_u32_e32 v20, vcc_lo, 0, v2, vcc_lo
	s_clause 0x3
	global_load_u8 v12, v[9:10], off offset:96
	global_load_u8 v14, v[9:10], off offset:64
	;; [unrolled: 1-line block ×3, first 2 shown]
	global_load_u8 v11, v[9:10], off
	s_clause 0x3
	global_load_b64 v[1:2], v[19:20], off
	global_load_b64 v[3:4], v[19:20], off offset:256
	global_load_b64 v[5:6], v[19:20], off offset:512
	;; [unrolled: 1-line block ×3, first 2 shown]
	v_add_nc_u32_e32 v26, 64, v28
	v_add_nc_u32_e32 v27, 0x60, v28
	s_mov_b32 s3, s25
	s_delay_alu instid0(SALU_CYCLE_1)
	s_and_not1_b32 vcc_lo, exec_lo, s3
	s_sub_i32 s16, s2, s24
	s_cbranch_vccz .LBB40_3
	s_branch .LBB40_17
.LBB40_2:
                                        ; implicit-def: $vgpr11
                                        ; implicit-def: $vgpr13
                                        ; implicit-def: $vgpr14
                                        ; implicit-def: $vgpr12
                                        ; implicit-def: $vgpr1_vgpr2
                                        ; implicit-def: $vgpr3_vgpr4
                                        ; implicit-def: $vgpr5_vgpr6
                                        ; implicit-def: $vgpr21_vgpr22
                                        ; implicit-def: $vgpr28
                                        ; implicit-def: $vgpr25
                                        ; implicit-def: $vgpr26
                                        ; implicit-def: $vgpr27
	s_and_not1_b32 vcc_lo, exec_lo, s3
	s_sub_i32 s16, s2, s24
	s_cbranch_vccnz .LBB40_17
.LBB40_3:
	v_cmp_gt_u32_e32 vcc_lo, s16, v15
	s_waitcnt vmcnt(4)
	v_dual_mov_b32 v11, 0x7f :: v_dual_mov_b32 v12, 0x7f
	v_dual_mov_b32 v13, 0x7f :: v_dual_mov_b32 v14, 0x7f
	s_and_saveexec_b32 s2, vcc_lo
	s_cbranch_execz .LBB40_5
; %bb.4:
	global_load_u8 v11, v[9:10], off
	v_dual_mov_b32 v13, 0x7f :: v_dual_mov_b32 v14, 0x7f
	v_mov_b32_e32 v12, 0x7f
.LBB40_5:
	s_or_b32 exec_lo, exec_lo, s2
	v_add_nc_u32_e32 v25, 32, v15
	s_delay_alu instid0(VALU_DEP_1) | instskip(NEXT) | instid1(VALU_DEP_1)
	v_cmp_gt_u32_e64 s2, s16, v25
	s_and_saveexec_b32 s3, s2
	s_cbranch_execz .LBB40_7
; %bb.6:
	global_load_u8 v13, v[9:10], off offset:32
.LBB40_7:
	s_or_b32 exec_lo, exec_lo, s3
	v_add_nc_u32_e32 v26, 64, v15
	s_delay_alu instid0(VALU_DEP_1) | instskip(NEXT) | instid1(VALU_DEP_1)
	v_cmp_gt_u32_e64 s3, s16, v26
	s_and_saveexec_b32 s4, s3
	s_cbranch_execz .LBB40_9
; %bb.8:
	global_load_u8 v14, v[9:10], off offset:64
.LBB40_9:
	;; [unrolled: 9-line block ×3, first 2 shown]
	s_or_b32 exec_lo, exec_lo, s5
	s_lshl_b64 s[6:7], s[24:25], 3
	s_delay_alu instid0(SALU_CYCLE_1) | instskip(SKIP_3) | instid1(VALU_DEP_1)
	s_add_u32 s5, s20, s6
	s_addc_u32 s6, s21, s7
	s_waitcnt vmcnt(3)
	v_add_co_u32 v1, s5, s5, v16
	v_add_co_ci_u32_e64 v2, null, s6, 0, s5
	s_delay_alu instid0(VALU_DEP_2) | instskip(NEXT) | instid1(VALU_DEP_1)
	v_add_co_u32 v9, s5, v1, v17
	v_add_co_ci_u32_e64 v10, s5, 0, v2, s5
                                        ; implicit-def: $vgpr1_vgpr2
	s_and_saveexec_b32 s5, vcc_lo
	s_cbranch_execnz .LBB40_54
; %bb.12:
	s_or_b32 exec_lo, exec_lo, s5
                                        ; implicit-def: $vgpr3_vgpr4
	s_and_saveexec_b32 s5, s2
	s_cbranch_execnz .LBB40_55
.LBB40_13:
	s_or_b32 exec_lo, exec_lo, s5
                                        ; implicit-def: $vgpr5_vgpr6
	s_and_saveexec_b32 s2, s3
	s_cbranch_execnz .LBB40_56
.LBB40_14:
	s_or_b32 exec_lo, exec_lo, s2
                                        ; implicit-def: $vgpr21_vgpr22
	s_and_saveexec_b32 s2, s4
	s_cbranch_execz .LBB40_16
.LBB40_15:
	global_load_b64 v[21:22], v[9:10], off offset:768
.LBB40_16:
	s_or_b32 exec_lo, exec_lo, s2
	v_mov_b32_e32 v28, v15
.LBB40_17:
	s_clause 0x1
	s_load_b32 s2, s[0:1], 0x3c
	s_load_b64 s[14:15], s[0:1], 0x28
	s_waitcnt vmcnt(0)
	v_xor_b32_e32 v9, 0x80, v11
	v_xor_b32_e32 v11, 0x80, v14
	;; [unrolled: 1-line block ×3, first 2 shown]
	s_mov_b32 s20, 0
	v_xor_b32_e32 v10, 0x80, v13
	v_bfe_u32 v13, v0, 10, 10
	v_bfe_u32 v0, v0, 20, 10
	v_and_b32_e32 v11, 0xff, v11
	v_lshlrev_b16 v12, 8, v12
	s_mov_b32 s28, s20
	s_mov_b32 s29, s20
	v_and_b32_e32 v16, 0x3e0, v8
	v_and_b32_e32 v9, 0xff, v9
	v_lshlrev_b16 v10, 8, v10
	v_or_b32_e32 v11, v11, v12
	v_add_nc_u32_e32 v17, -1, v7
	v_min_u32_e32 v16, 0xe0, v16
	s_mov_b32 s21, s20
	s_waitcnt lgkmcnt(0)
	s_lshr_b32 s1, s2, 16
	v_and_b32_e32 v14, 15, v7
	v_mad_u32_u24 v0, v0, s1, v13
	s_and_b32 s1, s2, 0xffff
	v_or_b32_e32 v13, v9, v10
	v_and_b32_e32 v15, 16, v7
	v_cmp_eq_u32_e64 s8, 0, v7
	v_mad_u64_u32 v[9:10], null, v0, s1, v[8:9]
	v_lshlrev_b32_e32 v10, 16, v11
	v_or_b32_e32 v11, 31, v16
	v_and_b32_e32 v0, 0xffff, v13
	v_mul_lo_u32 v13, v25, 7
	v_cmp_gt_u32_e64 s6, 8, v8
	v_cmp_lt_u32_e64 s7, 31, v8
	v_cmp_eq_u32_e64 s5, v11, v8
	v_dual_mov_b32 v11, s28 :: v_dual_mov_b32 v12, s29
	v_cmp_gt_i32_e32 vcc_lo, 0, v17
	v_lshlrev_b32_e32 v29, 5, v8
	v_or_b32_e32 v40, v0, v10
	v_lshrrev_b32_e32 v31, 5, v9
	v_lshrrev_b32_e32 v9, 3, v8
	v_cndmask_b32_e32 v0, v17, v7, vcc_lo
	v_add_nc_u32_e32 v30, 32, v29
	v_cmp_eq_u32_e64 s9, 0, v8
	v_add_nc_u32_e32 v37, v25, v13
	v_and_b32_e32 v33, 0x7c, v9
	v_lshlrev_b32_e32 v32, 2, v0
	v_dual_mov_b32 v9, s20 :: v_dual_and_b32 v0, 7, v7
	v_cmp_eq_u32_e64 s0, 0, v14
	v_cmp_lt_u32_e64 s1, 1, v14
	v_cmp_lt_u32_e64 s2, 3, v14
	;; [unrolled: 1-line block ×3, first 2 shown]
	v_cmp_eq_u32_e64 s10, 0, v0
	v_cmp_lt_u32_e64 s11, 1, v0
	v_cmp_lt_u32_e64 s12, 3, v0
	v_mul_lo_u32 v0, v28, 7
	v_mul_lo_u32 v14, v26, 7
	v_mov_b32_e32 v10, s21
	v_cmp_eq_u32_e64 s4, 0, v15
	v_mul_lo_u32 v15, v27, 7
	v_mul_i32_i24_e32 v7, 0xffffffe4, v8
	v_add_nc_u32_e32 v34, -4, v33
	s_add_i32 s17, s15, s14
	v_add_nc_u32_e32 v36, v28, v0
	v_add_nc_u32_e32 v38, v26, v14
	;; [unrolled: 1-line block ×4, first 2 shown]
	s_branch .LBB40_19
.LBB40_18:                              ;   in Loop: Header=BB40_19 Depth=1
	s_barrier
	buffer_gl0_inv
	ds_store_b8 v24, v40
	ds_store_b8 v23, v48
	;; [unrolled: 1-line block ×4, first 2 shown]
	s_waitcnt lgkmcnt(0)
	s_barrier
	buffer_gl0_inv
	ds_load_u8 v5, v25
	ds_load_u8 v6, v27
	;; [unrolled: 1-line block ×4, first 2 shown]
	v_mad_u64_u32 v[1:2], null, v24, 7, v[24:25]
	v_mad_u64_u32 v[2:3], null, v23, 7, v[23:24]
	;; [unrolled: 1-line block ×3, first 2 shown]
	s_waitcnt lgkmcnt(0)
	s_barrier
	buffer_gl0_inv
	s_add_i32 s15, s15, -8
	v_lshlrev_b16 v43, 8, v5
	v_mad_u64_u32 v[4:5], null, v0, 7, v[0:1]
	v_lshlrev_b16 v44, 8, v6
	ds_store_b64 v1, v[19:20]
	ds_store_b64 v2, v[17:18]
	;; [unrolled: 1-line block ×4, first 2 shown]
	s_waitcnt lgkmcnt(0)
	s_barrier
	buffer_gl0_inv
	ds_load_b64 v[1:2], v36
	ds_load_b64 v[3:4], v37
	;; [unrolled: 1-line block ×4, first 2 shown]
	v_or_b32_e32 v40, v40, v43
	v_or_b32_e32 v41, v41, v44
	s_waitcnt lgkmcnt(0)
	s_barrier
	buffer_gl0_inv
	v_and_b32_e32 v40, 0xffff, v40
	v_lshlrev_b32_e32 v41, 16, v41
	s_delay_alu instid0(VALU_DEP_1)
	v_or_b32_e32 v40, v40, v41
	s_cbranch_execz .LBB40_35
.LBB40_19:                              ; =>This Inner Loop Header: Depth=1
	s_delay_alu instid0(VALU_DEP_1)
	v_and_b32_e32 v0, 0xff, v40
	s_min_u32 s13, s15, 8
	ds_store_2addr_b64 v29, v[9:10], v[11:12] offset0:4 offset1:5
	ds_store_2addr_b64 v30, v[9:10], v[11:12] offset0:2 offset1:3
	s_lshl_b32 s13, -1, s13
	s_waitcnt lgkmcnt(0)
	v_lshrrev_b32_e32 v0, s14, v0
	s_not_b32 s20, s13
	s_barrier
	buffer_gl0_inv
	v_and_b32_e32 v7, s20, v0
	; wave barrier
	s_delay_alu instid0(VALU_DEP_1)
	v_and_b32_e32 v0, 1, v7
	v_lshlrev_b32_e32 v13, 30, v7
	v_lshlrev_b32_e32 v14, 29, v7
	;; [unrolled: 1-line block ×4, first 2 shown]
	v_add_co_u32 v0, s13, v0, -1
	s_delay_alu instid0(VALU_DEP_1)
	v_cndmask_b32_e64 v16, 0, 1, s13
	v_not_b32_e32 v20, v13
	v_cmp_gt_i32_e64 s13, 0, v13
	v_not_b32_e32 v13, v14
	v_lshlrev_b32_e32 v19, 25, v7
	v_cmp_ne_u32_e32 vcc_lo, 0, v16
	v_ashrrev_i32_e32 v20, 31, v20
	s_delay_alu instid0(VALU_DEP_4)
	v_ashrrev_i32_e32 v13, 31, v13
	v_xor_b32_e32 v0, vcc_lo, v0
	v_cmp_gt_i32_e32 vcc_lo, 0, v14
	v_not_b32_e32 v14, v15
	v_xor_b32_e32 v20, s13, v20
	v_cmp_gt_i32_e64 s13, 0, v15
	v_and_b32_e32 v0, exec_lo, v0
	v_not_b32_e32 v15, v17
	v_xor_b32_e32 v13, vcc_lo, v13
	v_cmp_gt_i32_e32 vcc_lo, 0, v17
	v_ashrrev_i32_e32 v14, 31, v14
	v_and_b32_e32 v0, v0, v20
	v_ashrrev_i32_e32 v15, 31, v15
	s_delay_alu instid0(VALU_DEP_3) | instskip(NEXT) | instid1(VALU_DEP_3)
	v_xor_b32_e32 v14, s13, v14
	v_and_b32_e32 v0, v0, v13
	v_not_b32_e32 v13, v19
	s_delay_alu instid0(VALU_DEP_4)
	v_xor_b32_e32 v15, vcc_lo, v15
	v_cmp_gt_i32_e32 vcc_lo, 0, v19
	v_mov_b32_e32 v20, v2
	v_lshlrev_b32_e32 v18, 26, v7
	v_lshlrev_b32_e32 v16, 24, v7
	v_and_b32_e32 v0, v0, v14
	v_ashrrev_i32_e32 v13, 31, v13
	v_mov_b32_e32 v19, v1
	v_not_b32_e32 v17, v18
	v_cmp_gt_i32_e64 s13, 0, v18
	v_not_b32_e32 v14, v16
	v_and_b32_e32 v0, v0, v15
	v_xor_b32_e32 v13, vcc_lo, v13
	v_ashrrev_i32_e32 v17, 31, v17
	v_lshl_add_u32 v1, v7, 3, v31
	v_ashrrev_i32_e32 v14, 31, v14
	s_delay_alu instid0(VALU_DEP_3) | instskip(SKIP_2) | instid1(VALU_DEP_3)
	v_xor_b32_e32 v17, s13, v17
	v_cmp_gt_i32_e64 s13, 0, v16
	v_dual_mov_b32 v16, v6 :: v_dual_mov_b32 v15, v5
	v_and_b32_e32 v0, v0, v17
	s_delay_alu instid0(VALU_DEP_3) | instskip(SKIP_1) | instid1(VALU_DEP_3)
	v_xor_b32_e32 v14, s13, v14
	v_dual_mov_b32 v18, v4 :: v_dual_mov_b32 v17, v3
	v_and_b32_e32 v0, v0, v13
	s_delay_alu instid0(VALU_DEP_1) | instskip(SKIP_2) | instid1(VALU_DEP_3)
	v_dual_mov_b32 v13, v21 :: v_dual_and_b32 v0, v0, v14
	v_mov_b32_e32 v14, v22
	v_lshl_add_u32 v22, v1, 2, 32
	v_mbcnt_lo_u32_b32 v21, v0, 0
	v_cmp_ne_u32_e64 s13, 0, v0
	s_delay_alu instid0(VALU_DEP_2) | instskip(NEXT) | instid1(VALU_DEP_2)
	v_cmp_eq_u32_e32 vcc_lo, 0, v21
	s_and_b32 s21, s13, vcc_lo
	s_delay_alu instid0(SALU_CYCLE_1)
	s_and_saveexec_b32 s13, s21
	s_cbranch_execz .LBB40_21
; %bb.20:                               ;   in Loop: Header=BB40_19 Depth=1
	v_bcnt_u32_b32 v0, v0, 0
	ds_store_b32 v22, v0
.LBB40_21:                              ;   in Loop: Header=BB40_19 Depth=1
	s_or_b32 exec_lo, exec_lo, s13
	v_bfe_u32 v0, v40, 8, 8
	; wave barrier
	s_delay_alu instid0(VALU_DEP_1) | instskip(NEXT) | instid1(VALU_DEP_1)
	v_lshrrev_b32_e32 v0, s14, v0
	v_and_b32_e32 v0, s20, v0
	s_delay_alu instid0(VALU_DEP_1)
	v_and_b32_e32 v1, 1, v0
	v_lshlrev_b32_e32 v2, 30, v0
	v_lshlrev_b32_e32 v3, 29, v0
	;; [unrolled: 1-line block ×4, first 2 shown]
	v_add_co_u32 v1, s13, v1, -1
	s_delay_alu instid0(VALU_DEP_1)
	v_cndmask_b32_e64 v5, 0, 1, s13
	v_not_b32_e32 v24, v2
	v_cmp_gt_i32_e64 s13, 0, v2
	v_not_b32_e32 v2, v3
	v_lshlrev_b32_e32 v7, 26, v0
	v_cmp_ne_u32_e32 vcc_lo, 0, v5
	v_ashrrev_i32_e32 v24, 31, v24
	v_lshlrev_b32_e32 v23, 25, v0
	v_ashrrev_i32_e32 v2, 31, v2
	v_lshlrev_b32_e32 v5, 24, v0
	v_xor_b32_e32 v1, vcc_lo, v1
	v_cmp_gt_i32_e32 vcc_lo, 0, v3
	v_not_b32_e32 v3, v4
	v_xor_b32_e32 v24, s13, v24
	v_cmp_gt_i32_e64 s13, 0, v4
	v_and_b32_e32 v1, exec_lo, v1
	v_not_b32_e32 v4, v6
	v_ashrrev_i32_e32 v3, 31, v3
	v_xor_b32_e32 v2, vcc_lo, v2
	v_cmp_gt_i32_e32 vcc_lo, 0, v6
	v_and_b32_e32 v1, v1, v24
	v_not_b32_e32 v6, v7
	v_ashrrev_i32_e32 v4, 31, v4
	v_xor_b32_e32 v3, s13, v3
	v_cmp_gt_i32_e64 s13, 0, v7
	v_and_b32_e32 v1, v1, v2
	v_not_b32_e32 v2, v23
	v_ashrrev_i32_e32 v6, 31, v6
	v_xor_b32_e32 v4, vcc_lo, v4
	v_cmp_gt_i32_e32 vcc_lo, 0, v23
	v_and_b32_e32 v1, v1, v3
	v_not_b32_e32 v3, v5
	v_ashrrev_i32_e32 v2, 31, v2
	v_xor_b32_e32 v6, s13, v6
	v_lshlrev_b32_e32 v0, 3, v0
	v_and_b32_e32 v1, v1, v4
	v_cmp_gt_i32_e64 s13, 0, v5
	v_ashrrev_i32_e32 v3, 31, v3
	v_xor_b32_e32 v2, vcc_lo, v2
	v_add_lshl_u32 v4, v0, v31, 2
	v_and_b32_e32 v1, v1, v6
	s_delay_alu instid0(VALU_DEP_4) | instskip(SKIP_3) | instid1(VALU_DEP_2)
	v_xor_b32_e32 v0, s13, v3
	ds_load_b32 v23, v4 offset:32
	v_and_b32_e32 v1, v1, v2
	v_add_nc_u32_e32 v24, 32, v4
	; wave barrier
	v_and_b32_e32 v0, v1, v0
	s_delay_alu instid0(VALU_DEP_1) | instskip(SKIP_1) | instid1(VALU_DEP_2)
	v_mbcnt_lo_u32_b32 v41, v0, 0
	v_cmp_ne_u32_e64 s13, 0, v0
	v_cmp_eq_u32_e32 vcc_lo, 0, v41
	s_delay_alu instid0(VALU_DEP_2) | instskip(NEXT) | instid1(SALU_CYCLE_1)
	s_and_b32 s21, s13, vcc_lo
	s_and_saveexec_b32 s13, s21
	s_cbranch_execz .LBB40_23
; %bb.22:                               ;   in Loop: Header=BB40_19 Depth=1
	s_waitcnt lgkmcnt(0)
	v_bcnt_u32_b32 v0, v0, v23
	ds_store_b32 v24, v0
.LBB40_23:                              ;   in Loop: Header=BB40_19 Depth=1
	s_or_b32 exec_lo, exec_lo, s13
	v_bfe_u32 v0, v40, 16, 8
	; wave barrier
	s_delay_alu instid0(VALU_DEP_1) | instskip(NEXT) | instid1(VALU_DEP_1)
	v_lshrrev_b32_e32 v0, s14, v0
	v_and_b32_e32 v0, s20, v0
	s_delay_alu instid0(VALU_DEP_1)
	v_and_b32_e32 v1, 1, v0
	v_lshlrev_b32_e32 v2, 30, v0
	v_lshlrev_b32_e32 v3, 29, v0
	v_lshlrev_b32_e32 v4, 28, v0
	v_lshlrev_b32_e32 v6, 27, v0
	v_add_co_u32 v1, s13, v1, -1
	s_delay_alu instid0(VALU_DEP_1)
	v_cndmask_b32_e64 v5, 0, 1, s13
	v_not_b32_e32 v43, v2
	v_cmp_gt_i32_e64 s13, 0, v2
	v_not_b32_e32 v2, v3
	v_lshlrev_b32_e32 v7, 26, v0
	v_cmp_ne_u32_e32 vcc_lo, 0, v5
	v_ashrrev_i32_e32 v43, 31, v43
	v_lshlrev_b32_e32 v42, 25, v0
	v_ashrrev_i32_e32 v2, 31, v2
	v_lshlrev_b32_e32 v5, 24, v0
	v_xor_b32_e32 v1, vcc_lo, v1
	v_cmp_gt_i32_e32 vcc_lo, 0, v3
	v_not_b32_e32 v3, v4
	v_xor_b32_e32 v43, s13, v43
	v_cmp_gt_i32_e64 s13, 0, v4
	v_and_b32_e32 v1, exec_lo, v1
	v_not_b32_e32 v4, v6
	v_ashrrev_i32_e32 v3, 31, v3
	v_xor_b32_e32 v2, vcc_lo, v2
	v_cmp_gt_i32_e32 vcc_lo, 0, v6
	v_and_b32_e32 v1, v1, v43
	v_not_b32_e32 v6, v7
	v_ashrrev_i32_e32 v4, 31, v4
	v_xor_b32_e32 v3, s13, v3
	v_cmp_gt_i32_e64 s13, 0, v7
	v_and_b32_e32 v1, v1, v2
	v_not_b32_e32 v2, v42
	v_ashrrev_i32_e32 v6, 31, v6
	v_xor_b32_e32 v4, vcc_lo, v4
	v_cmp_gt_i32_e32 vcc_lo, 0, v42
	v_and_b32_e32 v1, v1, v3
	v_not_b32_e32 v3, v5
	v_ashrrev_i32_e32 v2, 31, v2
	v_xor_b32_e32 v6, s13, v6
	v_lshlrev_b32_e32 v0, 3, v0
	v_and_b32_e32 v1, v1, v4
	v_cmp_gt_i32_e64 s13, 0, v5
	v_ashrrev_i32_e32 v3, 31, v3
	v_xor_b32_e32 v2, vcc_lo, v2
	v_add_lshl_u32 v4, v0, v31, 2
	v_and_b32_e32 v1, v1, v6
	s_delay_alu instid0(VALU_DEP_4) | instskip(SKIP_3) | instid1(VALU_DEP_2)
	v_xor_b32_e32 v0, s13, v3
	ds_load_b32 v43, v4 offset:32
	v_and_b32_e32 v1, v1, v2
	v_add_nc_u32_e32 v45, 32, v4
	; wave barrier
	v_and_b32_e32 v0, v1, v0
	s_delay_alu instid0(VALU_DEP_1) | instskip(SKIP_1) | instid1(VALU_DEP_2)
	v_mbcnt_lo_u32_b32 v44, v0, 0
	v_cmp_ne_u32_e64 s13, 0, v0
	v_cmp_eq_u32_e32 vcc_lo, 0, v44
	s_delay_alu instid0(VALU_DEP_2) | instskip(NEXT) | instid1(SALU_CYCLE_1)
	s_and_b32 s21, s13, vcc_lo
	s_and_saveexec_b32 s13, s21
	s_cbranch_execz .LBB40_25
; %bb.24:                               ;   in Loop: Header=BB40_19 Depth=1
	s_waitcnt lgkmcnt(0)
	v_bcnt_u32_b32 v0, v0, v43
	ds_store_b32 v45, v0
.LBB40_25:                              ;   in Loop: Header=BB40_19 Depth=1
	s_or_b32 exec_lo, exec_lo, s13
	v_lshrrev_b32_e32 v42, 24, v40
	; wave barrier
	s_delay_alu instid0(VALU_DEP_1) | instskip(NEXT) | instid1(VALU_DEP_1)
	v_lshrrev_b32_e32 v0, s14, v42
	v_and_b32_e32 v0, s20, v0
	s_delay_alu instid0(VALU_DEP_1)
	v_and_b32_e32 v1, 1, v0
	v_lshlrev_b32_e32 v2, 30, v0
	v_lshlrev_b32_e32 v3, 29, v0
	;; [unrolled: 1-line block ×4, first 2 shown]
	v_add_co_u32 v1, s13, v1, -1
	s_delay_alu instid0(VALU_DEP_1)
	v_cndmask_b32_e64 v5, 0, 1, s13
	v_not_b32_e32 v47, v2
	v_cmp_gt_i32_e64 s13, 0, v2
	v_not_b32_e32 v2, v3
	v_lshlrev_b32_e32 v7, 26, v0
	v_cmp_ne_u32_e32 vcc_lo, 0, v5
	v_ashrrev_i32_e32 v47, 31, v47
	v_lshlrev_b32_e32 v46, 25, v0
	v_ashrrev_i32_e32 v2, 31, v2
	v_lshlrev_b32_e32 v5, 24, v0
	v_xor_b32_e32 v1, vcc_lo, v1
	v_cmp_gt_i32_e32 vcc_lo, 0, v3
	v_not_b32_e32 v3, v4
	v_xor_b32_e32 v47, s13, v47
	v_cmp_gt_i32_e64 s13, 0, v4
	v_and_b32_e32 v1, exec_lo, v1
	v_not_b32_e32 v4, v6
	v_ashrrev_i32_e32 v3, 31, v3
	v_xor_b32_e32 v2, vcc_lo, v2
	v_cmp_gt_i32_e32 vcc_lo, 0, v6
	v_and_b32_e32 v1, v1, v47
	v_not_b32_e32 v6, v7
	v_ashrrev_i32_e32 v4, 31, v4
	v_xor_b32_e32 v3, s13, v3
	v_cmp_gt_i32_e64 s13, 0, v7
	v_and_b32_e32 v1, v1, v2
	v_not_b32_e32 v2, v46
	v_ashrrev_i32_e32 v6, 31, v6
	v_xor_b32_e32 v4, vcc_lo, v4
	v_cmp_gt_i32_e32 vcc_lo, 0, v46
	v_and_b32_e32 v1, v1, v3
	v_not_b32_e32 v3, v5
	v_ashrrev_i32_e32 v2, 31, v2
	v_xor_b32_e32 v6, s13, v6
	v_lshlrev_b32_e32 v0, 3, v0
	v_and_b32_e32 v1, v1, v4
	v_cmp_gt_i32_e64 s13, 0, v5
	v_ashrrev_i32_e32 v3, 31, v3
	v_xor_b32_e32 v2, vcc_lo, v2
	v_add_lshl_u32 v4, v0, v31, 2
	v_and_b32_e32 v1, v1, v6
	s_delay_alu instid0(VALU_DEP_4) | instskip(SKIP_3) | instid1(VALU_DEP_2)
	v_xor_b32_e32 v0, s13, v3
	ds_load_b32 v46, v4 offset:32
	v_and_b32_e32 v1, v1, v2
	v_add_nc_u32_e32 v48, 32, v4
	; wave barrier
	v_and_b32_e32 v0, v1, v0
	s_delay_alu instid0(VALU_DEP_1) | instskip(SKIP_1) | instid1(VALU_DEP_2)
	v_mbcnt_lo_u32_b32 v47, v0, 0
	v_cmp_ne_u32_e64 s13, 0, v0
	v_cmp_eq_u32_e32 vcc_lo, 0, v47
	s_delay_alu instid0(VALU_DEP_2) | instskip(NEXT) | instid1(SALU_CYCLE_1)
	s_and_b32 s20, s13, vcc_lo
	s_and_saveexec_b32 s13, s20
	s_cbranch_execz .LBB40_27
; %bb.26:                               ;   in Loop: Header=BB40_19 Depth=1
	s_waitcnt lgkmcnt(0)
	v_bcnt_u32_b32 v0, v0, v46
	ds_store_b32 v48, v0
.LBB40_27:                              ;   in Loop: Header=BB40_19 Depth=1
	s_or_b32 exec_lo, exec_lo, s13
	; wave barrier
	s_waitcnt lgkmcnt(0)
	s_barrier
	buffer_gl0_inv
	ds_load_2addr_b64 v[4:7], v29 offset0:4 offset1:5
	ds_load_2addr_b64 v[0:3], v30 offset0:2 offset1:3
	s_waitcnt lgkmcnt(1)
	v_add_nc_u32_e32 v49, v5, v4
	s_delay_alu instid0(VALU_DEP_1) | instskip(SKIP_1) | instid1(VALU_DEP_1)
	v_add3_u32 v49, v49, v6, v7
	s_waitcnt lgkmcnt(0)
	v_add3_u32 v49, v49, v0, v1
	s_delay_alu instid0(VALU_DEP_1) | instskip(NEXT) | instid1(VALU_DEP_1)
	v_add3_u32 v3, v49, v2, v3
	v_mov_b32_dpp v49, v3 row_shr:1 row_mask:0xf bank_mask:0xf
	s_delay_alu instid0(VALU_DEP_1) | instskip(NEXT) | instid1(VALU_DEP_1)
	v_cndmask_b32_e64 v49, v49, 0, s0
	v_add_nc_u32_e32 v3, v49, v3
	s_delay_alu instid0(VALU_DEP_1) | instskip(NEXT) | instid1(VALU_DEP_1)
	v_mov_b32_dpp v49, v3 row_shr:2 row_mask:0xf bank_mask:0xf
	v_cndmask_b32_e64 v49, 0, v49, s1
	s_delay_alu instid0(VALU_DEP_1) | instskip(NEXT) | instid1(VALU_DEP_1)
	v_add_nc_u32_e32 v3, v3, v49
	v_mov_b32_dpp v49, v3 row_shr:4 row_mask:0xf bank_mask:0xf
	s_delay_alu instid0(VALU_DEP_1) | instskip(NEXT) | instid1(VALU_DEP_1)
	v_cndmask_b32_e64 v49, 0, v49, s2
	v_add_nc_u32_e32 v3, v3, v49
	s_delay_alu instid0(VALU_DEP_1) | instskip(NEXT) | instid1(VALU_DEP_1)
	v_mov_b32_dpp v49, v3 row_shr:8 row_mask:0xf bank_mask:0xf
	v_cndmask_b32_e64 v49, 0, v49, s3
	s_delay_alu instid0(VALU_DEP_1) | instskip(SKIP_3) | instid1(VALU_DEP_1)
	v_add_nc_u32_e32 v3, v3, v49
	ds_swizzle_b32 v49, v3 offset:swizzle(BROADCAST,32,15)
	s_waitcnt lgkmcnt(0)
	v_cndmask_b32_e64 v49, v49, 0, s4
	v_add_nc_u32_e32 v3, v3, v49
	s_and_saveexec_b32 s13, s5
	s_cbranch_execz .LBB40_29
; %bb.28:                               ;   in Loop: Header=BB40_19 Depth=1
	ds_store_b32 v33, v3
.LBB40_29:                              ;   in Loop: Header=BB40_19 Depth=1
	s_or_b32 exec_lo, exec_lo, s13
	s_waitcnt lgkmcnt(0)
	s_barrier
	buffer_gl0_inv
	s_and_saveexec_b32 s13, s6
	s_cbranch_execz .LBB40_31
; %bb.30:                               ;   in Loop: Header=BB40_19 Depth=1
	ds_load_b32 v49, v35
	s_waitcnt lgkmcnt(0)
	v_mov_b32_dpp v50, v49 row_shr:1 row_mask:0xf bank_mask:0xf
	s_delay_alu instid0(VALU_DEP_1) | instskip(NEXT) | instid1(VALU_DEP_1)
	v_cndmask_b32_e64 v50, v50, 0, s10
	v_add_nc_u32_e32 v49, v50, v49
	s_delay_alu instid0(VALU_DEP_1) | instskip(NEXT) | instid1(VALU_DEP_1)
	v_mov_b32_dpp v50, v49 row_shr:2 row_mask:0xf bank_mask:0xf
	v_cndmask_b32_e64 v50, 0, v50, s11
	s_delay_alu instid0(VALU_DEP_1) | instskip(NEXT) | instid1(VALU_DEP_1)
	v_add_nc_u32_e32 v49, v49, v50
	v_mov_b32_dpp v50, v49 row_shr:4 row_mask:0xf bank_mask:0xf
	s_delay_alu instid0(VALU_DEP_1) | instskip(NEXT) | instid1(VALU_DEP_1)
	v_cndmask_b32_e64 v50, 0, v50, s12
	v_add_nc_u32_e32 v49, v49, v50
	ds_store_b32 v35, v49
.LBB40_31:                              ;   in Loop: Header=BB40_19 Depth=1
	s_or_b32 exec_lo, exec_lo, s13
	v_mov_b32_e32 v49, 0
	s_waitcnt lgkmcnt(0)
	s_barrier
	buffer_gl0_inv
	s_and_saveexec_b32 s13, s7
	s_cbranch_execz .LBB40_33
; %bb.32:                               ;   in Loop: Header=BB40_19 Depth=1
	ds_load_b32 v49, v34
.LBB40_33:                              ;   in Loop: Header=BB40_19 Depth=1
	s_or_b32 exec_lo, exec_lo, s13
	s_waitcnt lgkmcnt(0)
	v_add_nc_u32_e32 v3, v49, v3
	s_add_i32 s14, s14, 8
	s_delay_alu instid0(SALU_CYCLE_1) | instskip(SKIP_3) | instid1(VALU_DEP_1)
	s_cmp_ge_u32 s14, s17
	ds_bpermute_b32 v3, v32, v3
	s_waitcnt lgkmcnt(0)
	v_cndmask_b32_e64 v3, v3, v49, s8
	v_cndmask_b32_e64 v3, v3, 0, s9
	s_delay_alu instid0(VALU_DEP_1) | instskip(NEXT) | instid1(VALU_DEP_1)
	v_add_nc_u32_e32 v4, v3, v4
	v_add_nc_u32_e32 v5, v4, v5
	s_delay_alu instid0(VALU_DEP_1) | instskip(NEXT) | instid1(VALU_DEP_1)
	v_add_nc_u32_e32 v6, v5, v6
	v_add_nc_u32_e32 v49, v6, v7
	;; [unrolled: 3-line block ×3, first 2 shown]
	s_delay_alu instid0(VALU_DEP_1)
	v_add_nc_u32_e32 v1, v0, v2
	ds_store_2addr_b64 v29, v[3:4], v[5:6] offset0:4 offset1:5
	ds_store_2addr_b64 v30, v[49:50], v[0:1] offset0:2 offset1:3
	s_waitcnt lgkmcnt(0)
	s_barrier
	buffer_gl0_inv
	ds_load_b32 v0, v22
	ds_load_b32 v1, v24
	;; [unrolled: 1-line block ×4, first 2 shown]
	v_mov_b32_e32 v45, v40
	v_lshrrev_b32_e32 v48, 8, v40
	v_lshrrev_b32_e32 v49, 16, v40
	s_waitcnt lgkmcnt(0)
	v_add_nc_u32_e32 v24, v0, v21
	v_add3_u32 v23, v41, v23, v1
	v_add3_u32 v7, v44, v43, v2
	;; [unrolled: 1-line block ×3, first 2 shown]
	s_cbranch_scc0 .LBB40_18
; %bb.34:
                                        ; implicit-def: $sgpr14
                                        ; implicit-def: $vgpr40
                                        ; implicit-def: $vgpr1_vgpr2
                                        ; implicit-def: $vgpr3_vgpr4
                                        ; implicit-def: $vgpr5_vgpr6
                                        ; implicit-def: $vgpr21_vgpr22
.LBB40_35:
	v_mad_u64_u32 v[1:2], null, v24, 7, v[24:25]
	v_mad_u64_u32 v[2:3], null, v23, 7, v[23:24]
	v_mad_u64_u32 v[3:4], null, v7, 7, v[7:8]
	s_barrier
	buffer_gl0_inv
	v_mad_u64_u32 v[4:5], null, v0, 7, v[0:1]
	ds_store_b8 v24, v45
	ds_store_b8 v23, v48
	;; [unrolled: 1-line block ×4, first 2 shown]
	s_waitcnt lgkmcnt(0)
	s_barrier
	buffer_gl0_inv
	ds_load_u8 v9, v8
	ds_load_u8 v10, v8 offset:256
	ds_load_u8 v11, v8 offset:512
	ds_load_u8 v12, v8 offset:768
	v_mad_u32_u24 v0, v8, 7, v8
	s_waitcnt lgkmcnt(0)
	s_barrier
	buffer_gl0_inv
	ds_store_b64 v1, v[19:20]
	ds_store_b64 v2, v[17:18]
	;; [unrolled: 1-line block ×4, first 2 shown]
	s_waitcnt lgkmcnt(0)
	s_barrier
	buffer_gl0_inv
	ds_load_2addr_stride64_b64 v[4:7], v0 offset1:4
	ds_load_2addr_stride64_b64 v[0:3], v0 offset0:8 offset1:12
	s_add_u32 s0, s18, s24
	s_addc_u32 s1, s19, 0
	s_mov_b32 s2, 0
	s_and_not1_b32 vcc_lo, exec_lo, s26
	v_xor_b32_e32 v15, 0xffffff80, v9
	v_add_co_u32 v9, s0, s0, v8
	v_xor_b32_e32 v13, 0xffffff80, v10
	v_xor_b32_e32 v14, 0xffffff80, v11
	;; [unrolled: 1-line block ×3, first 2 shown]
	v_add_co_ci_u32_e64 v10, null, s1, 0, s0
	v_lshlrev_b32_e32 v11, 3, v8
	s_mov_b32 s0, -1
	s_cbranch_vccz .LBB40_39
; %bb.36:
	s_and_not1_b32 vcc_lo, exec_lo, s0
	s_cbranch_vccz .LBB40_40
.LBB40_37:
	s_and_saveexec_b32 s0, s2
	s_cbranch_execnz .LBB40_53
.LBB40_38:
	s_nop 0
	s_sendmsg sendmsg(MSG_DEALLOC_VGPRS)
	s_endpgm
.LBB40_39:
	s_lshl_b64 s[0:1], s[24:25], 3
	s_mov_b32 s2, -1
	s_add_u32 s4, s22, s0
	s_addc_u32 s5, s23, s1
	v_add_co_u32 v16, s0, s4, v11
	s_delay_alu instid0(VALU_DEP_1) | instskip(NEXT) | instid1(VALU_DEP_2)
	v_add_co_ci_u32_e64 v17, null, s5, 0, s0
	v_add_co_u32 v16, vcc_lo, 0x1000, v16
	s_delay_alu instid0(VALU_DEP_2)
	v_add_co_ci_u32_e32 v17, vcc_lo, 0, v17, vcc_lo
	s_clause 0x3
	global_store_b8 v[9:10], v15, off
	global_store_b8 v[9:10], v13, off offset:256
	global_store_b8 v[9:10], v14, off offset:512
	;; [unrolled: 1-line block ×3, first 2 shown]
	s_waitcnt lgkmcnt(1)
	s_clause 0x1
	global_store_b64 v11, v[6:7], s[4:5] offset:2048
	global_store_b64 v11, v[4:5], s[4:5]
	s_waitcnt lgkmcnt(0)
	global_store_b64 v[16:17], v[0:1], off
	s_cbranch_execnz .LBB40_37
.LBB40_40:
	v_cmp_gt_u32_e32 vcc_lo, s16, v8
	s_and_saveexec_b32 s0, vcc_lo
	s_cbranch_execz .LBB40_42
; %bb.41:
	global_store_b8 v[9:10], v15, off
.LBB40_42:
	s_or_b32 exec_lo, exec_lo, s0
	v_add_nc_u32_e32 v15, 0x100, v8
	s_delay_alu instid0(VALU_DEP_1) | instskip(NEXT) | instid1(VALU_DEP_1)
	v_cmp_gt_u32_e64 s0, s16, v15
	s_and_saveexec_b32 s1, s0
	s_cbranch_execz .LBB40_44
; %bb.43:
	global_store_b8 v[9:10], v13, off offset:256
.LBB40_44:
	s_or_b32 exec_lo, exec_lo, s1
	v_add_nc_u32_e32 v13, 0x200, v8
	s_delay_alu instid0(VALU_DEP_1) | instskip(NEXT) | instid1(VALU_DEP_1)
	v_cmp_gt_u32_e64 s1, s16, v13
	s_and_saveexec_b32 s2, s1
	s_cbranch_execz .LBB40_46
; %bb.45:
	global_store_b8 v[9:10], v14, off offset:512
.LBB40_46:
	;; [unrolled: 9-line block ×3, first 2 shown]
	s_or_b32 exec_lo, exec_lo, s3
	s_lshl_b64 s[4:5], s[24:25], 3
	s_delay_alu instid0(SALU_CYCLE_1) | instskip(SKIP_2) | instid1(VALU_DEP_1)
	s_add_u32 s3, s22, s4
	s_addc_u32 s4, s23, s5
	v_add_co_u32 v8, s3, s3, v11
	v_add_co_ci_u32_e64 v9, null, s4, 0, s3
	s_and_saveexec_b32 s3, vcc_lo
	s_cbranch_execnz .LBB40_57
; %bb.49:
	s_or_b32 exec_lo, exec_lo, s3
	s_and_saveexec_b32 s3, s0
	s_cbranch_execnz .LBB40_58
.LBB40_50:
	s_or_b32 exec_lo, exec_lo, s3
	s_and_saveexec_b32 s0, s1
	s_cbranch_execz .LBB40_52
.LBB40_51:
	s_waitcnt lgkmcnt(1)
	v_add_co_u32 v4, vcc_lo, 0x1000, v8
	v_add_co_ci_u32_e32 v5, vcc_lo, 0, v9, vcc_lo
	s_waitcnt lgkmcnt(0)
	global_store_b64 v[4:5], v[0:1], off
.LBB40_52:
	s_or_b32 exec_lo, exec_lo, s0
	s_and_saveexec_b32 s0, s2
	s_cbranch_execz .LBB40_38
.LBB40_53:
	s_lshl_b64 s[0:1], s[24:25], 3
	s_delay_alu instid0(SALU_CYCLE_1) | instskip(SKIP_3) | instid1(VALU_DEP_1)
	s_add_u32 s0, s22, s0
	s_addc_u32 s1, s23, s1
	s_waitcnt lgkmcnt(0)
	v_add_co_u32 v0, s0, s0, v11
	v_add_co_ci_u32_e64 v1, null, s1, 0, s0
	s_delay_alu instid0(VALU_DEP_2) | instskip(NEXT) | instid1(VALU_DEP_2)
	v_add_co_u32 v0, vcc_lo, 0x1000, v0
	v_add_co_ci_u32_e32 v1, vcc_lo, 0, v1, vcc_lo
	global_store_b64 v[0:1], v[2:3], off offset:2048
	s_nop 0
	s_sendmsg sendmsg(MSG_DEALLOC_VGPRS)
	s_endpgm
.LBB40_54:
	global_load_b64 v[1:2], v[9:10], off
	s_or_b32 exec_lo, exec_lo, s5
                                        ; implicit-def: $vgpr3_vgpr4
	s_and_saveexec_b32 s5, s2
	s_cbranch_execz .LBB40_13
.LBB40_55:
	global_load_b64 v[3:4], v[9:10], off offset:256
	s_or_b32 exec_lo, exec_lo, s5
                                        ; implicit-def: $vgpr5_vgpr6
	s_and_saveexec_b32 s2, s3
	s_cbranch_execz .LBB40_14
.LBB40_56:
	global_load_b64 v[5:6], v[9:10], off offset:512
	s_or_b32 exec_lo, exec_lo, s2
                                        ; implicit-def: $vgpr21_vgpr22
	s_and_saveexec_b32 s2, s4
	s_cbranch_execnz .LBB40_15
	s_branch .LBB40_16
.LBB40_57:
	s_waitcnt lgkmcnt(1)
	global_store_b64 v[8:9], v[4:5], off
	s_or_b32 exec_lo, exec_lo, s3
	s_and_saveexec_b32 s3, s0
	s_cbranch_execz .LBB40_50
.LBB40_58:
	s_waitcnt lgkmcnt(1)
	global_store_b64 v[8:9], v[6:7], off offset:2048
	s_or_b32 exec_lo, exec_lo, s3
	s_and_saveexec_b32 s0, s1
	s_cbranch_execnz .LBB40_51
	s_branch .LBB40_52
	.section	.rodata,"a",@progbits
	.p2align	6, 0x0
	.amdhsa_kernel _ZN7rocprim17ROCPRIM_304000_NS6detail28radix_sort_block_sort_kernelINS1_36wrapped_radix_sort_block_sort_configINS0_13kernel_configILj256ELj4ELj4294967295EEEaN2at4cuda3cub6detail10OpaqueTypeILi8EEEEELb0EPKaPaPKSB_PSB_NS0_19identity_decomposerEEEvT1_T2_T3_T4_jT5_jj
		.amdhsa_group_segment_fixed_size 8224
		.amdhsa_private_segment_fixed_size 0
		.amdhsa_kernarg_size 304
		.amdhsa_user_sgpr_count 15
		.amdhsa_user_sgpr_dispatch_ptr 0
		.amdhsa_user_sgpr_queue_ptr 0
		.amdhsa_user_sgpr_kernarg_segment_ptr 1
		.amdhsa_user_sgpr_dispatch_id 0
		.amdhsa_user_sgpr_private_segment_size 0
		.amdhsa_wavefront_size32 1
		.amdhsa_uses_dynamic_stack 0
		.amdhsa_enable_private_segment 0
		.amdhsa_system_sgpr_workgroup_id_x 1
		.amdhsa_system_sgpr_workgroup_id_y 0
		.amdhsa_system_sgpr_workgroup_id_z 0
		.amdhsa_system_sgpr_workgroup_info 0
		.amdhsa_system_vgpr_workitem_id 2
		.amdhsa_next_free_vgpr 51
		.amdhsa_next_free_sgpr 30
		.amdhsa_reserve_vcc 1
		.amdhsa_float_round_mode_32 0
		.amdhsa_float_round_mode_16_64 0
		.amdhsa_float_denorm_mode_32 3
		.amdhsa_float_denorm_mode_16_64 3
		.amdhsa_dx10_clamp 1
		.amdhsa_ieee_mode 1
		.amdhsa_fp16_overflow 0
		.amdhsa_workgroup_processor_mode 1
		.amdhsa_memory_ordered 1
		.amdhsa_forward_progress 0
		.amdhsa_shared_vgpr_count 0
		.amdhsa_exception_fp_ieee_invalid_op 0
		.amdhsa_exception_fp_denorm_src 0
		.amdhsa_exception_fp_ieee_div_zero 0
		.amdhsa_exception_fp_ieee_overflow 0
		.amdhsa_exception_fp_ieee_underflow 0
		.amdhsa_exception_fp_ieee_inexact 0
		.amdhsa_exception_int_div_zero 0
	.end_amdhsa_kernel
	.section	.text._ZN7rocprim17ROCPRIM_304000_NS6detail28radix_sort_block_sort_kernelINS1_36wrapped_radix_sort_block_sort_configINS0_13kernel_configILj256ELj4ELj4294967295EEEaN2at4cuda3cub6detail10OpaqueTypeILi8EEEEELb0EPKaPaPKSB_PSB_NS0_19identity_decomposerEEEvT1_T2_T3_T4_jT5_jj,"axG",@progbits,_ZN7rocprim17ROCPRIM_304000_NS6detail28radix_sort_block_sort_kernelINS1_36wrapped_radix_sort_block_sort_configINS0_13kernel_configILj256ELj4ELj4294967295EEEaN2at4cuda3cub6detail10OpaqueTypeILi8EEEEELb0EPKaPaPKSB_PSB_NS0_19identity_decomposerEEEvT1_T2_T3_T4_jT5_jj,comdat
.Lfunc_end40:
	.size	_ZN7rocprim17ROCPRIM_304000_NS6detail28radix_sort_block_sort_kernelINS1_36wrapped_radix_sort_block_sort_configINS0_13kernel_configILj256ELj4ELj4294967295EEEaN2at4cuda3cub6detail10OpaqueTypeILi8EEEEELb0EPKaPaPKSB_PSB_NS0_19identity_decomposerEEEvT1_T2_T3_T4_jT5_jj, .Lfunc_end40-_ZN7rocprim17ROCPRIM_304000_NS6detail28radix_sort_block_sort_kernelINS1_36wrapped_radix_sort_block_sort_configINS0_13kernel_configILj256ELj4ELj4294967295EEEaN2at4cuda3cub6detail10OpaqueTypeILi8EEEEELb0EPKaPaPKSB_PSB_NS0_19identity_decomposerEEEvT1_T2_T3_T4_jT5_jj
                                        ; -- End function
	.section	.AMDGPU.csdata,"",@progbits
; Kernel info:
; codeLenInByte = 4260
; NumSgprs: 32
; NumVgprs: 51
; ScratchSize: 0
; MemoryBound: 0
; FloatMode: 240
; IeeeMode: 1
; LDSByteSize: 8224 bytes/workgroup (compile time only)
; SGPRBlocks: 3
; VGPRBlocks: 6
; NumSGPRsForWavesPerEU: 32
; NumVGPRsForWavesPerEU: 51
; Occupancy: 16
; WaveLimiterHint : 1
; COMPUTE_PGM_RSRC2:SCRATCH_EN: 0
; COMPUTE_PGM_RSRC2:USER_SGPR: 15
; COMPUTE_PGM_RSRC2:TRAP_HANDLER: 0
; COMPUTE_PGM_RSRC2:TGID_X_EN: 1
; COMPUTE_PGM_RSRC2:TGID_Y_EN: 0
; COMPUTE_PGM_RSRC2:TGID_Z_EN: 0
; COMPUTE_PGM_RSRC2:TIDIG_COMP_CNT: 2
	.section	.text._ZN7rocprim17ROCPRIM_304000_NS6detail45device_block_merge_mergepath_partition_kernelINS1_37wrapped_merge_sort_block_merge_configINS0_14default_configEaN2at4cuda3cub6detail10OpaqueTypeILi8EEEEEPajNS1_19radix_merge_compareILb0ELb0EaNS0_19identity_decomposerEEEEEvT0_T1_jPSH_T2_SH_,"axG",@progbits,_ZN7rocprim17ROCPRIM_304000_NS6detail45device_block_merge_mergepath_partition_kernelINS1_37wrapped_merge_sort_block_merge_configINS0_14default_configEaN2at4cuda3cub6detail10OpaqueTypeILi8EEEEEPajNS1_19radix_merge_compareILb0ELb0EaNS0_19identity_decomposerEEEEEvT0_T1_jPSH_T2_SH_,comdat
	.protected	_ZN7rocprim17ROCPRIM_304000_NS6detail45device_block_merge_mergepath_partition_kernelINS1_37wrapped_merge_sort_block_merge_configINS0_14default_configEaN2at4cuda3cub6detail10OpaqueTypeILi8EEEEEPajNS1_19radix_merge_compareILb0ELb0EaNS0_19identity_decomposerEEEEEvT0_T1_jPSH_T2_SH_ ; -- Begin function _ZN7rocprim17ROCPRIM_304000_NS6detail45device_block_merge_mergepath_partition_kernelINS1_37wrapped_merge_sort_block_merge_configINS0_14default_configEaN2at4cuda3cub6detail10OpaqueTypeILi8EEEEEPajNS1_19radix_merge_compareILb0ELb0EaNS0_19identity_decomposerEEEEEvT0_T1_jPSH_T2_SH_
	.globl	_ZN7rocprim17ROCPRIM_304000_NS6detail45device_block_merge_mergepath_partition_kernelINS1_37wrapped_merge_sort_block_merge_configINS0_14default_configEaN2at4cuda3cub6detail10OpaqueTypeILi8EEEEEPajNS1_19radix_merge_compareILb0ELb0EaNS0_19identity_decomposerEEEEEvT0_T1_jPSH_T2_SH_
	.p2align	8
	.type	_ZN7rocprim17ROCPRIM_304000_NS6detail45device_block_merge_mergepath_partition_kernelINS1_37wrapped_merge_sort_block_merge_configINS0_14default_configEaN2at4cuda3cub6detail10OpaqueTypeILi8EEEEEPajNS1_19radix_merge_compareILb0ELb0EaNS0_19identity_decomposerEEEEEvT0_T1_jPSH_T2_SH_,@function
_ZN7rocprim17ROCPRIM_304000_NS6detail45device_block_merge_mergepath_partition_kernelINS1_37wrapped_merge_sort_block_merge_configINS0_14default_configEaN2at4cuda3cub6detail10OpaqueTypeILi8EEEEEPajNS1_19radix_merge_compareILb0ELb0EaNS0_19identity_decomposerEEEEEvT0_T1_jPSH_T2_SH_: ; @_ZN7rocprim17ROCPRIM_304000_NS6detail45device_block_merge_mergepath_partition_kernelINS1_37wrapped_merge_sort_block_merge_configINS0_14default_configEaN2at4cuda3cub6detail10OpaqueTypeILi8EEEEEPajNS1_19radix_merge_compareILb0ELb0EaNS0_19identity_decomposerEEEEEvT0_T1_jPSH_T2_SH_
; %bb.0:
	s_load_b64 s[2:3], s[0:1], 0x8
	v_lshl_or_b32 v0, s15, 7, v0
	s_waitcnt lgkmcnt(0)
	s_delay_alu instid0(VALU_DEP_1)
	v_cmp_gt_u32_e32 vcc_lo, s3, v0
	s_and_saveexec_b32 s3, vcc_lo
	s_cbranch_execz .LBB41_6
; %bb.1:
	s_load_b32 s3, s[0:1], 0x1c
	s_waitcnt lgkmcnt(0)
	s_lshr_b32 s4, s3, 9
	s_delay_alu instid0(SALU_CYCLE_1) | instskip(NEXT) | instid1(SALU_CYCLE_1)
	s_and_b32 s4, s4, 0x7ffffe
	s_sub_i32 s5, 0, s4
	s_add_i32 s4, s4, -1
	v_and_b32_e32 v1, s5, v0
	v_and_b32_e32 v4, s4, v0
	s_delay_alu instid0(VALU_DEP_2) | instskip(NEXT) | instid1(VALU_DEP_1)
	v_lshlrev_b32_e32 v1, 10, v1
	v_add_nc_u32_e32 v2, s3, v1
	s_delay_alu instid0(VALU_DEP_1) | instskip(SKIP_1) | instid1(VALU_DEP_2)
	v_min_u32_e32 v7, s2, v2
	v_min_u32_e32 v2, s2, v1
	v_add_nc_u32_e32 v3, s3, v7
	s_delay_alu instid0(VALU_DEP_1) | instskip(SKIP_2) | instid1(VALU_DEP_2)
	v_min_u32_e32 v1, s2, v3
	v_lshlrev_b32_e32 v3, 10, v4
	s_mov_b32 s2, exec_lo
	v_sub_nc_u32_e32 v4, v1, v2
	v_sub_nc_u32_e32 v5, v1, v7
	s_delay_alu instid0(VALU_DEP_2) | instskip(SKIP_1) | instid1(VALU_DEP_2)
	v_min_u32_e32 v1, v4, v3
	v_sub_nc_u32_e32 v4, v7, v2
	v_sub_nc_u32_e64 v3, v1, v5 clamp
	s_delay_alu instid0(VALU_DEP_2) | instskip(NEXT) | instid1(VALU_DEP_1)
	v_min_u32_e32 v4, v1, v4
	v_cmpx_lt_u32_e64 v3, v4
	s_cbranch_execz .LBB41_5
; %bb.2:
	s_load_b64 s[4:5], s[0:1], 0x0
	s_waitcnt lgkmcnt(0)
	v_add_co_u32 v5, s3, s4, v2
	s_delay_alu instid0(VALU_DEP_1) | instskip(SKIP_1) | instid1(VALU_DEP_1)
	v_add_co_ci_u32_e64 v6, null, s5, 0, s3
	v_add_co_u32 v7, s3, s4, v7
	v_add_co_ci_u32_e64 v8, null, s5, 0, s3
	s_mov_b32 s3, 0
	.p2align	6
.LBB41_3:                               ; =>This Inner Loop Header: Depth=1
	v_add_nc_u32_e32 v9, v4, v3
	s_delay_alu instid0(VALU_DEP_1) | instskip(NEXT) | instid1(VALU_DEP_1)
	v_lshrrev_b32_e32 v13, 1, v9
	v_xad_u32 v11, v13, -1, v1
	v_add_co_u32 v9, vcc_lo, v5, v13
	v_add_co_ci_u32_e32 v10, vcc_lo, 0, v6, vcc_lo
	s_delay_alu instid0(VALU_DEP_3)
	v_add_co_u32 v11, vcc_lo, v7, v11
	v_add_co_ci_u32_e32 v12, vcc_lo, 0, v8, vcc_lo
	s_clause 0x1
	global_load_i8 v9, v[9:10], off
	global_load_i8 v10, v[11:12], off
	v_add_nc_u32_e32 v11, 1, v13
	s_waitcnt vmcnt(0)
	v_cmp_gt_i16_e32 vcc_lo, v9, v10
	s_delay_alu instid0(VALU_DEP_2) | instskip(NEXT) | instid1(VALU_DEP_1)
	v_dual_cndmask_b32 v4, v4, v13 :: v_dual_cndmask_b32 v3, v11, v3
	v_cmp_ge_u32_e32 vcc_lo, v3, v4
	s_or_b32 s3, vcc_lo, s3
	s_delay_alu instid0(SALU_CYCLE_1)
	s_and_not1_b32 exec_lo, exec_lo, s3
	s_cbranch_execnz .LBB41_3
; %bb.4:
	s_or_b32 exec_lo, exec_lo, s3
.LBB41_5:
	s_delay_alu instid0(SALU_CYCLE_1) | instskip(SKIP_2) | instid1(VALU_DEP_1)
	s_or_b32 exec_lo, exec_lo, s2
	s_load_b64 s[0:1], s[0:1], 0x10
	v_dual_mov_b32 v1, 0 :: v_dual_add_nc_u32 v2, v3, v2
	v_lshlrev_b64 v[0:1], 2, v[0:1]
	s_waitcnt lgkmcnt(0)
	s_delay_alu instid0(VALU_DEP_1) | instskip(NEXT) | instid1(VALU_DEP_2)
	v_add_co_u32 v0, vcc_lo, s0, v0
	v_add_co_ci_u32_e32 v1, vcc_lo, s1, v1, vcc_lo
	global_store_b32 v[0:1], v2, off
.LBB41_6:
	s_nop 0
	s_sendmsg sendmsg(MSG_DEALLOC_VGPRS)
	s_endpgm
	.section	.rodata,"a",@progbits
	.p2align	6, 0x0
	.amdhsa_kernel _ZN7rocprim17ROCPRIM_304000_NS6detail45device_block_merge_mergepath_partition_kernelINS1_37wrapped_merge_sort_block_merge_configINS0_14default_configEaN2at4cuda3cub6detail10OpaqueTypeILi8EEEEEPajNS1_19radix_merge_compareILb0ELb0EaNS0_19identity_decomposerEEEEEvT0_T1_jPSH_T2_SH_
		.amdhsa_group_segment_fixed_size 0
		.amdhsa_private_segment_fixed_size 0
		.amdhsa_kernarg_size 32
		.amdhsa_user_sgpr_count 15
		.amdhsa_user_sgpr_dispatch_ptr 0
		.amdhsa_user_sgpr_queue_ptr 0
		.amdhsa_user_sgpr_kernarg_segment_ptr 1
		.amdhsa_user_sgpr_dispatch_id 0
		.amdhsa_user_sgpr_private_segment_size 0
		.amdhsa_wavefront_size32 1
		.amdhsa_uses_dynamic_stack 0
		.amdhsa_enable_private_segment 0
		.amdhsa_system_sgpr_workgroup_id_x 1
		.amdhsa_system_sgpr_workgroup_id_y 0
		.amdhsa_system_sgpr_workgroup_id_z 0
		.amdhsa_system_sgpr_workgroup_info 0
		.amdhsa_system_vgpr_workitem_id 0
		.amdhsa_next_free_vgpr 14
		.amdhsa_next_free_sgpr 16
		.amdhsa_reserve_vcc 1
		.amdhsa_float_round_mode_32 0
		.amdhsa_float_round_mode_16_64 0
		.amdhsa_float_denorm_mode_32 3
		.amdhsa_float_denorm_mode_16_64 3
		.amdhsa_dx10_clamp 1
		.amdhsa_ieee_mode 1
		.amdhsa_fp16_overflow 0
		.amdhsa_workgroup_processor_mode 1
		.amdhsa_memory_ordered 1
		.amdhsa_forward_progress 0
		.amdhsa_shared_vgpr_count 0
		.amdhsa_exception_fp_ieee_invalid_op 0
		.amdhsa_exception_fp_denorm_src 0
		.amdhsa_exception_fp_ieee_div_zero 0
		.amdhsa_exception_fp_ieee_overflow 0
		.amdhsa_exception_fp_ieee_underflow 0
		.amdhsa_exception_fp_ieee_inexact 0
		.amdhsa_exception_int_div_zero 0
	.end_amdhsa_kernel
	.section	.text._ZN7rocprim17ROCPRIM_304000_NS6detail45device_block_merge_mergepath_partition_kernelINS1_37wrapped_merge_sort_block_merge_configINS0_14default_configEaN2at4cuda3cub6detail10OpaqueTypeILi8EEEEEPajNS1_19radix_merge_compareILb0ELb0EaNS0_19identity_decomposerEEEEEvT0_T1_jPSH_T2_SH_,"axG",@progbits,_ZN7rocprim17ROCPRIM_304000_NS6detail45device_block_merge_mergepath_partition_kernelINS1_37wrapped_merge_sort_block_merge_configINS0_14default_configEaN2at4cuda3cub6detail10OpaqueTypeILi8EEEEEPajNS1_19radix_merge_compareILb0ELb0EaNS0_19identity_decomposerEEEEEvT0_T1_jPSH_T2_SH_,comdat
.Lfunc_end41:
	.size	_ZN7rocprim17ROCPRIM_304000_NS6detail45device_block_merge_mergepath_partition_kernelINS1_37wrapped_merge_sort_block_merge_configINS0_14default_configEaN2at4cuda3cub6detail10OpaqueTypeILi8EEEEEPajNS1_19radix_merge_compareILb0ELb0EaNS0_19identity_decomposerEEEEEvT0_T1_jPSH_T2_SH_, .Lfunc_end41-_ZN7rocprim17ROCPRIM_304000_NS6detail45device_block_merge_mergepath_partition_kernelINS1_37wrapped_merge_sort_block_merge_configINS0_14default_configEaN2at4cuda3cub6detail10OpaqueTypeILi8EEEEEPajNS1_19radix_merge_compareILb0ELb0EaNS0_19identity_decomposerEEEEEvT0_T1_jPSH_T2_SH_
                                        ; -- End function
	.section	.AMDGPU.csdata,"",@progbits
; Kernel info:
; codeLenInByte = 412
; NumSgprs: 18
; NumVgprs: 14
; ScratchSize: 0
; MemoryBound: 0
; FloatMode: 240
; IeeeMode: 1
; LDSByteSize: 0 bytes/workgroup (compile time only)
; SGPRBlocks: 2
; VGPRBlocks: 1
; NumSGPRsForWavesPerEU: 18
; NumVGPRsForWavesPerEU: 14
; Occupancy: 16
; WaveLimiterHint : 0
; COMPUTE_PGM_RSRC2:SCRATCH_EN: 0
; COMPUTE_PGM_RSRC2:USER_SGPR: 15
; COMPUTE_PGM_RSRC2:TRAP_HANDLER: 0
; COMPUTE_PGM_RSRC2:TGID_X_EN: 1
; COMPUTE_PGM_RSRC2:TGID_Y_EN: 0
; COMPUTE_PGM_RSRC2:TGID_Z_EN: 0
; COMPUTE_PGM_RSRC2:TIDIG_COMP_CNT: 0
	.section	.text._ZN7rocprim17ROCPRIM_304000_NS6detail35device_block_merge_mergepath_kernelINS1_37wrapped_merge_sort_block_merge_configINS0_14default_configEaN2at4cuda3cub6detail10OpaqueTypeILi8EEEEEPaSC_PSA_SD_jNS1_19radix_merge_compareILb0ELb0EaNS0_19identity_decomposerEEEEEvT0_T1_T2_T3_T4_SL_jT5_PKSL_NS1_7vsmem_tE,"axG",@progbits,_ZN7rocprim17ROCPRIM_304000_NS6detail35device_block_merge_mergepath_kernelINS1_37wrapped_merge_sort_block_merge_configINS0_14default_configEaN2at4cuda3cub6detail10OpaqueTypeILi8EEEEEPaSC_PSA_SD_jNS1_19radix_merge_compareILb0ELb0EaNS0_19identity_decomposerEEEEEvT0_T1_T2_T3_T4_SL_jT5_PKSL_NS1_7vsmem_tE,comdat
	.protected	_ZN7rocprim17ROCPRIM_304000_NS6detail35device_block_merge_mergepath_kernelINS1_37wrapped_merge_sort_block_merge_configINS0_14default_configEaN2at4cuda3cub6detail10OpaqueTypeILi8EEEEEPaSC_PSA_SD_jNS1_19radix_merge_compareILb0ELb0EaNS0_19identity_decomposerEEEEEvT0_T1_T2_T3_T4_SL_jT5_PKSL_NS1_7vsmem_tE ; -- Begin function _ZN7rocprim17ROCPRIM_304000_NS6detail35device_block_merge_mergepath_kernelINS1_37wrapped_merge_sort_block_merge_configINS0_14default_configEaN2at4cuda3cub6detail10OpaqueTypeILi8EEEEEPaSC_PSA_SD_jNS1_19radix_merge_compareILb0ELb0EaNS0_19identity_decomposerEEEEEvT0_T1_T2_T3_T4_SL_jT5_PKSL_NS1_7vsmem_tE
	.globl	_ZN7rocprim17ROCPRIM_304000_NS6detail35device_block_merge_mergepath_kernelINS1_37wrapped_merge_sort_block_merge_configINS0_14default_configEaN2at4cuda3cub6detail10OpaqueTypeILi8EEEEEPaSC_PSA_SD_jNS1_19radix_merge_compareILb0ELb0EaNS0_19identity_decomposerEEEEEvT0_T1_T2_T3_T4_SL_jT5_PKSL_NS1_7vsmem_tE
	.p2align	8
	.type	_ZN7rocprim17ROCPRIM_304000_NS6detail35device_block_merge_mergepath_kernelINS1_37wrapped_merge_sort_block_merge_configINS0_14default_configEaN2at4cuda3cub6detail10OpaqueTypeILi8EEEEEPaSC_PSA_SD_jNS1_19radix_merge_compareILb0ELb0EaNS0_19identity_decomposerEEEEEvT0_T1_T2_T3_T4_SL_jT5_PKSL_NS1_7vsmem_tE,@function
_ZN7rocprim17ROCPRIM_304000_NS6detail35device_block_merge_mergepath_kernelINS1_37wrapped_merge_sort_block_merge_configINS0_14default_configEaN2at4cuda3cub6detail10OpaqueTypeILi8EEEEEPaSC_PSA_SD_jNS1_19radix_merge_compareILb0ELb0EaNS0_19identity_decomposerEEEEEvT0_T1_T2_T3_T4_SL_jT5_PKSL_NS1_7vsmem_tE: ; @_ZN7rocprim17ROCPRIM_304000_NS6detail35device_block_merge_mergepath_kernelINS1_37wrapped_merge_sort_block_merge_configINS0_14default_configEaN2at4cuda3cub6detail10OpaqueTypeILi8EEEEEPaSC_PSA_SD_jNS1_19radix_merge_compareILb0ELb0EaNS0_19identity_decomposerEEEEEvT0_T1_T2_T3_T4_SL_jT5_PKSL_NS1_7vsmem_tE
; %bb.0:
	s_clause 0x1
	s_load_b64 s[22:23], s[0:1], 0x40
	s_load_b128 s[16:19], s[0:1], 0x20
	s_add_u32 s20, s0, 64
	s_addc_u32 s21, s1, 0
	s_waitcnt lgkmcnt(0)
	s_mul_i32 s2, s23, s15
	s_delay_alu instid0(SALU_CYCLE_1) | instskip(NEXT) | instid1(SALU_CYCLE_1)
	s_add_i32 s2, s2, s14
	s_mul_i32 s2, s2, s22
	s_delay_alu instid0(SALU_CYCLE_1) | instskip(NEXT) | instid1(SALU_CYCLE_1)
	s_add_i32 s2, s2, s13
	s_cmp_ge_u32 s2, s18
	s_cbranch_scc1 .LBB42_53
; %bb.1:
	v_mov_b32_e32 v1, 0
	s_load_b64 s[4:5], s[0:1], 0x30
	s_lshr_b32 s26, s16, 10
	s_mov_b32 s15, 0
	s_cmp_lg_u32 s2, s26
	global_load_b32 v2, v1, s[20:21] offset:14
	s_mov_b32 s3, s15
	s_cselect_b32 s18, -1, 0
	s_lshl_b64 s[6:7], s[2:3], 2
	s_waitcnt lgkmcnt(0)
	s_add_u32 s4, s4, s6
	s_addc_u32 s5, s5, s7
	s_lshr_b32 s3, s17, 9
	s_load_b64 s[24:25], s[4:5], 0x0
	s_and_b32 s3, s3, 0x7ffffe
	s_load_b256 s[4:11], s[0:1], 0x0
	s_sub_i32 s0, 0, s3
	s_lshl_b32 s3, s2, 10
	s_and_b32 s1, s2, s0
	s_or_b32 s0, s2, s0
	s_lshl_b32 s12, s1, 11
	s_lshl_b32 s1, s1, 10
	s_add_i32 s12, s12, s17
	s_sub_i32 s14, s3, s1
	s_sub_i32 s1, s12, s1
	s_add_i32 s12, s12, s14
	s_min_u32 s14, s16, s1
	s_add_i32 s1, s1, s17
	s_waitcnt lgkmcnt(0)
	s_sub_i32 s17, s12, s24
	s_sub_i32 s19, s12, s25
	s_min_u32 s12, s16, s17
	s_addk_i32 s19, 0x400
	s_cmp_eq_u32 s0, -1
	s_cselect_b32 s0, s1, s19
	s_cselect_b32 s1, s14, s25
	s_min_u32 s0, s0, s16
	s_sub_i32 s17, s1, s24
	s_sub_i32 s19, s0, s12
	s_add_u32 s1, s4, s24
	s_addc_u32 s23, s5, 0
	s_mov_b32 s14, s24
	s_add_u32 s24, s4, s12
	s_addc_u32 s5, s5, 0
	s_cmp_lt_u32 s13, s22
	v_cmp_gt_u32_e32 vcc_lo, s17, v0
	s_cselect_b32 s0, 12, 18
	s_mov_b32 s13, s15
	s_add_u32 s20, s20, s0
	s_addc_u32 s21, s21, 0
	s_mov_b32 s0, -1
	s_cmp_eq_u32 s2, s26
	s_waitcnt vmcnt(0)
	v_lshrrev_b32_e32 v3, 16, v2
	v_and_b32_e32 v2, 0xffff, v2
	global_load_u16 v1, v1, s[20:21]
	v_mul_lo_u32 v2, v2, v3
	s_waitcnt vmcnt(0)
	s_delay_alu instid0(VALU_DEP_1) | instskip(NEXT) | instid1(VALU_DEP_1)
	v_mul_lo_u32 v1, v2, v1
	v_add_nc_u32_e32 v1, v1, v0
	s_cbranch_scc1 .LBB42_3
; %bb.2:
	v_subrev_nc_u32_e32 v2, s17, v0
	v_add_co_u32 v4, s0, s1, v0
	s_delay_alu instid0(VALU_DEP_3) | instskip(SKIP_1) | instid1(VALU_DEP_4)
	v_subrev_nc_u32_e32 v6, s17, v1
	v_add_co_ci_u32_e64 v3, null, s23, 0, s0
	v_add_co_u32 v2, s0, s24, v2
	s_delay_alu instid0(VALU_DEP_1) | instskip(SKIP_1) | instid1(VALU_DEP_1)
	v_add_co_ci_u32_e64 v5, null, s5, 0, s0
	v_add_co_u32 v8, s0, s1, v1
	v_add_co_ci_u32_e64 v7, null, s23, 0, s0
	v_add_co_u32 v6, s0, s24, v6
	s_delay_alu instid0(VALU_DEP_1) | instskip(SKIP_3) | instid1(VALU_DEP_2)
	v_add_co_ci_u32_e64 v9, null, s5, 0, s0
	v_cmp_gt_u32_e64 s0, s17, v1
	v_dual_cndmask_b32 v3, v5, v3 :: v_dual_cndmask_b32 v2, v2, v4
	s_add_i32 s4, s19, s17
	v_cndmask_b32_e64 v7, v9, v7, s0
	v_cndmask_b32_e64 v6, v6, v8, s0
	global_load_u8 v5, v[2:3], off
	global_load_u8 v7, v[6:7], off
	s_mov_b32 s0, s15
	s_delay_alu instid0(SALU_CYCLE_1)
	s_and_not1_b32 vcc_lo, exec_lo, s0
	s_cbranch_vccz .LBB42_4
	s_branch .LBB42_9
.LBB42_3:
                                        ; implicit-def: $vgpr5
                                        ; implicit-def: $vgpr7
                                        ; implicit-def: $sgpr4
	s_and_not1_b32 vcc_lo, exec_lo, s0
	s_cbranch_vccnz .LBB42_9
.LBB42_4:
	s_add_i32 s4, s19, s17
	s_mov_b32 s0, exec_lo
                                        ; implicit-def: $vgpr5
	v_cmpx_gt_u32_e64 s4, v0
	s_cbranch_execz .LBB42_6
; %bb.5:
	v_subrev_nc_u32_e32 v2, s17, v0
	v_add_co_u32 v4, s2, s1, v0
	s_delay_alu instid0(VALU_DEP_1) | instskip(NEXT) | instid1(VALU_DEP_3)
	v_add_co_ci_u32_e64 v3, null, s23, 0, s2
	v_add_co_u32 v2, s2, s24, v2
	s_waitcnt vmcnt(1)
	v_add_co_ci_u32_e64 v5, null, s5, 0, s2
	v_cmp_gt_u32_e32 vcc_lo, s17, v0
	s_delay_alu instid0(VALU_DEP_2)
	v_dual_cndmask_b32 v3, v5, v3 :: v_dual_cndmask_b32 v2, v2, v4
	global_load_u8 v5, v[2:3], off
.LBB42_6:
	s_or_b32 exec_lo, exec_lo, s0
	s_delay_alu instid0(SALU_CYCLE_1)
	s_mov_b32 s0, exec_lo
                                        ; implicit-def: $vgpr7
	v_cmpx_gt_u32_e64 s4, v1
	s_cbranch_execz .LBB42_8
; %bb.7:
	v_subrev_nc_u32_e32 v2, s17, v1
	v_add_co_u32 v3, s1, s1, v1
	s_delay_alu instid0(VALU_DEP_1) | instskip(NEXT) | instid1(VALU_DEP_3)
	v_add_co_ci_u32_e64 v4, null, s23, 0, s1
	v_add_co_u32 v6, s1, s24, v2
	s_delay_alu instid0(VALU_DEP_1) | instskip(SKIP_1) | instid1(VALU_DEP_3)
	v_add_co_ci_u32_e64 v2, null, s5, 0, s1
	v_cmp_gt_u32_e32 vcc_lo, s17, v1
	v_cndmask_b32_e32 v1, v6, v3, vcc_lo
	s_delay_alu instid0(VALU_DEP_3)
	v_cndmask_b32_e32 v2, v2, v4, vcc_lo
	global_load_u8 v7, v[1:2], off
.LBB42_8:
	s_or_b32 exec_lo, exec_lo, s0
.LBB42_9:
	v_lshlrev_b32_e32 v6, 1, v0
	s_mov_b32 s0, exec_lo
	s_waitcnt vmcnt(0)
	ds_store_b8 v0, v5
	ds_store_b8 v0, v7 offset:512
	s_waitcnt lgkmcnt(0)
	s_barrier
	v_min_u32_e32 v2, s4, v6
	buffer_gl0_inv
	v_sub_nc_u32_e64 v1, v2, s19 clamp
	v_min_u32_e32 v3, s17, v2
	s_delay_alu instid0(VALU_DEP_1)
	v_cmpx_lt_u32_e64 v1, v3
	s_cbranch_execz .LBB42_13
; %bb.10:
	v_add_nc_u32_e32 v4, s17, v2
	s_mov_b32 s1, 0
.LBB42_11:                              ; =>This Inner Loop Header: Depth=1
	v_add_nc_u32_e32 v8, v3, v1
	s_delay_alu instid0(VALU_DEP_1) | instskip(NEXT) | instid1(VALU_DEP_1)
	v_lshrrev_b32_e32 v8, 1, v8
	v_xad_u32 v9, v8, -1, v4
	v_add_nc_u32_e32 v11, 1, v8
	ds_load_i8 v10, v8
	ds_load_i8 v9, v9
	s_waitcnt lgkmcnt(0)
	v_cmp_gt_i16_e32 vcc_lo, v10, v9
	v_cndmask_b32_e32 v3, v3, v8, vcc_lo
	v_cndmask_b32_e32 v1, v11, v1, vcc_lo
	s_delay_alu instid0(VALU_DEP_1) | instskip(SKIP_1) | instid1(SALU_CYCLE_1)
	v_cmp_ge_u32_e32 vcc_lo, v1, v3
	s_or_b32 s1, vcc_lo, s1
	s_and_not1_b32 exec_lo, exec_lo, s1
	s_cbranch_execnz .LBB42_11
; %bb.12:
	s_or_b32 exec_lo, exec_lo, s1
.LBB42_13:
	s_delay_alu instid0(SALU_CYCLE_1) | instskip(SKIP_2) | instid1(VALU_DEP_2)
	s_or_b32 exec_lo, exec_lo, s0
	v_sub_nc_u32_e32 v2, v2, v1
	v_cmp_ge_u32_e32 vcc_lo, s17, v1
                                        ; implicit-def: $vgpr9
                                        ; implicit-def: $vgpr10
	v_add_nc_u32_e32 v2, s17, v2
	s_delay_alu instid0(VALU_DEP_1) | instskip(NEXT) | instid1(VALU_DEP_1)
	v_cmp_ge_u32_e64 s0, s4, v2
	s_or_b32 s0, vcc_lo, s0
	s_delay_alu instid0(SALU_CYCLE_1)
	s_and_saveexec_b32 s5, s0
	s_cbranch_execz .LBB42_19
; %bb.14:
	v_cmp_gt_u32_e32 vcc_lo, s17, v1
                                        ; implicit-def: $vgpr3
	s_and_saveexec_b32 s0, vcc_lo
	s_cbranch_execz .LBB42_16
; %bb.15:
	ds_load_u8 v3, v1
.LBB42_16:
	s_or_b32 exec_lo, exec_lo, s0
	v_cmp_le_u32_e64 s0, s4, v2
	s_mov_b32 s2, exec_lo
                                        ; implicit-def: $vgpr4
	v_cmpx_gt_u32_e64 s4, v2
	s_cbranch_execz .LBB42_18
; %bb.17:
	ds_load_u8 v4, v2
.LBB42_18:
	s_or_b32 exec_lo, exec_lo, s2
	s_waitcnt lgkmcnt(0)
	v_bfe_i32 v5, v4, 0, 8
	v_bfe_i32 v7, v3, 0, 8
	s_delay_alu instid0(VALU_DEP_1) | instskip(NEXT) | instid1(VALU_DEP_1)
	v_cmp_le_i16_e64 s1, v7, v5
	s_and_b32 s1, vcc_lo, s1
	s_delay_alu instid0(SALU_CYCLE_1) | instskip(SKIP_1) | instid1(VALU_DEP_1)
	s_or_b32 vcc_lo, s0, s1
	v_dual_mov_b32 v5, s17 :: v_dual_cndmask_b32 v10, v2, v1
	v_cndmask_b32_e32 v5, s4, v5, vcc_lo
	s_delay_alu instid0(VALU_DEP_2) | instskip(NEXT) | instid1(VALU_DEP_2)
	v_add_nc_u32_e32 v7, 1, v10
	v_add_nc_u32_e32 v5, -1, v5
	s_delay_alu instid0(VALU_DEP_1)
	v_min_u32_e32 v5, v7, v5
	ds_load_u8 v5, v5
	s_waitcnt lgkmcnt(0)
	v_cndmask_b32_e32 v8, v5, v4, vcc_lo
	v_cndmask_b32_e32 v2, v7, v2, vcc_lo
	;; [unrolled: 1-line block ×4, first 2 shown]
	s_delay_alu instid0(VALU_DEP_4) | instskip(NEXT) | instid1(VALU_DEP_4)
	v_bfe_i32 v5, v8, 0, 8
	v_cmp_le_u32_e64 s2, s4, v2
	s_delay_alu instid0(VALU_DEP_4) | instskip(NEXT) | instid1(VALU_DEP_4)
	v_bfe_i32 v9, v11, 0, 8
	v_cmp_gt_u32_e64 s0, s17, v1
	s_delay_alu instid0(VALU_DEP_2) | instskip(SKIP_1) | instid1(VALU_DEP_2)
	v_cmp_le_i16_e64 s1, v9, v5
	v_cndmask_b32_e32 v5, v4, v3, vcc_lo
	s_and_b32 s0, s0, s1
	s_delay_alu instid0(SALU_CYCLE_1)
	s_or_b32 vcc_lo, s2, s0
	v_cndmask_b32_e32 v9, v2, v1, vcc_lo
	v_cndmask_b32_e32 v7, v8, v11, vcc_lo
.LBB42_19:
	s_or_b32 exec_lo, exec_lo, s5
	s_lshl_b64 s[0:1], s[14:15], 3
	v_or_b32_e32 v8, 0x200, v0
	s_add_u32 s2, s8, s0
	s_addc_u32 s5, s9, s1
	s_lshl_b64 s[12:13], s[12:13], 3
	v_cmp_gt_u32_e64 s1, s17, v0
	v_cmp_le_u32_e64 s0, s17, v0
	s_add_u32 s8, s8, s12
	s_mov_b32 s14, 0
	s_addc_u32 s9, s9, s13
	s_and_not1_b32 vcc_lo, exec_lo, s18
	s_barrier
	buffer_gl0_inv
	s_cbranch_vccnz .LBB42_21
; %bb.20:
	v_subrev_nc_u32_e32 v1, s17, v0
	v_dual_mov_b32 v2, 0 :: v_dual_lshlrev_b32 v13, 3, v0
	s_mov_b32 s14, -1
	s_delay_alu instid0(VALU_DEP_1) | instskip(NEXT) | instid1(VALU_DEP_2)
	v_lshlrev_b64 v[3:4], 3, v[1:2]
	v_add_co_u32 v14, s12, s2, v13
	s_delay_alu instid0(VALU_DEP_1) | instskip(NEXT) | instid1(VALU_DEP_3)
	v_add_co_ci_u32_e64 v15, null, s5, 0, s12
	v_add_co_u32 v1, vcc_lo, s8, v3
	s_delay_alu instid0(VALU_DEP_4) | instskip(NEXT) | instid1(VALU_DEP_1)
	v_add_co_ci_u32_e32 v3, vcc_lo, s9, v4, vcc_lo
	v_cndmask_b32_e64 v4, v3, v15, s1
	s_delay_alu instid0(VALU_DEP_3)
	v_cndmask_b32_e64 v3, v1, v14, s1
	v_subrev_nc_u32_e32 v1, s17, v8
	global_load_b64 v[11:12], v[3:4], off
	v_lshlrev_b64 v[1:2], 3, v[1:2]
	v_add_co_u32 v3, vcc_lo, 0x1000, v14
	v_add_co_ci_u32_e32 v4, vcc_lo, 0, v15, vcc_lo
	s_delay_alu instid0(VALU_DEP_3) | instskip(NEXT) | instid1(VALU_DEP_4)
	v_add_co_u32 v1, vcc_lo, s8, v1
	v_add_co_ci_u32_e32 v2, vcc_lo, s9, v2, vcc_lo
	v_cmp_gt_u32_e32 vcc_lo, s17, v8
	s_delay_alu instid0(VALU_DEP_2)
	v_dual_cndmask_b32 v2, v2, v4 :: v_dual_cndmask_b32 v1, v1, v3
	v_or_b32_e32 v4, 0x1000, v13
	s_waitcnt vmcnt(0)
	ds_store_b64 v13, v[11:12]
	s_cbranch_execz .LBB42_22
	s_branch .LBB42_33
.LBB42_21:
                                        ; implicit-def: $vgpr4
                                        ; implicit-def: $vgpr1_vgpr2
.LBB42_22:
	s_mov_b32 s1, 0
                                        ; implicit-def: $vgpr1_vgpr2
	s_and_saveexec_b32 s12, s0
	s_delay_alu instid0(SALU_CYCLE_1)
	s_xor_b32 s0, exec_lo, s12
	s_cbranch_execnz .LBB42_54
; %bb.23:
	s_and_not1_saveexec_b32 s0, s0
	s_cbranch_execnz .LBB42_57
.LBB42_24:
	s_or_b32 exec_lo, exec_lo, s0
	s_and_saveexec_b32 s0, s1
	s_cbranch_execz .LBB42_26
.LBB42_25:
	global_load_b64 v[1:2], v[1:2], off
	v_mad_u32_u24 v3, v0, 7, v0
	s_waitcnt vmcnt(0)
	ds_store_b64 v3, v[1:2]
.LBB42_26:
	s_or_b32 exec_lo, exec_lo, s0
	s_delay_alu instid0(SALU_CYCLE_1)
	s_mov_b32 s0, exec_lo
                                        ; implicit-def: $vgpr4
                                        ; implicit-def: $vgpr1_vgpr2
	v_cmpx_le_u32_e64 s17, v8
	s_xor_b32 s0, exec_lo, s0
	s_cbranch_execz .LBB42_30
; %bb.27:
	v_subrev_nc_u32_e32 v3, s17, v8
	s_mov_b32 s12, s14
	s_mov_b32 s1, exec_lo
                                        ; implicit-def: $vgpr4
                                        ; implicit-def: $vgpr1_vgpr2
	s_delay_alu instid0(VALU_DEP_1)
	v_cmpx_gt_u32_e64 s19, v3
; %bb.28:
	v_mov_b32_e32 v4, 0
	v_mul_u32_u24_e32 v11, 7, v0
	s_or_b32 s12, s14, exec_lo
	s_delay_alu instid0(VALU_DEP_2) | instskip(NEXT) | instid1(VALU_DEP_2)
	v_lshlrev_b64 v[1:2], 3, v[3:4]
	v_add3_u32 v4, v0, v11, 0x1000
	s_delay_alu instid0(VALU_DEP_2) | instskip(NEXT) | instid1(VALU_DEP_3)
	v_add_co_u32 v1, vcc_lo, s8, v1
	v_add_co_ci_u32_e32 v2, vcc_lo, s9, v2, vcc_lo
; %bb.29:
	s_or_b32 exec_lo, exec_lo, s1
	s_delay_alu instid0(SALU_CYCLE_1) | instskip(SKIP_1) | instid1(SALU_CYCLE_1)
	s_and_not1_b32 s1, s14, exec_lo
	s_and_b32 s8, s12, exec_lo
	s_or_b32 s14, s1, s8
.LBB42_30:
	s_and_not1_saveexec_b32 s0, s0
; %bb.31:
	v_lshlrev_b32_e32 v1, 3, v8
	v_mul_u32_u24_e32 v3, 7, v0
	s_or_b32 s14, s14, exec_lo
	s_delay_alu instid0(VALU_DEP_2) | instskip(NEXT) | instid1(VALU_DEP_1)
	v_add_co_u32 v1, s1, s2, v1
	v_add_co_ci_u32_e64 v2, null, s5, 0, s1
	s_delay_alu instid0(VALU_DEP_3)
	v_add3_u32 v4, v0, v3, 0x1000
; %bb.32:
	s_or_b32 exec_lo, exec_lo, s0
.LBB42_33:
	s_and_saveexec_b32 s0, s14
	s_cbranch_execz .LBB42_35
; %bb.34:
	global_load_b64 v[1:2], v[1:2], off
	s_waitcnt vmcnt(0)
	ds_store_b64 v4, v[1:2]
.LBB42_35:
	s_or_b32 exec_lo, exec_lo, s0
	v_add_nc_u32_e32 v1, s3, v6
	s_and_not1_b32 vcc_lo, exec_lo, s18
	s_waitcnt lgkmcnt(0)
	s_barrier
	buffer_gl0_inv
	s_cbranch_vccnz .LBB42_37
; %bb.36:
	v_lshlrev_b32_e32 v2, 3, v10
	s_mov_b32 s0, -1
	ds_load_b64 v[3:4], v2
	v_mov_b32_e32 v2, 0
	s_delay_alu instid0(VALU_DEP_1) | instskip(NEXT) | instid1(VALU_DEP_1)
	v_lshlrev_b64 v[11:12], 3, v[1:2]
	v_add_co_u32 v11, vcc_lo, s10, v11
	s_delay_alu instid0(VALU_DEP_2)
	v_add_co_ci_u32_e32 v12, vcc_lo, s11, v12, vcc_lo
	s_waitcnt lgkmcnt(0)
	global_store_b64 v[11:12], v[3:4], off
	s_cbranch_execz .LBB42_38
	s_branch .LBB42_43
.LBB42_37:
	s_mov_b32 s0, 0
.LBB42_38:
	s_mov_b32 s1, exec_lo
	v_cmpx_gt_u32_e64 s4, v6
	s_cbranch_execz .LBB42_40
; %bb.39:
	v_lshlrev_b32_e32 v2, 3, v10
	ds_load_b64 v[3:4], v2
	v_mov_b32_e32 v2, 0
	s_delay_alu instid0(VALU_DEP_1) | instskip(NEXT) | instid1(VALU_DEP_1)
	v_lshlrev_b64 v[10:11], 3, v[1:2]
	v_add_co_u32 v10, vcc_lo, s10, v10
	s_delay_alu instid0(VALU_DEP_2)
	v_add_co_ci_u32_e32 v11, vcc_lo, s11, v11, vcc_lo
	s_waitcnt lgkmcnt(0)
	global_store_b64 v[10:11], v[3:4], off
.LBB42_40:
	s_or_b32 exec_lo, exec_lo, s1
	v_or_b32_e32 v2, 1, v6
	s_mov_b32 s1, exec_lo
	s_delay_alu instid0(VALU_DEP_1)
	v_cmpx_gt_u32_e64 s4, v2
; %bb.41:
	v_mov_b32_e32 v2, 0
	s_or_b32 s0, s0, exec_lo
; %bb.42:
	s_or_b32 exec_lo, exec_lo, s1
.LBB42_43:
	s_and_saveexec_b32 s1, s0
	s_cbranch_execz .LBB42_45
; %bb.44:
	v_lshlrev_b32_e32 v3, 3, v9
	v_lshlrev_b64 v[1:2], 3, v[1:2]
	ds_load_b64 v[3:4], v3
	v_add_co_u32 v1, vcc_lo, s10, v1
	v_add_co_ci_u32_e32 v2, vcc_lo, s11, v2, vcc_lo
	s_waitcnt lgkmcnt(0)
	global_store_b64 v[1:2], v[3:4], off offset:8
.LBB42_45:
	s_or_b32 exec_lo, exec_lo, s1
	v_lshrrev_b32_e32 v1, 4, v0
	v_and_b32_e32 v2, 0xff, v5
	v_lshlrev_b16 v3, 8, v7
	v_lshrrev_b32_e32 v4, 5, v8
	s_add_u32 s1, s6, s3
	v_and_b32_e32 v1, 28, v1
	s_waitcnt_vscnt null, 0x0
	v_or_b32_e32 v2, v2, v3
	v_lshrrev_b32_e32 v3, 5, v0
	v_and_b32_e32 v4, 28, v4
	v_add_nc_u32_e32 v1, v1, v6
	s_barrier
	buffer_gl0_inv
	s_barrier
	buffer_gl0_inv
	s_addc_u32 s2, s7, 0
	ds_store_b16 v1, v2
	v_add_co_u32 v1, s1, s1, v0
	v_and_b32_e32 v3, 12, v3
	v_add_co_ci_u32_e64 v2, null, s2, 0, s1
	v_add_nc_u32_e32 v5, v0, v4
	s_mov_b32 s0, 0
	s_and_b32 vcc_lo, exec_lo, s18
	s_waitcnt lgkmcnt(0)
	s_cbranch_vccz .LBB42_47
; %bb.46:
	v_add_nc_u32_e32 v4, v0, v3
	s_barrier
	buffer_gl0_inv
	s_mov_b32 s0, -1
	ds_load_u8 v6, v4
	ds_load_u8 v4, v5 offset:512
	s_waitcnt lgkmcnt(1)
	global_store_b8 v[1:2], v6, off
	s_cbranch_execz .LBB42_48
	s_branch .LBB42_51
.LBB42_47:
                                        ; implicit-def: $vgpr4
.LBB42_48:
	s_waitcnt lgkmcnt(0)
	s_waitcnt_vscnt null, 0x0
	s_barrier
	buffer_gl0_inv
	ds_load_u8 v4, v5 offset:512
	s_sub_i32 s0, s16, s3
	s_mov_b32 s1, exec_lo
	v_cmpx_gt_u32_e64 s0, v0
	s_cbranch_execz .LBB42_50
; %bb.49:
	v_add_nc_u32_e32 v0, v0, v3
	ds_load_u8 v0, v0
	s_waitcnt lgkmcnt(0)
	global_store_b8 v[1:2], v0, off
.LBB42_50:
	s_or_b32 exec_lo, exec_lo, s1
	v_cmp_gt_u32_e64 s0, s0, v8
.LBB42_51:
	s_delay_alu instid0(VALU_DEP_1)
	s_and_saveexec_b32 s1, s0
	s_cbranch_execz .LBB42_53
; %bb.52:
	s_waitcnt lgkmcnt(0)
	global_store_b8 v[1:2], v4, off offset:512
.LBB42_53:
	s_nop 0
	s_sendmsg sendmsg(MSG_DEALLOC_VGPRS)
	s_endpgm
.LBB42_54:
	v_subrev_nc_u32_e32 v3, s17, v0
	s_mov_b32 s12, exec_lo
                                        ; implicit-def: $vgpr1_vgpr2
	s_delay_alu instid0(VALU_DEP_1)
	v_cmpx_gt_u32_e64 s19, v3
	s_xor_b32 s12, exec_lo, s12
; %bb.55:
	v_mov_b32_e32 v4, 0
	s_mov_b32 s1, exec_lo
	s_delay_alu instid0(VALU_DEP_1) | instskip(NEXT) | instid1(VALU_DEP_1)
	v_lshlrev_b64 v[1:2], 3, v[3:4]
	v_add_co_u32 v1, vcc_lo, s8, v1
	s_delay_alu instid0(VALU_DEP_2)
	v_add_co_ci_u32_e32 v2, vcc_lo, s9, v2, vcc_lo
; %bb.56:
	s_or_b32 exec_lo, exec_lo, s12
	s_delay_alu instid0(SALU_CYCLE_1)
	s_and_b32 s1, s1, exec_lo
	s_and_not1_saveexec_b32 s0, s0
	s_cbranch_execz .LBB42_24
.LBB42_57:
	v_lshlrev_b32_e32 v1, 3, v0
	s_or_b32 s1, s1, exec_lo
	s_delay_alu instid0(VALU_DEP_1) | instskip(NEXT) | instid1(VALU_DEP_1)
	v_add_co_u32 v1, s12, s2, v1
	v_add_co_ci_u32_e64 v2, null, s5, 0, s12
	s_or_b32 exec_lo, exec_lo, s0
	s_and_saveexec_b32 s0, s1
	s_cbranch_execnz .LBB42_25
	s_branch .LBB42_26
	.section	.rodata,"a",@progbits
	.p2align	6, 0x0
	.amdhsa_kernel _ZN7rocprim17ROCPRIM_304000_NS6detail35device_block_merge_mergepath_kernelINS1_37wrapped_merge_sort_block_merge_configINS0_14default_configEaN2at4cuda3cub6detail10OpaqueTypeILi8EEEEEPaSC_PSA_SD_jNS1_19radix_merge_compareILb0ELb0EaNS0_19identity_decomposerEEEEEvT0_T1_T2_T3_T4_SL_jT5_PKSL_NS1_7vsmem_tE
		.amdhsa_group_segment_fixed_size 8208
		.amdhsa_private_segment_fixed_size 0
		.amdhsa_kernarg_size 320
		.amdhsa_user_sgpr_count 13
		.amdhsa_user_sgpr_dispatch_ptr 0
		.amdhsa_user_sgpr_queue_ptr 0
		.amdhsa_user_sgpr_kernarg_segment_ptr 1
		.amdhsa_user_sgpr_dispatch_id 0
		.amdhsa_user_sgpr_private_segment_size 0
		.amdhsa_wavefront_size32 1
		.amdhsa_uses_dynamic_stack 0
		.amdhsa_enable_private_segment 0
		.amdhsa_system_sgpr_workgroup_id_x 1
		.amdhsa_system_sgpr_workgroup_id_y 1
		.amdhsa_system_sgpr_workgroup_id_z 1
		.amdhsa_system_sgpr_workgroup_info 0
		.amdhsa_system_vgpr_workitem_id 0
		.amdhsa_next_free_vgpr 16
		.amdhsa_next_free_sgpr 27
		.amdhsa_reserve_vcc 1
		.amdhsa_float_round_mode_32 0
		.amdhsa_float_round_mode_16_64 0
		.amdhsa_float_denorm_mode_32 3
		.amdhsa_float_denorm_mode_16_64 3
		.amdhsa_dx10_clamp 1
		.amdhsa_ieee_mode 1
		.amdhsa_fp16_overflow 0
		.amdhsa_workgroup_processor_mode 1
		.amdhsa_memory_ordered 1
		.amdhsa_forward_progress 0
		.amdhsa_shared_vgpr_count 0
		.amdhsa_exception_fp_ieee_invalid_op 0
		.amdhsa_exception_fp_denorm_src 0
		.amdhsa_exception_fp_ieee_div_zero 0
		.amdhsa_exception_fp_ieee_overflow 0
		.amdhsa_exception_fp_ieee_underflow 0
		.amdhsa_exception_fp_ieee_inexact 0
		.amdhsa_exception_int_div_zero 0
	.end_amdhsa_kernel
	.section	.text._ZN7rocprim17ROCPRIM_304000_NS6detail35device_block_merge_mergepath_kernelINS1_37wrapped_merge_sort_block_merge_configINS0_14default_configEaN2at4cuda3cub6detail10OpaqueTypeILi8EEEEEPaSC_PSA_SD_jNS1_19radix_merge_compareILb0ELb0EaNS0_19identity_decomposerEEEEEvT0_T1_T2_T3_T4_SL_jT5_PKSL_NS1_7vsmem_tE,"axG",@progbits,_ZN7rocprim17ROCPRIM_304000_NS6detail35device_block_merge_mergepath_kernelINS1_37wrapped_merge_sort_block_merge_configINS0_14default_configEaN2at4cuda3cub6detail10OpaqueTypeILi8EEEEEPaSC_PSA_SD_jNS1_19radix_merge_compareILb0ELb0EaNS0_19identity_decomposerEEEEEvT0_T1_T2_T3_T4_SL_jT5_PKSL_NS1_7vsmem_tE,comdat
.Lfunc_end42:
	.size	_ZN7rocprim17ROCPRIM_304000_NS6detail35device_block_merge_mergepath_kernelINS1_37wrapped_merge_sort_block_merge_configINS0_14default_configEaN2at4cuda3cub6detail10OpaqueTypeILi8EEEEEPaSC_PSA_SD_jNS1_19radix_merge_compareILb0ELb0EaNS0_19identity_decomposerEEEEEvT0_T1_T2_T3_T4_SL_jT5_PKSL_NS1_7vsmem_tE, .Lfunc_end42-_ZN7rocprim17ROCPRIM_304000_NS6detail35device_block_merge_mergepath_kernelINS1_37wrapped_merge_sort_block_merge_configINS0_14default_configEaN2at4cuda3cub6detail10OpaqueTypeILi8EEEEEPaSC_PSA_SD_jNS1_19radix_merge_compareILb0ELb0EaNS0_19identity_decomposerEEEEEvT0_T1_T2_T3_T4_SL_jT5_PKSL_NS1_7vsmem_tE
                                        ; -- End function
	.section	.AMDGPU.csdata,"",@progbits
; Kernel info:
; codeLenInByte = 2376
; NumSgprs: 29
; NumVgprs: 16
; ScratchSize: 0
; MemoryBound: 1
; FloatMode: 240
; IeeeMode: 1
; LDSByteSize: 8208 bytes/workgroup (compile time only)
; SGPRBlocks: 3
; VGPRBlocks: 1
; NumSGPRsForWavesPerEU: 29
; NumVGPRsForWavesPerEU: 16
; Occupancy: 16
; WaveLimiterHint : 1
; COMPUTE_PGM_RSRC2:SCRATCH_EN: 0
; COMPUTE_PGM_RSRC2:USER_SGPR: 13
; COMPUTE_PGM_RSRC2:TRAP_HANDLER: 0
; COMPUTE_PGM_RSRC2:TGID_X_EN: 1
; COMPUTE_PGM_RSRC2:TGID_Y_EN: 1
; COMPUTE_PGM_RSRC2:TGID_Z_EN: 1
; COMPUTE_PGM_RSRC2:TIDIG_COMP_CNT: 0
	.section	.text._ZN7rocprim17ROCPRIM_304000_NS6detail33device_block_merge_oddeven_kernelINS1_37wrapped_merge_sort_block_merge_configINS0_14default_configEaN2at4cuda3cub6detail10OpaqueTypeILi8EEEEEPaSC_PSA_SD_jNS1_19radix_merge_compareILb0ELb0EaNS0_19identity_decomposerEEEEEvT0_T1_T2_T3_T4_SL_T5_,"axG",@progbits,_ZN7rocprim17ROCPRIM_304000_NS6detail33device_block_merge_oddeven_kernelINS1_37wrapped_merge_sort_block_merge_configINS0_14default_configEaN2at4cuda3cub6detail10OpaqueTypeILi8EEEEEPaSC_PSA_SD_jNS1_19radix_merge_compareILb0ELb0EaNS0_19identity_decomposerEEEEEvT0_T1_T2_T3_T4_SL_T5_,comdat
	.protected	_ZN7rocprim17ROCPRIM_304000_NS6detail33device_block_merge_oddeven_kernelINS1_37wrapped_merge_sort_block_merge_configINS0_14default_configEaN2at4cuda3cub6detail10OpaqueTypeILi8EEEEEPaSC_PSA_SD_jNS1_19radix_merge_compareILb0ELb0EaNS0_19identity_decomposerEEEEEvT0_T1_T2_T3_T4_SL_T5_ ; -- Begin function _ZN7rocprim17ROCPRIM_304000_NS6detail33device_block_merge_oddeven_kernelINS1_37wrapped_merge_sort_block_merge_configINS0_14default_configEaN2at4cuda3cub6detail10OpaqueTypeILi8EEEEEPaSC_PSA_SD_jNS1_19radix_merge_compareILb0ELb0EaNS0_19identity_decomposerEEEEEvT0_T1_T2_T3_T4_SL_T5_
	.globl	_ZN7rocprim17ROCPRIM_304000_NS6detail33device_block_merge_oddeven_kernelINS1_37wrapped_merge_sort_block_merge_configINS0_14default_configEaN2at4cuda3cub6detail10OpaqueTypeILi8EEEEEPaSC_PSA_SD_jNS1_19radix_merge_compareILb0ELb0EaNS0_19identity_decomposerEEEEEvT0_T1_T2_T3_T4_SL_T5_
	.p2align	8
	.type	_ZN7rocprim17ROCPRIM_304000_NS6detail33device_block_merge_oddeven_kernelINS1_37wrapped_merge_sort_block_merge_configINS0_14default_configEaN2at4cuda3cub6detail10OpaqueTypeILi8EEEEEPaSC_PSA_SD_jNS1_19radix_merge_compareILb0ELb0EaNS0_19identity_decomposerEEEEEvT0_T1_T2_T3_T4_SL_T5_,@function
_ZN7rocprim17ROCPRIM_304000_NS6detail33device_block_merge_oddeven_kernelINS1_37wrapped_merge_sort_block_merge_configINS0_14default_configEaN2at4cuda3cub6detail10OpaqueTypeILi8EEEEEPaSC_PSA_SD_jNS1_19radix_merge_compareILb0ELb0EaNS0_19identity_decomposerEEEEEvT0_T1_T2_T3_T4_SL_T5_: ; @_ZN7rocprim17ROCPRIM_304000_NS6detail33device_block_merge_oddeven_kernelINS1_37wrapped_merge_sort_block_merge_configINS0_14default_configEaN2at4cuda3cub6detail10OpaqueTypeILi8EEEEEPaSC_PSA_SD_jNS1_19radix_merge_compareILb0ELb0EaNS0_19identity_decomposerEEEEEvT0_T1_T2_T3_T4_SL_T5_
; %bb.0:
	s_load_b64 s[16:17], s[0:1], 0x20
	s_waitcnt lgkmcnt(0)
	s_lshr_b32 s2, s16, 8
	s_delay_alu instid0(SALU_CYCLE_1) | instskip(SKIP_4) | instid1(SALU_CYCLE_1)
	s_cmp_lg_u32 s15, s2
	s_cselect_b32 s4, -1, 0
	s_cmp_eq_u32 s15, s2
	s_cselect_b32 s3, -1, 0
	s_lshl_b32 s12, s15, 8
	s_sub_i32 s2, s16, s12
	s_delay_alu instid0(SALU_CYCLE_1) | instskip(NEXT) | instid1(VALU_DEP_1)
	v_cmp_gt_u32_e64 s2, s2, v0
	s_or_b32 s4, s4, s2
	s_delay_alu instid0(SALU_CYCLE_1)
	s_and_saveexec_b32 s5, s4
	s_cbranch_execz .LBB43_26
; %bb.1:
	s_load_b256 s[4:11], s[0:1], 0x0
	s_mov_b32 s13, 0
	v_lshlrev_b32_e32 v1, 3, v0
	v_add_nc_u32_e32 v5, s12, v0
	s_waitcnt lgkmcnt(0)
	s_add_u32 s0, s4, s12
	s_addc_u32 s1, s5, 0
	s_lshl_b64 s[18:19], s[12:13], 3
	s_delay_alu instid0(SALU_CYCLE_1) | instskip(SKIP_4) | instid1(SALU_CYCLE_1)
	s_add_u32 s8, s8, s18
	s_addc_u32 s9, s9, s19
	global_load_b64 v[1:2], v1, s[8:9]
	global_load_i8 v7, v0, s[0:1]
	s_lshr_b32 s0, s17, 8
	s_sub_i32 s1, 0, s0
	s_delay_alu instid0(SALU_CYCLE_1) | instskip(NEXT) | instid1(SALU_CYCLE_1)
	s_and_b32 s1, s15, s1
	s_and_b32 s0, s1, s0
	s_lshl_b32 s9, s1, 8
	s_sub_i32 s1, 0, s17
	s_cmp_eq_u32 s0, 0
	s_cselect_b32 s0, -1, 0
	s_delay_alu instid0(SALU_CYCLE_1) | instskip(SKIP_1) | instid1(SALU_CYCLE_1)
	s_and_b32 s8, s0, exec_lo
	s_cselect_b32 s1, s17, s1
	s_add_i32 s1, s1, s9
	s_delay_alu instid0(SALU_CYCLE_1)
	s_cmp_lt_u32 s1, s16
	s_cbranch_scc1 .LBB43_6
; %bb.2:
	s_and_b32 vcc_lo, exec_lo, s3
	s_cbranch_vccz .LBB43_7
; %bb.3:
	s_mov_b32 s8, 0
	s_mov_b32 s12, exec_lo
                                        ; implicit-def: $vgpr3_vgpr4
	v_cmpx_gt_u32_e64 s16, v5
	s_cbranch_execz .LBB43_5
; %bb.4:
	v_mov_b32_e32 v6, 0
	s_mov_b32 s13, exec_lo
	s_waitcnt vmcnt(0)
	global_store_b8 v5, v7, s[6:7]
	v_lshlrev_b64 v[3:4], 3, v[5:6]
	s_delay_alu instid0(VALU_DEP_1) | instskip(NEXT) | instid1(VALU_DEP_2)
	v_add_co_u32 v3, vcc_lo, s10, v3
	v_add_co_ci_u32_e32 v4, vcc_lo, s11, v4, vcc_lo
.LBB43_5:
	s_or_b32 exec_lo, exec_lo, s12
	s_delay_alu instid0(SALU_CYCLE_1)
	s_and_b32 vcc_lo, exec_lo, s8
	s_cbranch_vccnz .LBB43_8
	s_branch .LBB43_9
.LBB43_6:
                                        ; implicit-def: $vgpr3_vgpr4
	s_cbranch_execnz .LBB43_10
	s_branch .LBB43_24
.LBB43_7:
                                        ; implicit-def: $vgpr3_vgpr4
	s_cbranch_execz .LBB43_9
.LBB43_8:
	v_mov_b32_e32 v6, 0
	s_or_b32 s13, s13, exec_lo
	s_waitcnt vmcnt(0)
	global_store_b8 v5, v7, s[6:7]
	v_lshlrev_b64 v[3:4], 3, v[5:6]
	s_delay_alu instid0(VALU_DEP_1) | instskip(NEXT) | instid1(VALU_DEP_2)
	v_add_co_u32 v3, vcc_lo, s10, v3
	v_add_co_ci_u32_e32 v4, vcc_lo, s11, v4, vcc_lo
.LBB43_9:
	s_branch .LBB43_24
.LBB43_10:
	s_min_u32 s8, s1, s16
	s_and_b32 vcc_lo, exec_lo, s3
	s_add_i32 s12, s9, s8
	s_min_u32 s9, s9, s8
	v_subrev_nc_u32_e32 v0, s12, v5
	s_add_i32 s12, s8, s17
	s_delay_alu instid0(SALU_CYCLE_1) | instskip(NEXT) | instid1(VALU_DEP_1)
	s_min_u32 s3, s12, s16
	v_add_nc_u32_e32 v0, s9, v0
	s_cbranch_vccz .LBB43_18
; %bb.11:
                                        ; implicit-def: $vgpr3_vgpr4
	s_and_saveexec_b32 s9, s2
	s_cbranch_execz .LBB43_17
; %bb.12:
	v_mov_b32_e32 v3, s8
	s_cmp_ge_u32 s1, s3
	s_cbranch_scc1 .LBB43_16
; %bb.13:
	v_dual_mov_b32 v4, s3 :: v_dual_mov_b32 v3, s8
	s_mov_b32 s2, 0
	.p2align	6
.LBB43_14:                              ; =>This Inner Loop Header: Depth=1
	s_delay_alu instid0(VALU_DEP_1) | instskip(NEXT) | instid1(VALU_DEP_1)
	v_add_nc_u32_e32 v5, v3, v4
	v_lshrrev_b32_e32 v5, 1, v5
	global_load_i8 v6, v5, s[4:5]
	s_waitcnt vmcnt(0)
	v_cmp_gt_i16_e32 vcc_lo, v7, v6
	v_cndmask_b32_e64 v8, 0, 1, vcc_lo
	v_cmp_le_i16_e32 vcc_lo, v6, v7
	v_cndmask_b32_e64 v6, 0, 1, vcc_lo
	s_delay_alu instid0(VALU_DEP_1) | instskip(SKIP_1) | instid1(VALU_DEP_2)
	v_cndmask_b32_e64 v6, v6, v8, s0
	v_add_nc_u32_e32 v8, 1, v5
	v_and_b32_e32 v6, 1, v6
	s_delay_alu instid0(VALU_DEP_1) | instskip(NEXT) | instid1(VALU_DEP_3)
	v_cmp_eq_u32_e32 vcc_lo, 1, v6
	v_cndmask_b32_e32 v3, v3, v8, vcc_lo
	v_cndmask_b32_e32 v4, v5, v4, vcc_lo
	s_delay_alu instid0(VALU_DEP_1) | instskip(SKIP_1) | instid1(SALU_CYCLE_1)
	v_cmp_ge_u32_e32 vcc_lo, v3, v4
	s_or_b32 s2, vcc_lo, s2
	s_and_not1_b32 exec_lo, exec_lo, s2
	s_cbranch_execnz .LBB43_14
; %bb.15:
	s_or_b32 exec_lo, exec_lo, s2
.LBB43_16:
	s_delay_alu instid0(VALU_DEP_1) | instskip(SKIP_4) | instid1(VALU_DEP_1)
	v_dual_mov_b32 v6, 0 :: v_dual_add_nc_u32 v5, v3, v0
	s_or_b32 s13, s13, exec_lo
	s_waitcnt vmcnt(0)
	global_store_b8 v5, v7, s[6:7]
	v_lshlrev_b64 v[3:4], 3, v[5:6]
	v_add_co_u32 v3, vcc_lo, s10, v3
	s_delay_alu instid0(VALU_DEP_2)
	v_add_co_ci_u32_e32 v4, vcc_lo, s11, v4, vcc_lo
.LBB43_17:
	s_or_b32 exec_lo, exec_lo, s9
	s_branch .LBB43_24
.LBB43_18:
                                        ; implicit-def: $vgpr3_vgpr4
	s_cbranch_execz .LBB43_24
; %bb.19:
	v_mov_b32_e32 v3, s8
	s_cmp_ge_u32 s1, s3
	s_cbranch_scc1 .LBB43_23
; %bb.20:
	v_dual_mov_b32 v4, s3 :: v_dual_mov_b32 v3, s8
	s_mov_b32 s1, 0
	.p2align	6
.LBB43_21:                              ; =>This Inner Loop Header: Depth=1
	s_delay_alu instid0(VALU_DEP_1) | instskip(NEXT) | instid1(VALU_DEP_1)
	v_add_nc_u32_e32 v5, v3, v4
	v_lshrrev_b32_e32 v5, 1, v5
	global_load_i8 v6, v5, s[4:5]
	s_waitcnt vmcnt(0)
	v_cmp_gt_i16_e32 vcc_lo, v7, v6
	v_cndmask_b32_e64 v8, 0, 1, vcc_lo
	v_cmp_le_i16_e32 vcc_lo, v6, v7
	v_cndmask_b32_e64 v6, 0, 1, vcc_lo
	s_delay_alu instid0(VALU_DEP_1) | instskip(SKIP_1) | instid1(VALU_DEP_2)
	v_cndmask_b32_e64 v6, v6, v8, s0
	v_add_nc_u32_e32 v8, 1, v5
	v_and_b32_e32 v6, 1, v6
	s_delay_alu instid0(VALU_DEP_1) | instskip(NEXT) | instid1(VALU_DEP_3)
	v_cmp_eq_u32_e32 vcc_lo, 1, v6
	v_cndmask_b32_e32 v3, v3, v8, vcc_lo
	v_cndmask_b32_e32 v4, v5, v4, vcc_lo
	s_delay_alu instid0(VALU_DEP_1) | instskip(SKIP_1) | instid1(SALU_CYCLE_1)
	v_cmp_ge_u32_e32 vcc_lo, v3, v4
	s_or_b32 s1, vcc_lo, s1
	s_and_not1_b32 exec_lo, exec_lo, s1
	s_cbranch_execnz .LBB43_21
; %bb.22:
	s_or_b32 exec_lo, exec_lo, s1
.LBB43_23:
	s_delay_alu instid0(VALU_DEP_1) | instskip(SKIP_4) | instid1(VALU_DEP_1)
	v_dual_mov_b32 v6, 0 :: v_dual_add_nc_u32 v5, v3, v0
	s_mov_b32 s13, -1
	s_waitcnt vmcnt(0)
	global_store_b8 v5, v7, s[6:7]
	v_lshlrev_b64 v[3:4], 3, v[5:6]
	v_add_co_u32 v3, vcc_lo, s10, v3
	s_delay_alu instid0(VALU_DEP_2)
	v_add_co_ci_u32_e32 v4, vcc_lo, s11, v4, vcc_lo
.LBB43_24:
	s_and_b32 exec_lo, exec_lo, s13
	s_cbranch_execz .LBB43_26
; %bb.25:
	s_waitcnt vmcnt(1)
	global_store_b64 v[3:4], v[1:2], off
.LBB43_26:
	s_nop 0
	s_sendmsg sendmsg(MSG_DEALLOC_VGPRS)
	s_endpgm
	.section	.rodata,"a",@progbits
	.p2align	6, 0x0
	.amdhsa_kernel _ZN7rocprim17ROCPRIM_304000_NS6detail33device_block_merge_oddeven_kernelINS1_37wrapped_merge_sort_block_merge_configINS0_14default_configEaN2at4cuda3cub6detail10OpaqueTypeILi8EEEEEPaSC_PSA_SD_jNS1_19radix_merge_compareILb0ELb0EaNS0_19identity_decomposerEEEEEvT0_T1_T2_T3_T4_SL_T5_
		.amdhsa_group_segment_fixed_size 0
		.amdhsa_private_segment_fixed_size 0
		.amdhsa_kernarg_size 44
		.amdhsa_user_sgpr_count 15
		.amdhsa_user_sgpr_dispatch_ptr 0
		.amdhsa_user_sgpr_queue_ptr 0
		.amdhsa_user_sgpr_kernarg_segment_ptr 1
		.amdhsa_user_sgpr_dispatch_id 0
		.amdhsa_user_sgpr_private_segment_size 0
		.amdhsa_wavefront_size32 1
		.amdhsa_uses_dynamic_stack 0
		.amdhsa_enable_private_segment 0
		.amdhsa_system_sgpr_workgroup_id_x 1
		.amdhsa_system_sgpr_workgroup_id_y 0
		.amdhsa_system_sgpr_workgroup_id_z 0
		.amdhsa_system_sgpr_workgroup_info 0
		.amdhsa_system_vgpr_workitem_id 0
		.amdhsa_next_free_vgpr 9
		.amdhsa_next_free_sgpr 20
		.amdhsa_reserve_vcc 1
		.amdhsa_float_round_mode_32 0
		.amdhsa_float_round_mode_16_64 0
		.amdhsa_float_denorm_mode_32 3
		.amdhsa_float_denorm_mode_16_64 3
		.amdhsa_dx10_clamp 1
		.amdhsa_ieee_mode 1
		.amdhsa_fp16_overflow 0
		.amdhsa_workgroup_processor_mode 1
		.amdhsa_memory_ordered 1
		.amdhsa_forward_progress 0
		.amdhsa_shared_vgpr_count 0
		.amdhsa_exception_fp_ieee_invalid_op 0
		.amdhsa_exception_fp_denorm_src 0
		.amdhsa_exception_fp_ieee_div_zero 0
		.amdhsa_exception_fp_ieee_overflow 0
		.amdhsa_exception_fp_ieee_underflow 0
		.amdhsa_exception_fp_ieee_inexact 0
		.amdhsa_exception_int_div_zero 0
	.end_amdhsa_kernel
	.section	.text._ZN7rocprim17ROCPRIM_304000_NS6detail33device_block_merge_oddeven_kernelINS1_37wrapped_merge_sort_block_merge_configINS0_14default_configEaN2at4cuda3cub6detail10OpaqueTypeILi8EEEEEPaSC_PSA_SD_jNS1_19radix_merge_compareILb0ELb0EaNS0_19identity_decomposerEEEEEvT0_T1_T2_T3_T4_SL_T5_,"axG",@progbits,_ZN7rocprim17ROCPRIM_304000_NS6detail33device_block_merge_oddeven_kernelINS1_37wrapped_merge_sort_block_merge_configINS0_14default_configEaN2at4cuda3cub6detail10OpaqueTypeILi8EEEEEPaSC_PSA_SD_jNS1_19radix_merge_compareILb0ELb0EaNS0_19identity_decomposerEEEEEvT0_T1_T2_T3_T4_SL_T5_,comdat
.Lfunc_end43:
	.size	_ZN7rocprim17ROCPRIM_304000_NS6detail33device_block_merge_oddeven_kernelINS1_37wrapped_merge_sort_block_merge_configINS0_14default_configEaN2at4cuda3cub6detail10OpaqueTypeILi8EEEEEPaSC_PSA_SD_jNS1_19radix_merge_compareILb0ELb0EaNS0_19identity_decomposerEEEEEvT0_T1_T2_T3_T4_SL_T5_, .Lfunc_end43-_ZN7rocprim17ROCPRIM_304000_NS6detail33device_block_merge_oddeven_kernelINS1_37wrapped_merge_sort_block_merge_configINS0_14default_configEaN2at4cuda3cub6detail10OpaqueTypeILi8EEEEEPaSC_PSA_SD_jNS1_19radix_merge_compareILb0ELb0EaNS0_19identity_decomposerEEEEEvT0_T1_T2_T3_T4_SL_T5_
                                        ; -- End function
	.section	.AMDGPU.csdata,"",@progbits
; Kernel info:
; codeLenInByte = 812
; NumSgprs: 22
; NumVgprs: 9
; ScratchSize: 0
; MemoryBound: 0
; FloatMode: 240
; IeeeMode: 1
; LDSByteSize: 0 bytes/workgroup (compile time only)
; SGPRBlocks: 2
; VGPRBlocks: 1
; NumSGPRsForWavesPerEU: 22
; NumVGPRsForWavesPerEU: 9
; Occupancy: 16
; WaveLimiterHint : 0
; COMPUTE_PGM_RSRC2:SCRATCH_EN: 0
; COMPUTE_PGM_RSRC2:USER_SGPR: 15
; COMPUTE_PGM_RSRC2:TRAP_HANDLER: 0
; COMPUTE_PGM_RSRC2:TGID_X_EN: 1
; COMPUTE_PGM_RSRC2:TGID_Y_EN: 0
; COMPUTE_PGM_RSRC2:TGID_Z_EN: 0
; COMPUTE_PGM_RSRC2:TIDIG_COMP_CNT: 0
	.section	.text._ZN7rocprim17ROCPRIM_304000_NS6detail45device_block_merge_mergepath_partition_kernelINS1_37wrapped_merge_sort_block_merge_configINS0_14default_configEaN2at4cuda3cub6detail10OpaqueTypeILi8EEEEEPajNS1_19radix_merge_compareILb0ELb1EaNS0_19identity_decomposerEEEEEvT0_T1_jPSH_T2_SH_,"axG",@progbits,_ZN7rocprim17ROCPRIM_304000_NS6detail45device_block_merge_mergepath_partition_kernelINS1_37wrapped_merge_sort_block_merge_configINS0_14default_configEaN2at4cuda3cub6detail10OpaqueTypeILi8EEEEEPajNS1_19radix_merge_compareILb0ELb1EaNS0_19identity_decomposerEEEEEvT0_T1_jPSH_T2_SH_,comdat
	.protected	_ZN7rocprim17ROCPRIM_304000_NS6detail45device_block_merge_mergepath_partition_kernelINS1_37wrapped_merge_sort_block_merge_configINS0_14default_configEaN2at4cuda3cub6detail10OpaqueTypeILi8EEEEEPajNS1_19radix_merge_compareILb0ELb1EaNS0_19identity_decomposerEEEEEvT0_T1_jPSH_T2_SH_ ; -- Begin function _ZN7rocprim17ROCPRIM_304000_NS6detail45device_block_merge_mergepath_partition_kernelINS1_37wrapped_merge_sort_block_merge_configINS0_14default_configEaN2at4cuda3cub6detail10OpaqueTypeILi8EEEEEPajNS1_19radix_merge_compareILb0ELb1EaNS0_19identity_decomposerEEEEEvT0_T1_jPSH_T2_SH_
	.globl	_ZN7rocprim17ROCPRIM_304000_NS6detail45device_block_merge_mergepath_partition_kernelINS1_37wrapped_merge_sort_block_merge_configINS0_14default_configEaN2at4cuda3cub6detail10OpaqueTypeILi8EEEEEPajNS1_19radix_merge_compareILb0ELb1EaNS0_19identity_decomposerEEEEEvT0_T1_jPSH_T2_SH_
	.p2align	8
	.type	_ZN7rocprim17ROCPRIM_304000_NS6detail45device_block_merge_mergepath_partition_kernelINS1_37wrapped_merge_sort_block_merge_configINS0_14default_configEaN2at4cuda3cub6detail10OpaqueTypeILi8EEEEEPajNS1_19radix_merge_compareILb0ELb1EaNS0_19identity_decomposerEEEEEvT0_T1_jPSH_T2_SH_,@function
_ZN7rocprim17ROCPRIM_304000_NS6detail45device_block_merge_mergepath_partition_kernelINS1_37wrapped_merge_sort_block_merge_configINS0_14default_configEaN2at4cuda3cub6detail10OpaqueTypeILi8EEEEEPajNS1_19radix_merge_compareILb0ELb1EaNS0_19identity_decomposerEEEEEvT0_T1_jPSH_T2_SH_: ; @_ZN7rocprim17ROCPRIM_304000_NS6detail45device_block_merge_mergepath_partition_kernelINS1_37wrapped_merge_sort_block_merge_configINS0_14default_configEaN2at4cuda3cub6detail10OpaqueTypeILi8EEEEEPajNS1_19radix_merge_compareILb0ELb1EaNS0_19identity_decomposerEEEEEvT0_T1_jPSH_T2_SH_
; %bb.0:
	s_load_b64 s[4:5], s[0:1], 0x8
	v_lshl_or_b32 v0, s15, 7, v0
	s_mov_b32 s2, exec_lo
	s_waitcnt lgkmcnt(0)
	s_delay_alu instid0(VALU_DEP_1)
	v_cmpx_gt_u32_e64 s5, v0
	s_cbranch_execz .LBB44_6
; %bb.1:
	s_load_b64 s[2:3], s[0:1], 0x18
	s_waitcnt lgkmcnt(0)
	s_lshr_b32 s5, s3, 9
	s_delay_alu instid0(SALU_CYCLE_1) | instskip(NEXT) | instid1(SALU_CYCLE_1)
	s_and_b32 s5, s5, 0x7ffffe
	s_sub_i32 s6, 0, s5
	s_add_i32 s5, s5, -1
	v_and_b32_e32 v1, s6, v0
	v_and_b32_e32 v4, s5, v0
	s_delay_alu instid0(VALU_DEP_2) | instskip(NEXT) | instid1(VALU_DEP_1)
	v_lshlrev_b32_e32 v1, 10, v1
	v_add_nc_u32_e32 v2, s3, v1
	s_delay_alu instid0(VALU_DEP_1) | instskip(SKIP_1) | instid1(VALU_DEP_2)
	v_min_u32_e32 v7, s4, v2
	v_min_u32_e32 v2, s4, v1
	v_add_nc_u32_e32 v3, s3, v7
	s_mov_b32 s3, exec_lo
	s_delay_alu instid0(VALU_DEP_1) | instskip(SKIP_1) | instid1(VALU_DEP_2)
	v_min_u32_e32 v1, s4, v3
	v_lshlrev_b32_e32 v3, 10, v4
	v_sub_nc_u32_e32 v4, v1, v2
	v_sub_nc_u32_e32 v5, v1, v7
	s_delay_alu instid0(VALU_DEP_2) | instskip(SKIP_1) | instid1(VALU_DEP_2)
	v_min_u32_e32 v1, v4, v3
	v_sub_nc_u32_e32 v4, v7, v2
	v_sub_nc_u32_e64 v3, v1, v5 clamp
	s_delay_alu instid0(VALU_DEP_2) | instskip(NEXT) | instid1(VALU_DEP_1)
	v_min_u32_e32 v4, v1, v4
	v_cmpx_lt_u32_e64 v3, v4
	s_cbranch_execz .LBB44_5
; %bb.2:
	s_load_b64 s[4:5], s[0:1], 0x0
	s_waitcnt lgkmcnt(0)
	v_add_co_u32 v5, s6, s4, v2
	v_add_co_u32 v7, s4, s4, v7
	v_add_co_ci_u32_e64 v6, null, s5, 0, s6
	v_add_co_ci_u32_e64 v8, null, s5, 0, s4
	s_mov_b32 s4, 0
	.p2align	6
.LBB44_3:                               ; =>This Inner Loop Header: Depth=1
	v_add_nc_u32_e32 v9, v4, v3
	s_delay_alu instid0(VALU_DEP_1) | instskip(NEXT) | instid1(VALU_DEP_1)
	v_lshrrev_b32_e32 v13, 1, v9
	v_xad_u32 v11, v13, -1, v1
	v_add_co_u32 v9, vcc_lo, v5, v13
	v_add_co_ci_u32_e32 v10, vcc_lo, 0, v6, vcc_lo
	s_delay_alu instid0(VALU_DEP_3)
	v_add_co_u32 v11, vcc_lo, v7, v11
	v_add_co_ci_u32_e32 v12, vcc_lo, 0, v8, vcc_lo
	s_clause 0x1
	global_load_u8 v9, v[9:10], off
	global_load_u8 v10, v[11:12], off
	v_add_nc_u32_e32 v11, 1, v13
	s_waitcnt vmcnt(1)
	v_and_b32_e32 v9, s2, v9
	s_waitcnt vmcnt(0)
	v_and_b32_e32 v10, s2, v10
	s_delay_alu instid0(VALU_DEP_2) | instskip(NEXT) | instid1(VALU_DEP_2)
	v_bfe_i32 v9, v9, 0, 8
	v_bfe_i32 v10, v10, 0, 8
	s_delay_alu instid0(VALU_DEP_1) | instskip(SKIP_1) | instid1(VALU_DEP_1)
	v_cmp_gt_i16_e32 vcc_lo, v9, v10
	v_dual_cndmask_b32 v3, v11, v3 :: v_dual_cndmask_b32 v4, v4, v13
	v_cmp_ge_u32_e32 vcc_lo, v3, v4
	s_or_b32 s4, vcc_lo, s4
	s_delay_alu instid0(SALU_CYCLE_1)
	s_and_not1_b32 exec_lo, exec_lo, s4
	s_cbranch_execnz .LBB44_3
; %bb.4:
	s_or_b32 exec_lo, exec_lo, s4
.LBB44_5:
	s_delay_alu instid0(SALU_CYCLE_1) | instskip(SKIP_2) | instid1(VALU_DEP_1)
	s_or_b32 exec_lo, exec_lo, s3
	s_load_b64 s[0:1], s[0:1], 0x10
	v_dual_mov_b32 v1, 0 :: v_dual_add_nc_u32 v2, v3, v2
	v_lshlrev_b64 v[0:1], 2, v[0:1]
	s_waitcnt lgkmcnt(0)
	s_delay_alu instid0(VALU_DEP_1) | instskip(NEXT) | instid1(VALU_DEP_2)
	v_add_co_u32 v0, vcc_lo, s0, v0
	v_add_co_ci_u32_e32 v1, vcc_lo, s1, v1, vcc_lo
	global_store_b32 v[0:1], v2, off
.LBB44_6:
	s_nop 0
	s_sendmsg sendmsg(MSG_DEALLOC_VGPRS)
	s_endpgm
	.section	.rodata,"a",@progbits
	.p2align	6, 0x0
	.amdhsa_kernel _ZN7rocprim17ROCPRIM_304000_NS6detail45device_block_merge_mergepath_partition_kernelINS1_37wrapped_merge_sort_block_merge_configINS0_14default_configEaN2at4cuda3cub6detail10OpaqueTypeILi8EEEEEPajNS1_19radix_merge_compareILb0ELb1EaNS0_19identity_decomposerEEEEEvT0_T1_jPSH_T2_SH_
		.amdhsa_group_segment_fixed_size 0
		.amdhsa_private_segment_fixed_size 0
		.amdhsa_kernarg_size 32
		.amdhsa_user_sgpr_count 15
		.amdhsa_user_sgpr_dispatch_ptr 0
		.amdhsa_user_sgpr_queue_ptr 0
		.amdhsa_user_sgpr_kernarg_segment_ptr 1
		.amdhsa_user_sgpr_dispatch_id 0
		.amdhsa_user_sgpr_private_segment_size 0
		.amdhsa_wavefront_size32 1
		.amdhsa_uses_dynamic_stack 0
		.amdhsa_enable_private_segment 0
		.amdhsa_system_sgpr_workgroup_id_x 1
		.amdhsa_system_sgpr_workgroup_id_y 0
		.amdhsa_system_sgpr_workgroup_id_z 0
		.amdhsa_system_sgpr_workgroup_info 0
		.amdhsa_system_vgpr_workitem_id 0
		.amdhsa_next_free_vgpr 14
		.amdhsa_next_free_sgpr 16
		.amdhsa_reserve_vcc 1
		.amdhsa_float_round_mode_32 0
		.amdhsa_float_round_mode_16_64 0
		.amdhsa_float_denorm_mode_32 3
		.amdhsa_float_denorm_mode_16_64 3
		.amdhsa_dx10_clamp 1
		.amdhsa_ieee_mode 1
		.amdhsa_fp16_overflow 0
		.amdhsa_workgroup_processor_mode 1
		.amdhsa_memory_ordered 1
		.amdhsa_forward_progress 0
		.amdhsa_shared_vgpr_count 0
		.amdhsa_exception_fp_ieee_invalid_op 0
		.amdhsa_exception_fp_denorm_src 0
		.amdhsa_exception_fp_ieee_div_zero 0
		.amdhsa_exception_fp_ieee_overflow 0
		.amdhsa_exception_fp_ieee_underflow 0
		.amdhsa_exception_fp_ieee_inexact 0
		.amdhsa_exception_int_div_zero 0
	.end_amdhsa_kernel
	.section	.text._ZN7rocprim17ROCPRIM_304000_NS6detail45device_block_merge_mergepath_partition_kernelINS1_37wrapped_merge_sort_block_merge_configINS0_14default_configEaN2at4cuda3cub6detail10OpaqueTypeILi8EEEEEPajNS1_19radix_merge_compareILb0ELb1EaNS0_19identity_decomposerEEEEEvT0_T1_jPSH_T2_SH_,"axG",@progbits,_ZN7rocprim17ROCPRIM_304000_NS6detail45device_block_merge_mergepath_partition_kernelINS1_37wrapped_merge_sort_block_merge_configINS0_14default_configEaN2at4cuda3cub6detail10OpaqueTypeILi8EEEEEPajNS1_19radix_merge_compareILb0ELb1EaNS0_19identity_decomposerEEEEEvT0_T1_jPSH_T2_SH_,comdat
.Lfunc_end44:
	.size	_ZN7rocprim17ROCPRIM_304000_NS6detail45device_block_merge_mergepath_partition_kernelINS1_37wrapped_merge_sort_block_merge_configINS0_14default_configEaN2at4cuda3cub6detail10OpaqueTypeILi8EEEEEPajNS1_19radix_merge_compareILb0ELb1EaNS0_19identity_decomposerEEEEEvT0_T1_jPSH_T2_SH_, .Lfunc_end44-_ZN7rocprim17ROCPRIM_304000_NS6detail45device_block_merge_mergepath_partition_kernelINS1_37wrapped_merge_sort_block_merge_configINS0_14default_configEaN2at4cuda3cub6detail10OpaqueTypeILi8EEEEEPajNS1_19radix_merge_compareILb0ELb1EaNS0_19identity_decomposerEEEEEvT0_T1_jPSH_T2_SH_
                                        ; -- End function
	.section	.AMDGPU.csdata,"",@progbits
; Kernel info:
; codeLenInByte = 444
; NumSgprs: 18
; NumVgprs: 14
; ScratchSize: 0
; MemoryBound: 0
; FloatMode: 240
; IeeeMode: 1
; LDSByteSize: 0 bytes/workgroup (compile time only)
; SGPRBlocks: 2
; VGPRBlocks: 1
; NumSGPRsForWavesPerEU: 18
; NumVGPRsForWavesPerEU: 14
; Occupancy: 16
; WaveLimiterHint : 0
; COMPUTE_PGM_RSRC2:SCRATCH_EN: 0
; COMPUTE_PGM_RSRC2:USER_SGPR: 15
; COMPUTE_PGM_RSRC2:TRAP_HANDLER: 0
; COMPUTE_PGM_RSRC2:TGID_X_EN: 1
; COMPUTE_PGM_RSRC2:TGID_Y_EN: 0
; COMPUTE_PGM_RSRC2:TGID_Z_EN: 0
; COMPUTE_PGM_RSRC2:TIDIG_COMP_CNT: 0
	.section	.text._ZN7rocprim17ROCPRIM_304000_NS6detail35device_block_merge_mergepath_kernelINS1_37wrapped_merge_sort_block_merge_configINS0_14default_configEaN2at4cuda3cub6detail10OpaqueTypeILi8EEEEEPaSC_PSA_SD_jNS1_19radix_merge_compareILb0ELb1EaNS0_19identity_decomposerEEEEEvT0_T1_T2_T3_T4_SL_jT5_PKSL_NS1_7vsmem_tE,"axG",@progbits,_ZN7rocprim17ROCPRIM_304000_NS6detail35device_block_merge_mergepath_kernelINS1_37wrapped_merge_sort_block_merge_configINS0_14default_configEaN2at4cuda3cub6detail10OpaqueTypeILi8EEEEEPaSC_PSA_SD_jNS1_19radix_merge_compareILb0ELb1EaNS0_19identity_decomposerEEEEEvT0_T1_T2_T3_T4_SL_jT5_PKSL_NS1_7vsmem_tE,comdat
	.protected	_ZN7rocprim17ROCPRIM_304000_NS6detail35device_block_merge_mergepath_kernelINS1_37wrapped_merge_sort_block_merge_configINS0_14default_configEaN2at4cuda3cub6detail10OpaqueTypeILi8EEEEEPaSC_PSA_SD_jNS1_19radix_merge_compareILb0ELb1EaNS0_19identity_decomposerEEEEEvT0_T1_T2_T3_T4_SL_jT5_PKSL_NS1_7vsmem_tE ; -- Begin function _ZN7rocprim17ROCPRIM_304000_NS6detail35device_block_merge_mergepath_kernelINS1_37wrapped_merge_sort_block_merge_configINS0_14default_configEaN2at4cuda3cub6detail10OpaqueTypeILi8EEEEEPaSC_PSA_SD_jNS1_19radix_merge_compareILb0ELb1EaNS0_19identity_decomposerEEEEEvT0_T1_T2_T3_T4_SL_jT5_PKSL_NS1_7vsmem_tE
	.globl	_ZN7rocprim17ROCPRIM_304000_NS6detail35device_block_merge_mergepath_kernelINS1_37wrapped_merge_sort_block_merge_configINS0_14default_configEaN2at4cuda3cub6detail10OpaqueTypeILi8EEEEEPaSC_PSA_SD_jNS1_19radix_merge_compareILb0ELb1EaNS0_19identity_decomposerEEEEEvT0_T1_T2_T3_T4_SL_jT5_PKSL_NS1_7vsmem_tE
	.p2align	8
	.type	_ZN7rocprim17ROCPRIM_304000_NS6detail35device_block_merge_mergepath_kernelINS1_37wrapped_merge_sort_block_merge_configINS0_14default_configEaN2at4cuda3cub6detail10OpaqueTypeILi8EEEEEPaSC_PSA_SD_jNS1_19radix_merge_compareILb0ELb1EaNS0_19identity_decomposerEEEEEvT0_T1_T2_T3_T4_SL_jT5_PKSL_NS1_7vsmem_tE,@function
_ZN7rocprim17ROCPRIM_304000_NS6detail35device_block_merge_mergepath_kernelINS1_37wrapped_merge_sort_block_merge_configINS0_14default_configEaN2at4cuda3cub6detail10OpaqueTypeILi8EEEEEPaSC_PSA_SD_jNS1_19radix_merge_compareILb0ELb1EaNS0_19identity_decomposerEEEEEvT0_T1_T2_T3_T4_SL_jT5_PKSL_NS1_7vsmem_tE: ; @_ZN7rocprim17ROCPRIM_304000_NS6detail35device_block_merge_mergepath_kernelINS1_37wrapped_merge_sort_block_merge_configINS0_14default_configEaN2at4cuda3cub6detail10OpaqueTypeILi8EEEEEPaSC_PSA_SD_jNS1_19radix_merge_compareILb0ELb1EaNS0_19identity_decomposerEEEEEvT0_T1_T2_T3_T4_SL_jT5_PKSL_NS1_7vsmem_tE
; %bb.0:
	s_clause 0x1
	s_load_b64 s[22:23], s[0:1], 0x40
	s_load_b128 s[16:19], s[0:1], 0x20
	s_add_u32 s20, s0, 64
	s_addc_u32 s21, s1, 0
	s_waitcnt lgkmcnt(0)
	s_mul_i32 s2, s23, s15
	s_delay_alu instid0(SALU_CYCLE_1) | instskip(NEXT) | instid1(SALU_CYCLE_1)
	s_add_i32 s2, s2, s14
	s_mul_i32 s2, s2, s22
	s_delay_alu instid0(SALU_CYCLE_1) | instskip(NEXT) | instid1(SALU_CYCLE_1)
	s_add_i32 s2, s2, s13
	s_cmp_ge_u32 s2, s18
	s_cbranch_scc1 .LBB45_53
; %bb.1:
	v_mov_b32_e32 v1, 0
	s_load_b64 s[4:5], s[0:1], 0x30
	s_lshr_b32 s26, s16, 10
	s_mov_b32 s15, 0
	s_cmp_lg_u32 s2, s26
	global_load_b32 v2, v1, s[20:21] offset:14
	s_mov_b32 s3, s15
	s_cselect_b32 s18, -1, 0
	s_lshl_b64 s[6:7], s[2:3], 2
	s_waitcnt lgkmcnt(0)
	s_add_u32 s4, s4, s6
	s_addc_u32 s5, s5, s7
	s_lshr_b32 s3, s17, 9
	s_load_b64 s[24:25], s[4:5], 0x0
	s_and_b32 s3, s3, 0x7ffffe
	s_load_b256 s[4:11], s[0:1], 0x0
	s_sub_i32 s0, 0, s3
	s_lshl_b32 s3, s2, 10
	s_and_b32 s1, s2, s0
	s_or_b32 s0, s2, s0
	s_lshl_b32 s12, s1, 11
	s_lshl_b32 s1, s1, 10
	s_add_i32 s12, s12, s17
	s_sub_i32 s14, s3, s1
	s_sub_i32 s1, s12, s1
	s_add_i32 s12, s12, s14
	s_min_u32 s14, s16, s1
	s_add_i32 s1, s1, s17
	s_waitcnt lgkmcnt(0)
	s_sub_i32 s17, s12, s24
	s_sub_i32 s23, s12, s25
	s_min_u32 s12, s16, s17
	s_addk_i32 s23, 0x400
	s_cmp_eq_u32 s0, -1
	s_cselect_b32 s0, s1, s23
	s_cselect_b32 s1, s14, s25
	s_min_u32 s0, s0, s16
	s_sub_i32 s17, s1, s24
	s_sub_i32 s23, s0, s12
	s_add_u32 s1, s4, s24
	s_mov_b32 s14, s24
	s_addc_u32 s24, s5, 0
	s_add_u32 s25, s4, s12
	s_addc_u32 s5, s5, 0
	s_cmp_lt_u32 s13, s22
	v_cmp_gt_u32_e32 vcc_lo, s17, v0
	s_cselect_b32 s0, 12, 18
	s_mov_b32 s13, s15
	s_add_u32 s20, s20, s0
	s_addc_u32 s21, s21, 0
	s_mov_b32 s0, -1
	s_cmp_eq_u32 s2, s26
	s_waitcnt vmcnt(0)
	v_lshrrev_b32_e32 v3, 16, v2
	v_and_b32_e32 v2, 0xffff, v2
	global_load_u16 v1, v1, s[20:21]
	v_mul_lo_u32 v2, v2, v3
	s_waitcnt vmcnt(0)
	s_delay_alu instid0(VALU_DEP_1) | instskip(NEXT) | instid1(VALU_DEP_1)
	v_mul_lo_u32 v1, v2, v1
	v_add_nc_u32_e32 v1, v1, v0
	s_cbranch_scc1 .LBB45_3
; %bb.2:
	v_subrev_nc_u32_e32 v2, s17, v0
	v_add_co_u32 v4, s0, s1, v0
	s_delay_alu instid0(VALU_DEP_3) | instskip(SKIP_1) | instid1(VALU_DEP_4)
	v_subrev_nc_u32_e32 v6, s17, v1
	v_add_co_ci_u32_e64 v3, null, s24, 0, s0
	v_add_co_u32 v2, s0, s25, v2
	s_delay_alu instid0(VALU_DEP_1) | instskip(SKIP_1) | instid1(VALU_DEP_1)
	v_add_co_ci_u32_e64 v5, null, s5, 0, s0
	v_add_co_u32 v8, s0, s1, v1
	v_add_co_ci_u32_e64 v7, null, s24, 0, s0
	v_add_co_u32 v6, s0, s25, v6
	s_delay_alu instid0(VALU_DEP_1) | instskip(SKIP_3) | instid1(VALU_DEP_2)
	v_add_co_ci_u32_e64 v9, null, s5, 0, s0
	v_cmp_gt_u32_e64 s0, s17, v1
	v_dual_cndmask_b32 v3, v5, v3 :: v_dual_cndmask_b32 v2, v2, v4
	s_add_i32 s4, s23, s17
	v_cndmask_b32_e64 v7, v9, v7, s0
	v_cndmask_b32_e64 v6, v6, v8, s0
	global_load_u8 v5, v[2:3], off
	global_load_u8 v7, v[6:7], off
	s_mov_b32 s0, s15
	s_delay_alu instid0(SALU_CYCLE_1)
	s_and_not1_b32 vcc_lo, exec_lo, s0
	s_cbranch_vccz .LBB45_4
	s_branch .LBB45_9
.LBB45_3:
                                        ; implicit-def: $vgpr5
                                        ; implicit-def: $vgpr7
                                        ; implicit-def: $sgpr4
	s_and_not1_b32 vcc_lo, exec_lo, s0
	s_cbranch_vccnz .LBB45_9
.LBB45_4:
	s_add_i32 s4, s23, s17
	s_mov_b32 s0, exec_lo
                                        ; implicit-def: $vgpr5
	v_cmpx_gt_u32_e64 s4, v0
	s_cbranch_execz .LBB45_6
; %bb.5:
	v_subrev_nc_u32_e32 v2, s17, v0
	v_add_co_u32 v4, s2, s1, v0
	s_delay_alu instid0(VALU_DEP_1) | instskip(NEXT) | instid1(VALU_DEP_3)
	v_add_co_ci_u32_e64 v3, null, s24, 0, s2
	v_add_co_u32 v2, s2, s25, v2
	s_waitcnt vmcnt(1)
	v_add_co_ci_u32_e64 v5, null, s5, 0, s2
	v_cmp_gt_u32_e32 vcc_lo, s17, v0
	s_delay_alu instid0(VALU_DEP_2)
	v_dual_cndmask_b32 v3, v5, v3 :: v_dual_cndmask_b32 v2, v2, v4
	global_load_u8 v5, v[2:3], off
.LBB45_6:
	s_or_b32 exec_lo, exec_lo, s0
	s_delay_alu instid0(SALU_CYCLE_1)
	s_mov_b32 s0, exec_lo
                                        ; implicit-def: $vgpr7
	v_cmpx_gt_u32_e64 s4, v1
	s_cbranch_execz .LBB45_8
; %bb.7:
	v_subrev_nc_u32_e32 v2, s17, v1
	v_add_co_u32 v3, s1, s1, v1
	s_delay_alu instid0(VALU_DEP_1) | instskip(NEXT) | instid1(VALU_DEP_3)
	v_add_co_ci_u32_e64 v4, null, s24, 0, s1
	v_add_co_u32 v6, s1, s25, v2
	s_delay_alu instid0(VALU_DEP_1) | instskip(SKIP_1) | instid1(VALU_DEP_3)
	v_add_co_ci_u32_e64 v2, null, s5, 0, s1
	v_cmp_gt_u32_e32 vcc_lo, s17, v1
	v_cndmask_b32_e32 v1, v6, v3, vcc_lo
	s_delay_alu instid0(VALU_DEP_3)
	v_cndmask_b32_e32 v2, v2, v4, vcc_lo
	global_load_u8 v7, v[1:2], off
.LBB45_8:
	s_or_b32 exec_lo, exec_lo, s0
.LBB45_9:
	v_lshlrev_b32_e32 v6, 1, v0
	s_mov_b32 s0, exec_lo
	s_waitcnt vmcnt(0)
	ds_store_b8 v0, v5
	ds_store_b8 v0, v7 offset:512
	s_waitcnt lgkmcnt(0)
	s_barrier
	v_min_u32_e32 v2, s4, v6
	buffer_gl0_inv
	v_sub_nc_u32_e64 v1, v2, s23 clamp
	v_min_u32_e32 v3, s17, v2
	s_delay_alu instid0(VALU_DEP_1)
	v_cmpx_lt_u32_e64 v1, v3
	s_cbranch_execz .LBB45_13
; %bb.10:
	v_add_nc_u32_e32 v4, s17, v2
	s_mov_b32 s1, 0
	.p2align	6
.LBB45_11:                              ; =>This Inner Loop Header: Depth=1
	v_add_nc_u32_e32 v8, v3, v1
	s_delay_alu instid0(VALU_DEP_1) | instskip(NEXT) | instid1(VALU_DEP_1)
	v_lshrrev_b32_e32 v8, 1, v8
	v_xad_u32 v9, v8, -1, v4
	v_add_nc_u32_e32 v11, 1, v8
	ds_load_u8 v10, v8
	ds_load_u8 v9, v9
	s_waitcnt lgkmcnt(1)
	v_and_b32_e32 v10, s19, v10
	s_waitcnt lgkmcnt(0)
	v_and_b32_e32 v9, s19, v9
	s_delay_alu instid0(VALU_DEP_2) | instskip(NEXT) | instid1(VALU_DEP_2)
	v_bfe_i32 v10, v10, 0, 8
	v_bfe_i32 v9, v9, 0, 8
	s_delay_alu instid0(VALU_DEP_1) | instskip(SKIP_2) | instid1(VALU_DEP_1)
	v_cmp_gt_i16_e32 vcc_lo, v10, v9
	v_cndmask_b32_e32 v3, v3, v8, vcc_lo
	v_cndmask_b32_e32 v1, v11, v1, vcc_lo
	v_cmp_ge_u32_e32 vcc_lo, v1, v3
	s_or_b32 s1, vcc_lo, s1
	s_delay_alu instid0(SALU_CYCLE_1)
	s_and_not1_b32 exec_lo, exec_lo, s1
	s_cbranch_execnz .LBB45_11
; %bb.12:
	s_or_b32 exec_lo, exec_lo, s1
.LBB45_13:
	s_delay_alu instid0(SALU_CYCLE_1) | instskip(SKIP_2) | instid1(VALU_DEP_2)
	s_or_b32 exec_lo, exec_lo, s0
	v_sub_nc_u32_e32 v2, v2, v1
	v_cmp_ge_u32_e32 vcc_lo, s17, v1
                                        ; implicit-def: $vgpr9
                                        ; implicit-def: $vgpr10
	v_add_nc_u32_e32 v2, s17, v2
	s_delay_alu instid0(VALU_DEP_1) | instskip(NEXT) | instid1(VALU_DEP_1)
	v_cmp_ge_u32_e64 s0, s4, v2
	s_or_b32 s0, vcc_lo, s0
	s_delay_alu instid0(SALU_CYCLE_1)
	s_and_saveexec_b32 s5, s0
	s_cbranch_execz .LBB45_19
; %bb.14:
	v_cmp_gt_u32_e32 vcc_lo, s17, v1
                                        ; implicit-def: $vgpr3
	s_and_saveexec_b32 s0, vcc_lo
	s_cbranch_execz .LBB45_16
; %bb.15:
	ds_load_u8 v3, v1
.LBB45_16:
	s_or_b32 exec_lo, exec_lo, s0
	v_cmp_le_u32_e64 s0, s4, v2
	s_mov_b32 s2, exec_lo
                                        ; implicit-def: $vgpr4
	v_cmpx_gt_u32_e64 s4, v2
	s_cbranch_execz .LBB45_18
; %bb.17:
	ds_load_u8 v4, v2
.LBB45_18:
	s_or_b32 exec_lo, exec_lo, s2
	s_waitcnt lgkmcnt(0)
	v_and_b32_e32 v5, s19, v4
	v_and_b32_e32 v7, s19, v3
	s_delay_alu instid0(VALU_DEP_2) | instskip(NEXT) | instid1(VALU_DEP_2)
	v_bfe_i32 v5, v5, 0, 8
	v_bfe_i32 v7, v7, 0, 8
	s_delay_alu instid0(VALU_DEP_1) | instskip(NEXT) | instid1(VALU_DEP_1)
	v_cmp_le_i16_e64 s1, v7, v5
	s_and_b32 s1, vcc_lo, s1
	s_delay_alu instid0(SALU_CYCLE_1) | instskip(SKIP_1) | instid1(VALU_DEP_1)
	s_or_b32 vcc_lo, s0, s1
	v_cndmask_b32_e32 v10, v2, v1, vcc_lo
	v_add_nc_u32_e32 v7, 1, v10
	s_delay_alu instid0(VALU_DEP_1) | instskip(NEXT) | instid1(VALU_DEP_1)
	v_dual_mov_b32 v5, s17 :: v_dual_cndmask_b32 v2, v7, v2
	v_cndmask_b32_e32 v5, s4, v5, vcc_lo
	v_cndmask_b32_e32 v1, v1, v7, vcc_lo
	s_delay_alu instid0(VALU_DEP_3) | instskip(NEXT) | instid1(VALU_DEP_3)
	v_cmp_le_u32_e64 s2, s4, v2
	v_add_nc_u32_e32 v5, -1, v5
	s_delay_alu instid0(VALU_DEP_3) | instskip(NEXT) | instid1(VALU_DEP_2)
	v_cmp_gt_u32_e64 s0, s17, v1
	v_min_u32_e32 v5, v7, v5
	ds_load_u8 v5, v5
	s_waitcnt lgkmcnt(0)
	v_dual_cndmask_b32 v8, v5, v4 :: v_dual_cndmask_b32 v11, v3, v5
	s_delay_alu instid0(VALU_DEP_1) | instskip(NEXT) | instid1(VALU_DEP_2)
	v_and_b32_e32 v5, s19, v8
	v_and_b32_e32 v9, s19, v11
	s_delay_alu instid0(VALU_DEP_2) | instskip(NEXT) | instid1(VALU_DEP_2)
	v_bfe_i32 v5, v5, 0, 8
	v_bfe_i32 v9, v9, 0, 8
	s_delay_alu instid0(VALU_DEP_1) | instskip(SKIP_1) | instid1(VALU_DEP_2)
	v_cmp_le_i16_e64 s1, v9, v5
	v_cndmask_b32_e32 v5, v4, v3, vcc_lo
	s_and_b32 s0, s0, s1
	s_delay_alu instid0(SALU_CYCLE_1)
	s_or_b32 vcc_lo, s2, s0
	v_cndmask_b32_e32 v9, v2, v1, vcc_lo
	v_cndmask_b32_e32 v7, v8, v11, vcc_lo
.LBB45_19:
	s_or_b32 exec_lo, exec_lo, s5
	s_lshl_b64 s[0:1], s[14:15], 3
	v_or_b32_e32 v8, 0x200, v0
	s_add_u32 s2, s8, s0
	s_addc_u32 s5, s9, s1
	s_lshl_b64 s[12:13], s[12:13], 3
	v_cmp_gt_u32_e64 s1, s17, v0
	v_cmp_le_u32_e64 s0, s17, v0
	s_add_u32 s8, s8, s12
	s_mov_b32 s14, 0
	s_addc_u32 s9, s9, s13
	s_and_not1_b32 vcc_lo, exec_lo, s18
	s_barrier
	buffer_gl0_inv
	s_cbranch_vccnz .LBB45_21
; %bb.20:
	v_subrev_nc_u32_e32 v1, s17, v0
	v_dual_mov_b32 v2, 0 :: v_dual_lshlrev_b32 v13, 3, v0
	s_mov_b32 s14, -1
	s_delay_alu instid0(VALU_DEP_1) | instskip(NEXT) | instid1(VALU_DEP_2)
	v_lshlrev_b64 v[3:4], 3, v[1:2]
	v_add_co_u32 v14, s12, s2, v13
	s_delay_alu instid0(VALU_DEP_1) | instskip(NEXT) | instid1(VALU_DEP_3)
	v_add_co_ci_u32_e64 v15, null, s5, 0, s12
	v_add_co_u32 v1, vcc_lo, s8, v3
	s_delay_alu instid0(VALU_DEP_4) | instskip(NEXT) | instid1(VALU_DEP_1)
	v_add_co_ci_u32_e32 v3, vcc_lo, s9, v4, vcc_lo
	v_cndmask_b32_e64 v4, v3, v15, s1
	s_delay_alu instid0(VALU_DEP_3)
	v_cndmask_b32_e64 v3, v1, v14, s1
	v_subrev_nc_u32_e32 v1, s17, v8
	global_load_b64 v[11:12], v[3:4], off
	v_lshlrev_b64 v[1:2], 3, v[1:2]
	v_add_co_u32 v3, vcc_lo, 0x1000, v14
	v_add_co_ci_u32_e32 v4, vcc_lo, 0, v15, vcc_lo
	s_delay_alu instid0(VALU_DEP_3) | instskip(NEXT) | instid1(VALU_DEP_4)
	v_add_co_u32 v1, vcc_lo, s8, v1
	v_add_co_ci_u32_e32 v2, vcc_lo, s9, v2, vcc_lo
	v_cmp_gt_u32_e32 vcc_lo, s17, v8
	s_delay_alu instid0(VALU_DEP_2)
	v_dual_cndmask_b32 v2, v2, v4 :: v_dual_cndmask_b32 v1, v1, v3
	v_or_b32_e32 v4, 0x1000, v13
	s_waitcnt vmcnt(0)
	ds_store_b64 v13, v[11:12]
	s_cbranch_execz .LBB45_22
	s_branch .LBB45_33
.LBB45_21:
                                        ; implicit-def: $vgpr4
                                        ; implicit-def: $vgpr1_vgpr2
.LBB45_22:
	s_mov_b32 s1, 0
                                        ; implicit-def: $vgpr1_vgpr2
	s_and_saveexec_b32 s12, s0
	s_delay_alu instid0(SALU_CYCLE_1)
	s_xor_b32 s0, exec_lo, s12
	s_cbranch_execnz .LBB45_54
; %bb.23:
	s_and_not1_saveexec_b32 s0, s0
	s_cbranch_execnz .LBB45_57
.LBB45_24:
	s_or_b32 exec_lo, exec_lo, s0
	s_and_saveexec_b32 s0, s1
	s_cbranch_execz .LBB45_26
.LBB45_25:
	global_load_b64 v[1:2], v[1:2], off
	v_mad_u32_u24 v3, v0, 7, v0
	s_waitcnt vmcnt(0)
	ds_store_b64 v3, v[1:2]
.LBB45_26:
	s_or_b32 exec_lo, exec_lo, s0
	s_delay_alu instid0(SALU_CYCLE_1)
	s_mov_b32 s0, exec_lo
                                        ; implicit-def: $vgpr4
                                        ; implicit-def: $vgpr1_vgpr2
	v_cmpx_le_u32_e64 s17, v8
	s_xor_b32 s0, exec_lo, s0
	s_cbranch_execz .LBB45_30
; %bb.27:
	v_subrev_nc_u32_e32 v3, s17, v8
	s_mov_b32 s12, s14
	s_mov_b32 s1, exec_lo
                                        ; implicit-def: $vgpr4
                                        ; implicit-def: $vgpr1_vgpr2
	s_delay_alu instid0(VALU_DEP_1)
	v_cmpx_gt_u32_e64 s23, v3
; %bb.28:
	v_mov_b32_e32 v4, 0
	v_mul_u32_u24_e32 v11, 7, v0
	s_or_b32 s12, s14, exec_lo
	s_delay_alu instid0(VALU_DEP_2) | instskip(NEXT) | instid1(VALU_DEP_2)
	v_lshlrev_b64 v[1:2], 3, v[3:4]
	v_add3_u32 v4, v0, v11, 0x1000
	s_delay_alu instid0(VALU_DEP_2) | instskip(NEXT) | instid1(VALU_DEP_3)
	v_add_co_u32 v1, vcc_lo, s8, v1
	v_add_co_ci_u32_e32 v2, vcc_lo, s9, v2, vcc_lo
; %bb.29:
	s_or_b32 exec_lo, exec_lo, s1
	s_delay_alu instid0(SALU_CYCLE_1) | instskip(SKIP_1) | instid1(SALU_CYCLE_1)
	s_and_not1_b32 s1, s14, exec_lo
	s_and_b32 s8, s12, exec_lo
	s_or_b32 s14, s1, s8
.LBB45_30:
	s_and_not1_saveexec_b32 s0, s0
; %bb.31:
	v_lshlrev_b32_e32 v1, 3, v8
	v_mul_u32_u24_e32 v3, 7, v0
	s_or_b32 s14, s14, exec_lo
	s_delay_alu instid0(VALU_DEP_2) | instskip(NEXT) | instid1(VALU_DEP_1)
	v_add_co_u32 v1, s1, s2, v1
	v_add_co_ci_u32_e64 v2, null, s5, 0, s1
	s_delay_alu instid0(VALU_DEP_3)
	v_add3_u32 v4, v0, v3, 0x1000
; %bb.32:
	s_or_b32 exec_lo, exec_lo, s0
.LBB45_33:
	s_and_saveexec_b32 s0, s14
	s_cbranch_execz .LBB45_35
; %bb.34:
	global_load_b64 v[1:2], v[1:2], off
	s_waitcnt vmcnt(0)
	ds_store_b64 v4, v[1:2]
.LBB45_35:
	s_or_b32 exec_lo, exec_lo, s0
	v_add_nc_u32_e32 v1, s3, v6
	s_and_not1_b32 vcc_lo, exec_lo, s18
	s_waitcnt lgkmcnt(0)
	s_barrier
	buffer_gl0_inv
	s_cbranch_vccnz .LBB45_37
; %bb.36:
	v_lshlrev_b32_e32 v2, 3, v10
	s_mov_b32 s0, -1
	ds_load_b64 v[3:4], v2
	v_mov_b32_e32 v2, 0
	s_delay_alu instid0(VALU_DEP_1) | instskip(NEXT) | instid1(VALU_DEP_1)
	v_lshlrev_b64 v[11:12], 3, v[1:2]
	v_add_co_u32 v11, vcc_lo, s10, v11
	s_delay_alu instid0(VALU_DEP_2)
	v_add_co_ci_u32_e32 v12, vcc_lo, s11, v12, vcc_lo
	s_waitcnt lgkmcnt(0)
	global_store_b64 v[11:12], v[3:4], off
	s_cbranch_execz .LBB45_38
	s_branch .LBB45_43
.LBB45_37:
	s_mov_b32 s0, 0
.LBB45_38:
	s_mov_b32 s1, exec_lo
	v_cmpx_gt_u32_e64 s4, v6
	s_cbranch_execz .LBB45_40
; %bb.39:
	v_lshlrev_b32_e32 v2, 3, v10
	ds_load_b64 v[3:4], v2
	v_mov_b32_e32 v2, 0
	s_delay_alu instid0(VALU_DEP_1) | instskip(NEXT) | instid1(VALU_DEP_1)
	v_lshlrev_b64 v[10:11], 3, v[1:2]
	v_add_co_u32 v10, vcc_lo, s10, v10
	s_delay_alu instid0(VALU_DEP_2)
	v_add_co_ci_u32_e32 v11, vcc_lo, s11, v11, vcc_lo
	s_waitcnt lgkmcnt(0)
	global_store_b64 v[10:11], v[3:4], off
.LBB45_40:
	s_or_b32 exec_lo, exec_lo, s1
	v_or_b32_e32 v2, 1, v6
	s_mov_b32 s1, exec_lo
	s_delay_alu instid0(VALU_DEP_1)
	v_cmpx_gt_u32_e64 s4, v2
; %bb.41:
	v_mov_b32_e32 v2, 0
	s_or_b32 s0, s0, exec_lo
; %bb.42:
	s_or_b32 exec_lo, exec_lo, s1
.LBB45_43:
	s_and_saveexec_b32 s1, s0
	s_cbranch_execz .LBB45_45
; %bb.44:
	v_lshlrev_b32_e32 v3, 3, v9
	v_lshlrev_b64 v[1:2], 3, v[1:2]
	ds_load_b64 v[3:4], v3
	v_add_co_u32 v1, vcc_lo, s10, v1
	v_add_co_ci_u32_e32 v2, vcc_lo, s11, v2, vcc_lo
	s_waitcnt lgkmcnt(0)
	global_store_b64 v[1:2], v[3:4], off offset:8
.LBB45_45:
	s_or_b32 exec_lo, exec_lo, s1
	v_lshrrev_b32_e32 v1, 4, v0
	v_and_b32_e32 v2, 0xff, v5
	v_lshlrev_b16 v3, 8, v7
	v_lshrrev_b32_e32 v4, 5, v8
	s_add_u32 s1, s6, s3
	v_and_b32_e32 v1, 28, v1
	s_waitcnt_vscnt null, 0x0
	v_or_b32_e32 v2, v2, v3
	v_lshrrev_b32_e32 v3, 5, v0
	v_and_b32_e32 v4, 28, v4
	v_add_nc_u32_e32 v1, v1, v6
	s_barrier
	buffer_gl0_inv
	s_barrier
	buffer_gl0_inv
	s_addc_u32 s2, s7, 0
	ds_store_b16 v1, v2
	v_add_co_u32 v1, s1, s1, v0
	v_and_b32_e32 v3, 12, v3
	v_add_co_ci_u32_e64 v2, null, s2, 0, s1
	v_add_nc_u32_e32 v5, v0, v4
	s_mov_b32 s0, 0
	s_and_b32 vcc_lo, exec_lo, s18
	s_waitcnt lgkmcnt(0)
	s_cbranch_vccz .LBB45_47
; %bb.46:
	v_add_nc_u32_e32 v4, v0, v3
	s_barrier
	buffer_gl0_inv
	s_mov_b32 s0, -1
	ds_load_u8 v6, v4
	ds_load_u8 v4, v5 offset:512
	s_waitcnt lgkmcnt(1)
	global_store_b8 v[1:2], v6, off
	s_cbranch_execz .LBB45_48
	s_branch .LBB45_51
.LBB45_47:
                                        ; implicit-def: $vgpr4
.LBB45_48:
	s_waitcnt lgkmcnt(0)
	s_waitcnt_vscnt null, 0x0
	s_barrier
	buffer_gl0_inv
	ds_load_u8 v4, v5 offset:512
	s_sub_i32 s0, s16, s3
	s_mov_b32 s1, exec_lo
	v_cmpx_gt_u32_e64 s0, v0
	s_cbranch_execz .LBB45_50
; %bb.49:
	v_add_nc_u32_e32 v0, v0, v3
	ds_load_u8 v0, v0
	s_waitcnt lgkmcnt(0)
	global_store_b8 v[1:2], v0, off
.LBB45_50:
	s_or_b32 exec_lo, exec_lo, s1
	v_cmp_gt_u32_e64 s0, s0, v8
.LBB45_51:
	s_delay_alu instid0(VALU_DEP_1)
	s_and_saveexec_b32 s1, s0
	s_cbranch_execz .LBB45_53
; %bb.52:
	s_waitcnt lgkmcnt(0)
	global_store_b8 v[1:2], v4, off offset:512
.LBB45_53:
	s_nop 0
	s_sendmsg sendmsg(MSG_DEALLOC_VGPRS)
	s_endpgm
.LBB45_54:
	v_subrev_nc_u32_e32 v3, s17, v0
	s_mov_b32 s12, exec_lo
                                        ; implicit-def: $vgpr1_vgpr2
	s_delay_alu instid0(VALU_DEP_1)
	v_cmpx_gt_u32_e64 s23, v3
	s_xor_b32 s12, exec_lo, s12
; %bb.55:
	v_mov_b32_e32 v4, 0
	s_mov_b32 s1, exec_lo
	s_delay_alu instid0(VALU_DEP_1) | instskip(NEXT) | instid1(VALU_DEP_1)
	v_lshlrev_b64 v[1:2], 3, v[3:4]
	v_add_co_u32 v1, vcc_lo, s8, v1
	s_delay_alu instid0(VALU_DEP_2)
	v_add_co_ci_u32_e32 v2, vcc_lo, s9, v2, vcc_lo
; %bb.56:
	s_or_b32 exec_lo, exec_lo, s12
	s_delay_alu instid0(SALU_CYCLE_1)
	s_and_b32 s1, s1, exec_lo
	s_and_not1_saveexec_b32 s0, s0
	s_cbranch_execz .LBB45_24
.LBB45_57:
	v_lshlrev_b32_e32 v1, 3, v0
	s_or_b32 s1, s1, exec_lo
	s_delay_alu instid0(VALU_DEP_1) | instskip(NEXT) | instid1(VALU_DEP_1)
	v_add_co_u32 v1, s12, s2, v1
	v_add_co_ci_u32_e64 v2, null, s5, 0, s12
	s_or_b32 exec_lo, exec_lo, s0
	s_and_saveexec_b32 s0, s1
	s_cbranch_execnz .LBB45_25
	s_branch .LBB45_26
	.section	.rodata,"a",@progbits
	.p2align	6, 0x0
	.amdhsa_kernel _ZN7rocprim17ROCPRIM_304000_NS6detail35device_block_merge_mergepath_kernelINS1_37wrapped_merge_sort_block_merge_configINS0_14default_configEaN2at4cuda3cub6detail10OpaqueTypeILi8EEEEEPaSC_PSA_SD_jNS1_19radix_merge_compareILb0ELb1EaNS0_19identity_decomposerEEEEEvT0_T1_T2_T3_T4_SL_jT5_PKSL_NS1_7vsmem_tE
		.amdhsa_group_segment_fixed_size 8208
		.amdhsa_private_segment_fixed_size 0
		.amdhsa_kernarg_size 320
		.amdhsa_user_sgpr_count 13
		.amdhsa_user_sgpr_dispatch_ptr 0
		.amdhsa_user_sgpr_queue_ptr 0
		.amdhsa_user_sgpr_kernarg_segment_ptr 1
		.amdhsa_user_sgpr_dispatch_id 0
		.amdhsa_user_sgpr_private_segment_size 0
		.amdhsa_wavefront_size32 1
		.amdhsa_uses_dynamic_stack 0
		.amdhsa_enable_private_segment 0
		.amdhsa_system_sgpr_workgroup_id_x 1
		.amdhsa_system_sgpr_workgroup_id_y 1
		.amdhsa_system_sgpr_workgroup_id_z 1
		.amdhsa_system_sgpr_workgroup_info 0
		.amdhsa_system_vgpr_workitem_id 0
		.amdhsa_next_free_vgpr 16
		.amdhsa_next_free_sgpr 27
		.amdhsa_reserve_vcc 1
		.amdhsa_float_round_mode_32 0
		.amdhsa_float_round_mode_16_64 0
		.amdhsa_float_denorm_mode_32 3
		.amdhsa_float_denorm_mode_16_64 3
		.amdhsa_dx10_clamp 1
		.amdhsa_ieee_mode 1
		.amdhsa_fp16_overflow 0
		.amdhsa_workgroup_processor_mode 1
		.amdhsa_memory_ordered 1
		.amdhsa_forward_progress 0
		.amdhsa_shared_vgpr_count 0
		.amdhsa_exception_fp_ieee_invalid_op 0
		.amdhsa_exception_fp_denorm_src 0
		.amdhsa_exception_fp_ieee_div_zero 0
		.amdhsa_exception_fp_ieee_overflow 0
		.amdhsa_exception_fp_ieee_underflow 0
		.amdhsa_exception_fp_ieee_inexact 0
		.amdhsa_exception_int_div_zero 0
	.end_amdhsa_kernel
	.section	.text._ZN7rocprim17ROCPRIM_304000_NS6detail35device_block_merge_mergepath_kernelINS1_37wrapped_merge_sort_block_merge_configINS0_14default_configEaN2at4cuda3cub6detail10OpaqueTypeILi8EEEEEPaSC_PSA_SD_jNS1_19radix_merge_compareILb0ELb1EaNS0_19identity_decomposerEEEEEvT0_T1_T2_T3_T4_SL_jT5_PKSL_NS1_7vsmem_tE,"axG",@progbits,_ZN7rocprim17ROCPRIM_304000_NS6detail35device_block_merge_mergepath_kernelINS1_37wrapped_merge_sort_block_merge_configINS0_14default_configEaN2at4cuda3cub6detail10OpaqueTypeILi8EEEEEPaSC_PSA_SD_jNS1_19radix_merge_compareILb0ELb1EaNS0_19identity_decomposerEEEEEvT0_T1_T2_T3_T4_SL_jT5_PKSL_NS1_7vsmem_tE,comdat
.Lfunc_end45:
	.size	_ZN7rocprim17ROCPRIM_304000_NS6detail35device_block_merge_mergepath_kernelINS1_37wrapped_merge_sort_block_merge_configINS0_14default_configEaN2at4cuda3cub6detail10OpaqueTypeILi8EEEEEPaSC_PSA_SD_jNS1_19radix_merge_compareILb0ELb1EaNS0_19identity_decomposerEEEEEvT0_T1_T2_T3_T4_SL_jT5_PKSL_NS1_7vsmem_tE, .Lfunc_end45-_ZN7rocprim17ROCPRIM_304000_NS6detail35device_block_merge_mergepath_kernelINS1_37wrapped_merge_sort_block_merge_configINS0_14default_configEaN2at4cuda3cub6detail10OpaqueTypeILi8EEEEEPaSC_PSA_SD_jNS1_19radix_merge_compareILb0ELb1EaNS0_19identity_decomposerEEEEEvT0_T1_T2_T3_T4_SL_jT5_PKSL_NS1_7vsmem_tE
                                        ; -- End function
	.section	.AMDGPU.csdata,"",@progbits
; Kernel info:
; codeLenInByte = 2436
; NumSgprs: 29
; NumVgprs: 16
; ScratchSize: 0
; MemoryBound: 1
; FloatMode: 240
; IeeeMode: 1
; LDSByteSize: 8208 bytes/workgroup (compile time only)
; SGPRBlocks: 3
; VGPRBlocks: 1
; NumSGPRsForWavesPerEU: 29
; NumVGPRsForWavesPerEU: 16
; Occupancy: 16
; WaveLimiterHint : 1
; COMPUTE_PGM_RSRC2:SCRATCH_EN: 0
; COMPUTE_PGM_RSRC2:USER_SGPR: 13
; COMPUTE_PGM_RSRC2:TRAP_HANDLER: 0
; COMPUTE_PGM_RSRC2:TGID_X_EN: 1
; COMPUTE_PGM_RSRC2:TGID_Y_EN: 1
; COMPUTE_PGM_RSRC2:TGID_Z_EN: 1
; COMPUTE_PGM_RSRC2:TIDIG_COMP_CNT: 0
	.section	.text._ZN7rocprim17ROCPRIM_304000_NS6detail33device_block_merge_oddeven_kernelINS1_37wrapped_merge_sort_block_merge_configINS0_14default_configEaN2at4cuda3cub6detail10OpaqueTypeILi8EEEEEPaSC_PSA_SD_jNS1_19radix_merge_compareILb0ELb1EaNS0_19identity_decomposerEEEEEvT0_T1_T2_T3_T4_SL_T5_,"axG",@progbits,_ZN7rocprim17ROCPRIM_304000_NS6detail33device_block_merge_oddeven_kernelINS1_37wrapped_merge_sort_block_merge_configINS0_14default_configEaN2at4cuda3cub6detail10OpaqueTypeILi8EEEEEPaSC_PSA_SD_jNS1_19radix_merge_compareILb0ELb1EaNS0_19identity_decomposerEEEEEvT0_T1_T2_T3_T4_SL_T5_,comdat
	.protected	_ZN7rocprim17ROCPRIM_304000_NS6detail33device_block_merge_oddeven_kernelINS1_37wrapped_merge_sort_block_merge_configINS0_14default_configEaN2at4cuda3cub6detail10OpaqueTypeILi8EEEEEPaSC_PSA_SD_jNS1_19radix_merge_compareILb0ELb1EaNS0_19identity_decomposerEEEEEvT0_T1_T2_T3_T4_SL_T5_ ; -- Begin function _ZN7rocprim17ROCPRIM_304000_NS6detail33device_block_merge_oddeven_kernelINS1_37wrapped_merge_sort_block_merge_configINS0_14default_configEaN2at4cuda3cub6detail10OpaqueTypeILi8EEEEEPaSC_PSA_SD_jNS1_19radix_merge_compareILb0ELb1EaNS0_19identity_decomposerEEEEEvT0_T1_T2_T3_T4_SL_T5_
	.globl	_ZN7rocprim17ROCPRIM_304000_NS6detail33device_block_merge_oddeven_kernelINS1_37wrapped_merge_sort_block_merge_configINS0_14default_configEaN2at4cuda3cub6detail10OpaqueTypeILi8EEEEEPaSC_PSA_SD_jNS1_19radix_merge_compareILb0ELb1EaNS0_19identity_decomposerEEEEEvT0_T1_T2_T3_T4_SL_T5_
	.p2align	8
	.type	_ZN7rocprim17ROCPRIM_304000_NS6detail33device_block_merge_oddeven_kernelINS1_37wrapped_merge_sort_block_merge_configINS0_14default_configEaN2at4cuda3cub6detail10OpaqueTypeILi8EEEEEPaSC_PSA_SD_jNS1_19radix_merge_compareILb0ELb1EaNS0_19identity_decomposerEEEEEvT0_T1_T2_T3_T4_SL_T5_,@function
_ZN7rocprim17ROCPRIM_304000_NS6detail33device_block_merge_oddeven_kernelINS1_37wrapped_merge_sort_block_merge_configINS0_14default_configEaN2at4cuda3cub6detail10OpaqueTypeILi8EEEEEPaSC_PSA_SD_jNS1_19radix_merge_compareILb0ELb1EaNS0_19identity_decomposerEEEEEvT0_T1_T2_T3_T4_SL_T5_: ; @_ZN7rocprim17ROCPRIM_304000_NS6detail33device_block_merge_oddeven_kernelINS1_37wrapped_merge_sort_block_merge_configINS0_14default_configEaN2at4cuda3cub6detail10OpaqueTypeILi8EEEEEPaSC_PSA_SD_jNS1_19radix_merge_compareILb0ELb1EaNS0_19identity_decomposerEEEEEvT0_T1_T2_T3_T4_SL_T5_
; %bb.0:
	s_load_b128 s[16:19], s[0:1], 0x20
	s_waitcnt lgkmcnt(0)
	s_lshr_b32 s2, s16, 8
	s_delay_alu instid0(SALU_CYCLE_1) | instskip(SKIP_4) | instid1(SALU_CYCLE_1)
	s_cmp_lg_u32 s15, s2
	s_cselect_b32 s4, -1, 0
	s_cmp_eq_u32 s15, s2
	s_cselect_b32 s3, -1, 0
	s_lshl_b32 s12, s15, 8
	s_sub_i32 s2, s16, s12
	s_delay_alu instid0(SALU_CYCLE_1) | instskip(NEXT) | instid1(VALU_DEP_1)
	v_cmp_gt_u32_e64 s2, s2, v0
	s_or_b32 s4, s4, s2
	s_delay_alu instid0(SALU_CYCLE_1)
	s_and_saveexec_b32 s5, s4
	s_cbranch_execz .LBB46_26
; %bb.1:
	s_load_b256 s[4:11], s[0:1], 0x0
	s_mov_b32 s13, 0
	v_lshlrev_b32_e32 v1, 3, v0
	v_add_nc_u32_e32 v5, s12, v0
	s_waitcnt lgkmcnt(0)
	s_add_u32 s0, s4, s12
	s_addc_u32 s1, s5, 0
	s_lshl_b64 s[20:21], s[12:13], 3
	s_delay_alu instid0(SALU_CYCLE_1) | instskip(SKIP_4) | instid1(SALU_CYCLE_1)
	s_add_u32 s8, s8, s20
	s_addc_u32 s9, s9, s21
	global_load_b64 v[1:2], v1, s[8:9]
	global_load_u8 v7, v0, s[0:1]
	s_lshr_b32 s0, s17, 8
	s_sub_i32 s1, 0, s0
	s_delay_alu instid0(SALU_CYCLE_1) | instskip(NEXT) | instid1(SALU_CYCLE_1)
	s_and_b32 s1, s15, s1
	s_and_b32 s0, s1, s0
	s_lshl_b32 s9, s1, 8
	s_sub_i32 s1, 0, s17
	s_cmp_eq_u32 s0, 0
	s_cselect_b32 s0, -1, 0
	s_delay_alu instid0(SALU_CYCLE_1) | instskip(SKIP_1) | instid1(SALU_CYCLE_1)
	s_and_b32 s8, s0, exec_lo
	s_cselect_b32 s1, s17, s1
	s_add_i32 s1, s1, s9
	s_delay_alu instid0(SALU_CYCLE_1)
	s_cmp_lt_u32 s1, s16
	s_cbranch_scc1 .LBB46_6
; %bb.2:
	s_and_b32 vcc_lo, exec_lo, s3
	s_cbranch_vccz .LBB46_7
; %bb.3:
	s_mov_b32 s8, 0
	s_mov_b32 s12, exec_lo
                                        ; implicit-def: $vgpr3_vgpr4
	v_cmpx_gt_u32_e64 s16, v5
	s_cbranch_execz .LBB46_5
; %bb.4:
	v_mov_b32_e32 v6, 0
	s_mov_b32 s13, exec_lo
	s_waitcnt vmcnt(0)
	global_store_b8 v5, v7, s[6:7]
	v_lshlrev_b64 v[3:4], 3, v[5:6]
	s_delay_alu instid0(VALU_DEP_1) | instskip(NEXT) | instid1(VALU_DEP_2)
	v_add_co_u32 v3, vcc_lo, s10, v3
	v_add_co_ci_u32_e32 v4, vcc_lo, s11, v4, vcc_lo
.LBB46_5:
	s_or_b32 exec_lo, exec_lo, s12
	s_delay_alu instid0(SALU_CYCLE_1)
	s_and_b32 vcc_lo, exec_lo, s8
	s_cbranch_vccnz .LBB46_8
	s_branch .LBB46_9
.LBB46_6:
                                        ; implicit-def: $vgpr3_vgpr4
	s_cbranch_execnz .LBB46_10
	s_branch .LBB46_24
.LBB46_7:
                                        ; implicit-def: $vgpr3_vgpr4
	s_cbranch_execz .LBB46_9
.LBB46_8:
	v_mov_b32_e32 v6, 0
	s_or_b32 s13, s13, exec_lo
	s_waitcnt vmcnt(0)
	global_store_b8 v5, v7, s[6:7]
	v_lshlrev_b64 v[3:4], 3, v[5:6]
	s_delay_alu instid0(VALU_DEP_1) | instskip(NEXT) | instid1(VALU_DEP_2)
	v_add_co_u32 v3, vcc_lo, s10, v3
	v_add_co_ci_u32_e32 v4, vcc_lo, s11, v4, vcc_lo
.LBB46_9:
	s_branch .LBB46_24
.LBB46_10:
	s_min_u32 s8, s1, s16
	s_and_b32 vcc_lo, exec_lo, s3
	s_add_i32 s12, s9, s8
	s_min_u32 s9, s9, s8
	v_subrev_nc_u32_e32 v0, s12, v5
	s_add_i32 s12, s8, s17
	s_delay_alu instid0(SALU_CYCLE_1) | instskip(NEXT) | instid1(VALU_DEP_1)
	s_min_u32 s3, s12, s16
	v_add_nc_u32_e32 v0, s9, v0
	s_cbranch_vccz .LBB46_18
; %bb.11:
                                        ; implicit-def: $vgpr3_vgpr4
	s_and_saveexec_b32 s9, s2
	s_cbranch_execz .LBB46_17
; %bb.12:
	v_mov_b32_e32 v3, s8
	s_cmp_ge_u32 s1, s3
	s_cbranch_scc1 .LBB46_16
; %bb.13:
	s_waitcnt vmcnt(0)
	v_dual_mov_b32 v4, s3 :: v_dual_and_b32 v3, s18, v7
	s_mov_b32 s2, 0
	s_delay_alu instid0(VALU_DEP_1)
	v_bfe_i32 v5, v3, 0, 8
	v_mov_b32_e32 v3, s8
	.p2align	6
.LBB46_14:                              ; =>This Inner Loop Header: Depth=1
	s_delay_alu instid0(VALU_DEP_1) | instskip(NEXT) | instid1(VALU_DEP_1)
	v_add_nc_u32_e32 v6, v3, v4
	v_lshrrev_b32_e32 v6, 1, v6
	global_load_u8 v8, v6, s[4:5]
	s_waitcnt vmcnt(0)
	v_and_b32_e32 v8, s18, v8
	s_delay_alu instid0(VALU_DEP_1) | instskip(NEXT) | instid1(VALU_DEP_1)
	v_bfe_i32 v8, v8, 0, 8
	v_cmp_gt_i16_e32 vcc_lo, v5, v8
	v_cndmask_b32_e64 v9, 0, 1, vcc_lo
	v_cmp_le_i16_e32 vcc_lo, v8, v5
	v_cndmask_b32_e64 v8, 0, 1, vcc_lo
	s_delay_alu instid0(VALU_DEP_1) | instskip(NEXT) | instid1(VALU_DEP_1)
	v_cndmask_b32_e64 v8, v8, v9, s0
	v_and_b32_e32 v8, 1, v8
	s_delay_alu instid0(VALU_DEP_1) | instskip(SKIP_1) | instid1(VALU_DEP_1)
	v_cmp_eq_u32_e32 vcc_lo, 1, v8
	v_dual_cndmask_b32 v4, v6, v4 :: v_dual_add_nc_u32 v9, 1, v6
	v_cndmask_b32_e32 v3, v3, v9, vcc_lo
	s_delay_alu instid0(VALU_DEP_1) | instskip(SKIP_1) | instid1(SALU_CYCLE_1)
	v_cmp_ge_u32_e32 vcc_lo, v3, v4
	s_or_b32 s2, vcc_lo, s2
	s_and_not1_b32 exec_lo, exec_lo, s2
	s_cbranch_execnz .LBB46_14
; %bb.15:
	s_or_b32 exec_lo, exec_lo, s2
.LBB46_16:
	s_delay_alu instid0(VALU_DEP_1) | instskip(SKIP_4) | instid1(VALU_DEP_1)
	v_dual_mov_b32 v6, 0 :: v_dual_add_nc_u32 v5, v3, v0
	s_or_b32 s13, s13, exec_lo
	s_waitcnt vmcnt(0)
	global_store_b8 v5, v7, s[6:7]
	v_lshlrev_b64 v[3:4], 3, v[5:6]
	v_add_co_u32 v3, vcc_lo, s10, v3
	s_delay_alu instid0(VALU_DEP_2)
	v_add_co_ci_u32_e32 v4, vcc_lo, s11, v4, vcc_lo
.LBB46_17:
	s_or_b32 exec_lo, exec_lo, s9
	s_branch .LBB46_24
.LBB46_18:
                                        ; implicit-def: $vgpr3_vgpr4
	s_cbranch_execz .LBB46_24
; %bb.19:
	v_mov_b32_e32 v3, s8
	s_cmp_ge_u32 s1, s3
	s_cbranch_scc1 .LBB46_23
; %bb.20:
	s_waitcnt vmcnt(0)
	v_dual_mov_b32 v4, s3 :: v_dual_and_b32 v3, s18, v7
	s_mov_b32 s1, 0
	s_delay_alu instid0(VALU_DEP_1)
	v_bfe_i32 v5, v3, 0, 8
	v_mov_b32_e32 v3, s8
	.p2align	6
.LBB46_21:                              ; =>This Inner Loop Header: Depth=1
	s_delay_alu instid0(VALU_DEP_1) | instskip(NEXT) | instid1(VALU_DEP_1)
	v_add_nc_u32_e32 v6, v3, v4
	v_lshrrev_b32_e32 v6, 1, v6
	global_load_u8 v8, v6, s[4:5]
	s_waitcnt vmcnt(0)
	v_and_b32_e32 v8, s18, v8
	s_delay_alu instid0(VALU_DEP_1) | instskip(NEXT) | instid1(VALU_DEP_1)
	v_bfe_i32 v8, v8, 0, 8
	v_cmp_gt_i16_e32 vcc_lo, v5, v8
	v_cndmask_b32_e64 v9, 0, 1, vcc_lo
	v_cmp_le_i16_e32 vcc_lo, v8, v5
	v_cndmask_b32_e64 v8, 0, 1, vcc_lo
	s_delay_alu instid0(VALU_DEP_1) | instskip(NEXT) | instid1(VALU_DEP_1)
	v_cndmask_b32_e64 v8, v8, v9, s0
	v_and_b32_e32 v8, 1, v8
	s_delay_alu instid0(VALU_DEP_1) | instskip(SKIP_1) | instid1(VALU_DEP_1)
	v_cmp_eq_u32_e32 vcc_lo, 1, v8
	v_dual_cndmask_b32 v4, v6, v4 :: v_dual_add_nc_u32 v9, 1, v6
	v_cndmask_b32_e32 v3, v3, v9, vcc_lo
	s_delay_alu instid0(VALU_DEP_1) | instskip(SKIP_1) | instid1(SALU_CYCLE_1)
	v_cmp_ge_u32_e32 vcc_lo, v3, v4
	s_or_b32 s1, vcc_lo, s1
	s_and_not1_b32 exec_lo, exec_lo, s1
	s_cbranch_execnz .LBB46_21
; %bb.22:
	s_or_b32 exec_lo, exec_lo, s1
.LBB46_23:
	s_delay_alu instid0(VALU_DEP_1) | instskip(SKIP_4) | instid1(VALU_DEP_1)
	v_dual_mov_b32 v6, 0 :: v_dual_add_nc_u32 v5, v3, v0
	s_mov_b32 s13, -1
	s_waitcnt vmcnt(0)
	global_store_b8 v5, v7, s[6:7]
	v_lshlrev_b64 v[3:4], 3, v[5:6]
	v_add_co_u32 v3, vcc_lo, s10, v3
	s_delay_alu instid0(VALU_DEP_2)
	v_add_co_ci_u32_e32 v4, vcc_lo, s11, v4, vcc_lo
.LBB46_24:
	s_and_b32 exec_lo, exec_lo, s13
	s_cbranch_execz .LBB46_26
; %bb.25:
	s_waitcnt vmcnt(1)
	global_store_b64 v[3:4], v[1:2], off
.LBB46_26:
	s_nop 0
	s_sendmsg sendmsg(MSG_DEALLOC_VGPRS)
	s_endpgm
	.section	.rodata,"a",@progbits
	.p2align	6, 0x0
	.amdhsa_kernel _ZN7rocprim17ROCPRIM_304000_NS6detail33device_block_merge_oddeven_kernelINS1_37wrapped_merge_sort_block_merge_configINS0_14default_configEaN2at4cuda3cub6detail10OpaqueTypeILi8EEEEEPaSC_PSA_SD_jNS1_19radix_merge_compareILb0ELb1EaNS0_19identity_decomposerEEEEEvT0_T1_T2_T3_T4_SL_T5_
		.amdhsa_group_segment_fixed_size 0
		.amdhsa_private_segment_fixed_size 0
		.amdhsa_kernarg_size 44
		.amdhsa_user_sgpr_count 15
		.amdhsa_user_sgpr_dispatch_ptr 0
		.amdhsa_user_sgpr_queue_ptr 0
		.amdhsa_user_sgpr_kernarg_segment_ptr 1
		.amdhsa_user_sgpr_dispatch_id 0
		.amdhsa_user_sgpr_private_segment_size 0
		.amdhsa_wavefront_size32 1
		.amdhsa_uses_dynamic_stack 0
		.amdhsa_enable_private_segment 0
		.amdhsa_system_sgpr_workgroup_id_x 1
		.amdhsa_system_sgpr_workgroup_id_y 0
		.amdhsa_system_sgpr_workgroup_id_z 0
		.amdhsa_system_sgpr_workgroup_info 0
		.amdhsa_system_vgpr_workitem_id 0
		.amdhsa_next_free_vgpr 10
		.amdhsa_next_free_sgpr 22
		.amdhsa_reserve_vcc 1
		.amdhsa_float_round_mode_32 0
		.amdhsa_float_round_mode_16_64 0
		.amdhsa_float_denorm_mode_32 3
		.amdhsa_float_denorm_mode_16_64 3
		.amdhsa_dx10_clamp 1
		.amdhsa_ieee_mode 1
		.amdhsa_fp16_overflow 0
		.amdhsa_workgroup_processor_mode 1
		.amdhsa_memory_ordered 1
		.amdhsa_forward_progress 0
		.amdhsa_shared_vgpr_count 0
		.amdhsa_exception_fp_ieee_invalid_op 0
		.amdhsa_exception_fp_denorm_src 0
		.amdhsa_exception_fp_ieee_div_zero 0
		.amdhsa_exception_fp_ieee_overflow 0
		.amdhsa_exception_fp_ieee_underflow 0
		.amdhsa_exception_fp_ieee_inexact 0
		.amdhsa_exception_int_div_zero 0
	.end_amdhsa_kernel
	.section	.text._ZN7rocprim17ROCPRIM_304000_NS6detail33device_block_merge_oddeven_kernelINS1_37wrapped_merge_sort_block_merge_configINS0_14default_configEaN2at4cuda3cub6detail10OpaqueTypeILi8EEEEEPaSC_PSA_SD_jNS1_19radix_merge_compareILb0ELb1EaNS0_19identity_decomposerEEEEEvT0_T1_T2_T3_T4_SL_T5_,"axG",@progbits,_ZN7rocprim17ROCPRIM_304000_NS6detail33device_block_merge_oddeven_kernelINS1_37wrapped_merge_sort_block_merge_configINS0_14default_configEaN2at4cuda3cub6detail10OpaqueTypeILi8EEEEEPaSC_PSA_SD_jNS1_19radix_merge_compareILb0ELb1EaNS0_19identity_decomposerEEEEEvT0_T1_T2_T3_T4_SL_T5_,comdat
.Lfunc_end46:
	.size	_ZN7rocprim17ROCPRIM_304000_NS6detail33device_block_merge_oddeven_kernelINS1_37wrapped_merge_sort_block_merge_configINS0_14default_configEaN2at4cuda3cub6detail10OpaqueTypeILi8EEEEEPaSC_PSA_SD_jNS1_19radix_merge_compareILb0ELb1EaNS0_19identity_decomposerEEEEEvT0_T1_T2_T3_T4_SL_T5_, .Lfunc_end46-_ZN7rocprim17ROCPRIM_304000_NS6detail33device_block_merge_oddeven_kernelINS1_37wrapped_merge_sort_block_merge_configINS0_14default_configEaN2at4cuda3cub6detail10OpaqueTypeILi8EEEEEPaSC_PSA_SD_jNS1_19radix_merge_compareILb0ELb1EaNS0_19identity_decomposerEEEEEvT0_T1_T2_T3_T4_SL_T5_
                                        ; -- End function
	.section	.AMDGPU.csdata,"",@progbits
; Kernel info:
; codeLenInByte = 884
; NumSgprs: 24
; NumVgprs: 10
; ScratchSize: 0
; MemoryBound: 0
; FloatMode: 240
; IeeeMode: 1
; LDSByteSize: 0 bytes/workgroup (compile time only)
; SGPRBlocks: 2
; VGPRBlocks: 1
; NumSGPRsForWavesPerEU: 24
; NumVGPRsForWavesPerEU: 10
; Occupancy: 16
; WaveLimiterHint : 0
; COMPUTE_PGM_RSRC2:SCRATCH_EN: 0
; COMPUTE_PGM_RSRC2:USER_SGPR: 15
; COMPUTE_PGM_RSRC2:TRAP_HANDLER: 0
; COMPUTE_PGM_RSRC2:TGID_X_EN: 1
; COMPUTE_PGM_RSRC2:TGID_Y_EN: 0
; COMPUTE_PGM_RSRC2:TGID_Z_EN: 0
; COMPUTE_PGM_RSRC2:TIDIG_COMP_CNT: 0
	.section	.text._ZN7rocprim17ROCPRIM_304000_NS6detail26onesweep_histograms_kernelINS1_34wrapped_radix_sort_onesweep_configINS0_14default_configEaN2at4cuda3cub6detail10OpaqueTypeILi8EEEEELb0EPKamNS0_19identity_decomposerEEEvT1_PT2_SG_SG_T3_jj,"axG",@progbits,_ZN7rocprim17ROCPRIM_304000_NS6detail26onesweep_histograms_kernelINS1_34wrapped_radix_sort_onesweep_configINS0_14default_configEaN2at4cuda3cub6detail10OpaqueTypeILi8EEEEELb0EPKamNS0_19identity_decomposerEEEvT1_PT2_SG_SG_T3_jj,comdat
	.protected	_ZN7rocprim17ROCPRIM_304000_NS6detail26onesweep_histograms_kernelINS1_34wrapped_radix_sort_onesweep_configINS0_14default_configEaN2at4cuda3cub6detail10OpaqueTypeILi8EEEEELb0EPKamNS0_19identity_decomposerEEEvT1_PT2_SG_SG_T3_jj ; -- Begin function _ZN7rocprim17ROCPRIM_304000_NS6detail26onesweep_histograms_kernelINS1_34wrapped_radix_sort_onesweep_configINS0_14default_configEaN2at4cuda3cub6detail10OpaqueTypeILi8EEEEELb0EPKamNS0_19identity_decomposerEEEvT1_PT2_SG_SG_T3_jj
	.globl	_ZN7rocprim17ROCPRIM_304000_NS6detail26onesweep_histograms_kernelINS1_34wrapped_radix_sort_onesweep_configINS0_14default_configEaN2at4cuda3cub6detail10OpaqueTypeILi8EEEEELb0EPKamNS0_19identity_decomposerEEEvT1_PT2_SG_SG_T3_jj
	.p2align	8
	.type	_ZN7rocprim17ROCPRIM_304000_NS6detail26onesweep_histograms_kernelINS1_34wrapped_radix_sort_onesweep_configINS0_14default_configEaN2at4cuda3cub6detail10OpaqueTypeILi8EEEEELb0EPKamNS0_19identity_decomposerEEEvT1_PT2_SG_SG_T3_jj,@function
_ZN7rocprim17ROCPRIM_304000_NS6detail26onesweep_histograms_kernelINS1_34wrapped_radix_sort_onesweep_configINS0_14default_configEaN2at4cuda3cub6detail10OpaqueTypeILi8EEEEELb0EPKamNS0_19identity_decomposerEEEvT1_PT2_SG_SG_T3_jj: ; @_ZN7rocprim17ROCPRIM_304000_NS6detail26onesweep_histograms_kernelINS1_34wrapped_radix_sort_onesweep_configINS0_14default_configEaN2at4cuda3cub6detail10OpaqueTypeILi8EEEEELb0EPKamNS0_19identity_decomposerEEEvT1_PT2_SG_SG_T3_jj
; %bb.0:
	s_clause 0x1
	s_load_b256 s[20:27], s[0:1], 0x0
	s_load_b64 s[28:29], s[0:1], 0x24
	s_mov_b32 s2, s15
	s_mov_b32 s3, 0
	s_mul_i32 s1, s15, 0x1600
	s_waitcnt lgkmcnt(0)
	v_cmp_ge_u64_e64 s0, s[2:3], s[26:27]
	s_mul_hi_u32 s2, s15, 0x1600
	s_add_u32 s30, s20, s1
	s_addc_u32 s31, s21, s2
	s_delay_alu instid0(VALU_DEP_1)
	s_and_b32 vcc_lo, exec_lo, s0
	s_mov_b32 s0, -1
	s_cbranch_vccz .LBB47_142
; %bb.1:
	s_mul_i32 s21, s26, 0xffffea00
	v_add_co_u32 v1, s0, s30, v0
	s_add_i32 s21, s21, s24
	v_add_co_ci_u32_e64 v2, null, s31, 0, s0
	v_cmp_gt_u32_e64 s20, s21, v0
                                        ; implicit-def: $vgpr24
	s_delay_alu instid0(VALU_DEP_1)
	s_and_saveexec_b32 s0, s20
	s_cbranch_execz .LBB47_3
; %bb.2:
	global_load_u8 v24, v[1:2], off
.LBB47_3:
	s_or_b32 exec_lo, exec_lo, s0
	v_or_b32_e32 v3, 0x100, v0
                                        ; implicit-def: $vgpr23
	s_delay_alu instid0(VALU_DEP_1) | instskip(NEXT) | instid1(VALU_DEP_1)
	v_cmp_gt_u32_e64 s19, s21, v3
	s_and_saveexec_b32 s0, s19
	s_cbranch_execz .LBB47_5
; %bb.4:
	global_load_u8 v23, v[1:2], off offset:256
.LBB47_5:
	s_or_b32 exec_lo, exec_lo, s0
	v_or_b32_e32 v3, 0x200, v0
                                        ; implicit-def: $vgpr22
	s_delay_alu instid0(VALU_DEP_1) | instskip(NEXT) | instid1(VALU_DEP_1)
	v_cmp_gt_u32_e64 s18, s21, v3
	s_and_saveexec_b32 s0, s18
	s_cbranch_execz .LBB47_7
; %bb.6:
	global_load_u8 v22, v[1:2], off offset:512
.LBB47_7:
	s_or_b32 exec_lo, exec_lo, s0
	v_or_b32_e32 v3, 0x300, v0
                                        ; implicit-def: $vgpr21
	s_delay_alu instid0(VALU_DEP_1) | instskip(NEXT) | instid1(VALU_DEP_1)
	v_cmp_gt_u32_e64 s17, s21, v3
	s_and_saveexec_b32 s0, s17
	s_cbranch_execz .LBB47_9
; %bb.8:
	global_load_u8 v21, v[1:2], off offset:768
.LBB47_9:
	s_or_b32 exec_lo, exec_lo, s0
	v_or_b32_e32 v3, 0x400, v0
                                        ; implicit-def: $vgpr20
	s_delay_alu instid0(VALU_DEP_1) | instskip(NEXT) | instid1(VALU_DEP_1)
	v_cmp_gt_u32_e64 s16, s21, v3
	s_and_saveexec_b32 s0, s16
	s_cbranch_execz .LBB47_11
; %bb.10:
	global_load_u8 v20, v[1:2], off offset:1024
.LBB47_11:
	s_or_b32 exec_lo, exec_lo, s0
	v_or_b32_e32 v3, 0x500, v0
                                        ; implicit-def: $vgpr19
	s_delay_alu instid0(VALU_DEP_1) | instskip(NEXT) | instid1(VALU_DEP_1)
	v_cmp_gt_u32_e64 s15, s21, v3
	s_and_saveexec_b32 s0, s15
	s_cbranch_execz .LBB47_13
; %bb.12:
	global_load_u8 v19, v[1:2], off offset:1280
.LBB47_13:
	s_or_b32 exec_lo, exec_lo, s0
	v_or_b32_e32 v3, 0x600, v0
                                        ; implicit-def: $vgpr18
	s_delay_alu instid0(VALU_DEP_1) | instskip(NEXT) | instid1(VALU_DEP_1)
	v_cmp_gt_u32_e64 s14, s21, v3
	s_and_saveexec_b32 s0, s14
	s_cbranch_execz .LBB47_15
; %bb.14:
	global_load_u8 v18, v[1:2], off offset:1536
.LBB47_15:
	s_or_b32 exec_lo, exec_lo, s0
	v_or_b32_e32 v3, 0x700, v0
                                        ; implicit-def: $vgpr17
	s_delay_alu instid0(VALU_DEP_1) | instskip(NEXT) | instid1(VALU_DEP_1)
	v_cmp_gt_u32_e64 s13, s21, v3
	s_and_saveexec_b32 s0, s13
	s_cbranch_execz .LBB47_17
; %bb.16:
	global_load_u8 v17, v[1:2], off offset:1792
.LBB47_17:
	s_or_b32 exec_lo, exec_lo, s0
	v_or_b32_e32 v3, 0x800, v0
                                        ; implicit-def: $vgpr16
	s_delay_alu instid0(VALU_DEP_1) | instskip(NEXT) | instid1(VALU_DEP_1)
	v_cmp_gt_u32_e64 s12, s21, v3
	s_and_saveexec_b32 s0, s12
	s_cbranch_execz .LBB47_19
; %bb.18:
	global_load_u8 v16, v[1:2], off offset:2048
.LBB47_19:
	s_or_b32 exec_lo, exec_lo, s0
	v_or_b32_e32 v3, 0x900, v0
                                        ; implicit-def: $vgpr15
	s_delay_alu instid0(VALU_DEP_1) | instskip(NEXT) | instid1(VALU_DEP_1)
	v_cmp_gt_u32_e64 s11, s21, v3
	s_and_saveexec_b32 s0, s11
	s_cbranch_execz .LBB47_21
; %bb.20:
	global_load_u8 v15, v[1:2], off offset:2304
.LBB47_21:
	s_or_b32 exec_lo, exec_lo, s0
	v_or_b32_e32 v3, 0xa00, v0
                                        ; implicit-def: $vgpr14
	s_delay_alu instid0(VALU_DEP_1) | instskip(NEXT) | instid1(VALU_DEP_1)
	v_cmp_gt_u32_e64 s10, s21, v3
	s_and_saveexec_b32 s0, s10
	s_cbranch_execz .LBB47_23
; %bb.22:
	global_load_u8 v14, v[1:2], off offset:2560
.LBB47_23:
	s_or_b32 exec_lo, exec_lo, s0
	v_or_b32_e32 v3, 0xb00, v0
                                        ; implicit-def: $vgpr13
	s_delay_alu instid0(VALU_DEP_1) | instskip(NEXT) | instid1(VALU_DEP_1)
	v_cmp_gt_u32_e64 s9, s21, v3
	s_and_saveexec_b32 s0, s9
	s_cbranch_execz .LBB47_25
; %bb.24:
	global_load_u8 v13, v[1:2], off offset:2816
.LBB47_25:
	s_or_b32 exec_lo, exec_lo, s0
	v_or_b32_e32 v3, 0xc00, v0
                                        ; implicit-def: $vgpr12
	s_delay_alu instid0(VALU_DEP_1) | instskip(NEXT) | instid1(VALU_DEP_1)
	v_cmp_gt_u32_e64 s8, s21, v3
	s_and_saveexec_b32 s0, s8
	s_cbranch_execz .LBB47_27
; %bb.26:
	global_load_u8 v12, v[1:2], off offset:3072
.LBB47_27:
	s_or_b32 exec_lo, exec_lo, s0
	v_or_b32_e32 v3, 0xd00, v0
                                        ; implicit-def: $vgpr11
	s_delay_alu instid0(VALU_DEP_1) | instskip(NEXT) | instid1(VALU_DEP_1)
	v_cmp_gt_u32_e64 s7, s21, v3
	s_and_saveexec_b32 s0, s7
	s_cbranch_execz .LBB47_29
; %bb.28:
	global_load_u8 v11, v[1:2], off offset:3328
.LBB47_29:
	s_or_b32 exec_lo, exec_lo, s0
	v_or_b32_e32 v3, 0xe00, v0
                                        ; implicit-def: $vgpr10
	s_delay_alu instid0(VALU_DEP_1) | instskip(NEXT) | instid1(VALU_DEP_1)
	v_cmp_gt_u32_e64 s6, s21, v3
	s_and_saveexec_b32 s0, s6
	s_cbranch_execz .LBB47_31
; %bb.30:
	global_load_u8 v10, v[1:2], off offset:3584
.LBB47_31:
	s_or_b32 exec_lo, exec_lo, s0
	v_or_b32_e32 v3, 0xf00, v0
                                        ; implicit-def: $vgpr9
	s_delay_alu instid0(VALU_DEP_1) | instskip(NEXT) | instid1(VALU_DEP_1)
	v_cmp_gt_u32_e64 s5, s21, v3
	s_and_saveexec_b32 s0, s5
	s_cbranch_execz .LBB47_33
; %bb.32:
	global_load_u8 v9, v[1:2], off offset:3840
.LBB47_33:
	s_or_b32 exec_lo, exec_lo, s0
	v_or_b32_e32 v3, 0x1000, v0
                                        ; implicit-def: $vgpr8
	s_delay_alu instid0(VALU_DEP_1) | instskip(NEXT) | instid1(VALU_DEP_1)
	v_cmp_gt_u32_e64 s4, s21, v3
	s_and_saveexec_b32 s0, s4
	s_cbranch_execz .LBB47_35
; %bb.34:
	v_add_co_u32 v3, vcc_lo, 0x1000, v1
	v_add_co_ci_u32_e32 v4, vcc_lo, 0, v2, vcc_lo
	global_load_u8 v8, v[3:4], off
.LBB47_35:
	s_or_b32 exec_lo, exec_lo, s0
	v_or_b32_e32 v3, 0x1100, v0
                                        ; implicit-def: $vgpr7
	s_delay_alu instid0(VALU_DEP_1) | instskip(NEXT) | instid1(VALU_DEP_1)
	v_cmp_gt_u32_e64 s3, s21, v3
	s_and_saveexec_b32 s0, s3
	s_cbranch_execz .LBB47_37
; %bb.36:
	v_add_co_u32 v3, vcc_lo, 0x1000, v1
	v_add_co_ci_u32_e32 v4, vcc_lo, 0, v2, vcc_lo
	global_load_u8 v7, v[3:4], off offset:256
.LBB47_37:
	s_or_b32 exec_lo, exec_lo, s0
	v_or_b32_e32 v3, 0x1200, v0
                                        ; implicit-def: $vgpr6
	s_delay_alu instid0(VALU_DEP_1) | instskip(NEXT) | instid1(VALU_DEP_1)
	v_cmp_gt_u32_e64 s2, s21, v3
	s_and_saveexec_b32 s0, s2
	s_cbranch_execz .LBB47_39
; %bb.38:
	v_add_co_u32 v3, vcc_lo, 0x1000, v1
	v_add_co_ci_u32_e32 v4, vcc_lo, 0, v2, vcc_lo
	global_load_u8 v6, v[3:4], off offset:512
.LBB47_39:
	s_or_b32 exec_lo, exec_lo, s0
	v_or_b32_e32 v3, 0x1300, v0
                                        ; implicit-def: $vgpr5
	s_delay_alu instid0(VALU_DEP_1) | instskip(NEXT) | instid1(VALU_DEP_1)
	v_cmp_gt_u32_e64 s1, s21, v3
	s_and_saveexec_b32 s0, s1
	s_cbranch_execz .LBB47_41
; %bb.40:
	v_add_co_u32 v3, vcc_lo, 0x1000, v1
	v_add_co_ci_u32_e32 v4, vcc_lo, 0, v2, vcc_lo
	global_load_u8 v5, v[3:4], off offset:768
.LBB47_41:
	s_or_b32 exec_lo, exec_lo, s0
	v_or_b32_e32 v3, 0x1400, v0
                                        ; implicit-def: $vgpr4
	s_delay_alu instid0(VALU_DEP_1) | instskip(NEXT) | instid1(VALU_DEP_1)
	v_cmp_gt_u32_e64 s0, s21, v3
	s_and_saveexec_b32 s24, s0
	s_cbranch_execz .LBB47_43
; %bb.42:
	v_add_co_u32 v3, vcc_lo, 0x1000, v1
	v_add_co_ci_u32_e32 v4, vcc_lo, 0, v2, vcc_lo
	global_load_u8 v4, v[3:4], off offset:1024
.LBB47_43:
	s_or_b32 exec_lo, exec_lo, s24
	v_or_b32_e32 v3, 0x1500, v0
	s_delay_alu instid0(VALU_DEP_1)
	v_cmp_gt_u32_e32 vcc_lo, s21, v3
                                        ; implicit-def: $vgpr3
	s_and_saveexec_b32 s24, vcc_lo
	s_cbranch_execz .LBB47_45
; %bb.44:
	v_add_co_u32 v1, s21, 0x1000, v1
	s_delay_alu instid0(VALU_DEP_1)
	v_add_co_ci_u32_e64 v2, s21, 0, v2, s21
	global_load_u8 v3, v[1:2], off offset:1280
.LBB47_45:
	s_or_b32 exec_lo, exec_lo, s24
	v_or_b32_e32 v1, 0xffffff00, v0
	v_dual_mov_b32 v25, 0 :: v_dual_lshlrev_b32 v2, 2, v0
	s_mov_b32 s24, 0
.LBB47_46:                              ; =>This Inner Loop Header: Depth=1
	s_delay_alu instid0(VALU_DEP_2) | instskip(SKIP_3) | instid1(VALU_DEP_1)
	v_add_nc_u32_e32 v1, 0x100, v1
	ds_store_b32 v2, v25
	v_add_nc_u32_e32 v2, 0x400, v2
	v_cmp_lt_u32_e64 s21, 0x2ff, v1
	s_or_b32 s24, s21, s24
	s_delay_alu instid0(SALU_CYCLE_1)
	s_and_not1_b32 exec_lo, exec_lo, s24
	s_cbranch_execnz .LBB47_46
; %bb.47:
	s_or_b32 exec_lo, exec_lo, s24
	s_cmp_gt_u32 s29, s28
	s_waitcnt vmcnt(0) lgkmcnt(0)
	s_cselect_b32 s21, -1, 0
	s_cmp_le_u32 s29, s28
	s_barrier
	buffer_gl0_inv
	s_cbranch_scc1 .LBB47_136
; %bb.48:
	v_and_b32_e32 v1, 3, v0
	v_xor_b32_e32 v2, 0x80, v24
	v_mov_b32_e32 v24, 1
	s_sub_i32 s24, s29, s28
	s_mov_b32 s26, s28
	v_lshlrev_b32_e32 v1, 2, v1
	v_and_b32_e32 v2, 0xff, v2
	s_mov_b32 s25, s24
	s_delay_alu instid0(VALU_DEP_2)
	v_mov_b32_e32 v25, v1
	s_branch .LBB47_50
	.p2align	6
.LBB47_49:                              ;   in Loop: Header=BB47_50 Depth=1
	s_or_b32 exec_lo, exec_lo, s27
	v_add_nc_u32_e32 v25, 0x1000, v25
	s_add_i32 s26, s26, 8
	s_add_i32 s25, s25, -8
	s_cmp_ge_u32 s26, s29
	s_cbranch_scc1 .LBB47_52
.LBB47_50:                              ; =>This Inner Loop Header: Depth=1
	s_and_saveexec_b32 s27, s20
	s_cbranch_execz .LBB47_49
; %bb.51:                               ;   in Loop: Header=BB47_50 Depth=1
	v_lshrrev_b32_e32 v26, s26, v2
	s_min_u32 s33, s25, 8
	s_delay_alu instid0(VALU_DEP_1) | instid1(SALU_CYCLE_1)
	v_bfe_u32 v26, v26, 0, s33
	s_delay_alu instid0(VALU_DEP_1)
	v_lshl_add_u32 v26, v26, 4, v25
	ds_add_u32 v26, v24
	s_branch .LBB47_49
.LBB47_52:
	v_xor_b32_e32 v23, 0x80, v23
	v_mov_b32_e32 v2, 1
	v_mov_b32_e32 v24, v1
	s_mov_b32 s20, s24
	s_mov_b32 s25, s28
	v_and_b32_e32 v23, 0xff, v23
	s_branch .LBB47_54
	.p2align	6
.LBB47_53:                              ;   in Loop: Header=BB47_54 Depth=1
	s_or_b32 exec_lo, exec_lo, s26
	v_add_nc_u32_e32 v24, 0x1000, v24
	s_add_i32 s25, s25, 8
	s_add_i32 s20, s20, -8
	s_cmp_lt_u32 s25, s29
	s_cbranch_scc0 .LBB47_56
.LBB47_54:                              ; =>This Inner Loop Header: Depth=1
	s_and_saveexec_b32 s26, s19
	s_cbranch_execz .LBB47_53
; %bb.55:                               ;   in Loop: Header=BB47_54 Depth=1
	s_delay_alu instid0(VALU_DEP_1)
	v_lshrrev_b32_e32 v25, s25, v23
	s_min_u32 s27, s20, 8
	s_delay_alu instid0(VALU_DEP_1) | instid1(SALU_CYCLE_1)
	v_bfe_u32 v25, v25, 0, s27
	s_delay_alu instid0(VALU_DEP_1)
	v_lshl_add_u32 v25, v25, 4, v24
	ds_add_u32 v25, v2
	s_branch .LBB47_53
.LBB47_56:
	v_xor_b32_e32 v22, 0x80, v22
	v_dual_mov_b32 v2, 1 :: v_dual_mov_b32 v23, v1
	s_mov_b32 s19, s24
	s_mov_b32 s20, s28
	s_delay_alu instid0(VALU_DEP_2)
	v_and_b32_e32 v22, 0xff, v22
	s_branch .LBB47_58
	.p2align	6
.LBB47_57:                              ;   in Loop: Header=BB47_58 Depth=1
	s_or_b32 exec_lo, exec_lo, s25
	v_add_nc_u32_e32 v23, 0x1000, v23
	s_add_i32 s20, s20, 8
	s_add_i32 s19, s19, -8
	s_cmp_lt_u32 s20, s29
	s_cbranch_scc0 .LBB47_60
.LBB47_58:                              ; =>This Inner Loop Header: Depth=1
	s_and_saveexec_b32 s25, s18
	s_cbranch_execz .LBB47_57
; %bb.59:                               ;   in Loop: Header=BB47_58 Depth=1
	s_delay_alu instid0(VALU_DEP_1)
	v_lshrrev_b32_e32 v24, s20, v22
	s_min_u32 s26, s19, 8
	s_delay_alu instid0(VALU_DEP_1) | instid1(SALU_CYCLE_1)
	v_bfe_u32 v24, v24, 0, s26
	s_delay_alu instid0(VALU_DEP_1)
	v_lshl_add_u32 v24, v24, 4, v23
	ds_add_u32 v24, v2
	s_branch .LBB47_57
.LBB47_60:
	v_xor_b32_e32 v21, 0x80, v21
	v_mov_b32_e32 v2, 1
	v_mov_b32_e32 v22, v1
	s_mov_b32 s18, s24
	s_mov_b32 s19, s28
	v_and_b32_e32 v21, 0xff, v21
	s_branch .LBB47_62
	.p2align	6
.LBB47_61:                              ;   in Loop: Header=BB47_62 Depth=1
	s_or_b32 exec_lo, exec_lo, s20
	v_add_nc_u32_e32 v22, 0x1000, v22
	s_add_i32 s19, s19, 8
	s_add_i32 s18, s18, -8
	s_cmp_lt_u32 s19, s29
	s_cbranch_scc0 .LBB47_64
.LBB47_62:                              ; =>This Inner Loop Header: Depth=1
	s_and_saveexec_b32 s20, s17
	s_cbranch_execz .LBB47_61
; %bb.63:                               ;   in Loop: Header=BB47_62 Depth=1
	s_delay_alu instid0(VALU_DEP_1)
	v_lshrrev_b32_e32 v23, s19, v21
	s_min_u32 s25, s18, 8
	s_delay_alu instid0(VALU_DEP_1) | instid1(SALU_CYCLE_1)
	v_bfe_u32 v23, v23, 0, s25
	s_delay_alu instid0(VALU_DEP_1)
	v_lshl_add_u32 v23, v23, 4, v22
	ds_add_u32 v23, v2
	s_branch .LBB47_61
.LBB47_64:
	v_xor_b32_e32 v20, 0x80, v20
	v_dual_mov_b32 v2, 1 :: v_dual_mov_b32 v21, v1
	s_mov_b32 s17, s24
	s_mov_b32 s18, s28
	s_delay_alu instid0(VALU_DEP_2)
	v_and_b32_e32 v20, 0xff, v20
	s_branch .LBB47_66
	.p2align	6
.LBB47_65:                              ;   in Loop: Header=BB47_66 Depth=1
	s_or_b32 exec_lo, exec_lo, s19
	v_add_nc_u32_e32 v21, 0x1000, v21
	s_add_i32 s18, s18, 8
	s_add_i32 s17, s17, -8
	s_cmp_lt_u32 s18, s29
	s_cbranch_scc0 .LBB47_68
.LBB47_66:                              ; =>This Inner Loop Header: Depth=1
	s_and_saveexec_b32 s19, s16
	s_cbranch_execz .LBB47_65
; %bb.67:                               ;   in Loop: Header=BB47_66 Depth=1
	s_delay_alu instid0(VALU_DEP_1)
	v_lshrrev_b32_e32 v22, s18, v20
	s_min_u32 s20, s17, 8
	s_delay_alu instid0(VALU_DEP_1) | instid1(SALU_CYCLE_1)
	v_bfe_u32 v22, v22, 0, s20
	s_delay_alu instid0(VALU_DEP_1)
	v_lshl_add_u32 v22, v22, 4, v21
	ds_add_u32 v22, v2
	s_branch .LBB47_65
.LBB47_68:
	v_xor_b32_e32 v19, 0x80, v19
	v_mov_b32_e32 v2, 1
	v_mov_b32_e32 v20, v1
	s_mov_b32 s16, s24
	s_mov_b32 s17, s28
	v_and_b32_e32 v19, 0xff, v19
	s_branch .LBB47_70
	.p2align	6
.LBB47_69:                              ;   in Loop: Header=BB47_70 Depth=1
	s_or_b32 exec_lo, exec_lo, s18
	v_add_nc_u32_e32 v20, 0x1000, v20
	s_add_i32 s17, s17, 8
	s_add_i32 s16, s16, -8
	s_cmp_lt_u32 s17, s29
	s_cbranch_scc0 .LBB47_72
.LBB47_70:                              ; =>This Inner Loop Header: Depth=1
	s_and_saveexec_b32 s18, s15
	s_cbranch_execz .LBB47_69
; %bb.71:                               ;   in Loop: Header=BB47_70 Depth=1
	s_delay_alu instid0(VALU_DEP_1)
	v_lshrrev_b32_e32 v21, s17, v19
	s_min_u32 s19, s16, 8
	s_delay_alu instid0(VALU_DEP_1) | instid1(SALU_CYCLE_1)
	v_bfe_u32 v21, v21, 0, s19
	s_delay_alu instid0(VALU_DEP_1)
	v_lshl_add_u32 v21, v21, 4, v20
	ds_add_u32 v21, v2
	s_branch .LBB47_69
.LBB47_72:
	v_xor_b32_e32 v18, 0x80, v18
	v_dual_mov_b32 v2, 1 :: v_dual_mov_b32 v19, v1
	s_mov_b32 s15, s24
	s_mov_b32 s16, s28
	s_delay_alu instid0(VALU_DEP_2)
	v_and_b32_e32 v18, 0xff, v18
	s_branch .LBB47_74
	.p2align	6
.LBB47_73:                              ;   in Loop: Header=BB47_74 Depth=1
	s_or_b32 exec_lo, exec_lo, s17
	v_add_nc_u32_e32 v19, 0x1000, v19
	s_add_i32 s16, s16, 8
	s_add_i32 s15, s15, -8
	s_cmp_lt_u32 s16, s29
	s_cbranch_scc0 .LBB47_76
.LBB47_74:                              ; =>This Inner Loop Header: Depth=1
	s_and_saveexec_b32 s17, s14
	s_cbranch_execz .LBB47_73
; %bb.75:                               ;   in Loop: Header=BB47_74 Depth=1
	s_delay_alu instid0(VALU_DEP_1)
	v_lshrrev_b32_e32 v20, s16, v18
	s_min_u32 s18, s15, 8
	s_delay_alu instid0(VALU_DEP_1) | instid1(SALU_CYCLE_1)
	v_bfe_u32 v20, v20, 0, s18
	s_delay_alu instid0(VALU_DEP_1)
	v_lshl_add_u32 v20, v20, 4, v19
	ds_add_u32 v20, v2
	s_branch .LBB47_73
.LBB47_76:
	v_xor_b32_e32 v17, 0x80, v17
	v_mov_b32_e32 v2, 1
	v_mov_b32_e32 v18, v1
	s_mov_b32 s14, s24
	s_mov_b32 s15, s28
	v_and_b32_e32 v17, 0xff, v17
	s_branch .LBB47_78
	.p2align	6
.LBB47_77:                              ;   in Loop: Header=BB47_78 Depth=1
	s_or_b32 exec_lo, exec_lo, s16
	v_add_nc_u32_e32 v18, 0x1000, v18
	s_add_i32 s15, s15, 8
	s_add_i32 s14, s14, -8
	s_cmp_lt_u32 s15, s29
	s_cbranch_scc0 .LBB47_80
.LBB47_78:                              ; =>This Inner Loop Header: Depth=1
	s_and_saveexec_b32 s16, s13
	s_cbranch_execz .LBB47_77
; %bb.79:                               ;   in Loop: Header=BB47_78 Depth=1
	s_delay_alu instid0(VALU_DEP_1)
	v_lshrrev_b32_e32 v19, s15, v17
	s_min_u32 s17, s14, 8
	s_delay_alu instid0(VALU_DEP_1) | instid1(SALU_CYCLE_1)
	v_bfe_u32 v19, v19, 0, s17
	s_delay_alu instid0(VALU_DEP_1)
	v_lshl_add_u32 v19, v19, 4, v18
	ds_add_u32 v19, v2
	s_branch .LBB47_77
.LBB47_80:
	v_xor_b32_e32 v16, 0x80, v16
	v_dual_mov_b32 v2, 1 :: v_dual_mov_b32 v17, v1
	s_mov_b32 s13, s24
	s_mov_b32 s14, s28
	s_delay_alu instid0(VALU_DEP_2)
	v_and_b32_e32 v16, 0xff, v16
	s_branch .LBB47_82
	.p2align	6
.LBB47_81:                              ;   in Loop: Header=BB47_82 Depth=1
	s_or_b32 exec_lo, exec_lo, s15
	v_add_nc_u32_e32 v17, 0x1000, v17
	s_add_i32 s14, s14, 8
	s_add_i32 s13, s13, -8
	s_cmp_lt_u32 s14, s29
	s_cbranch_scc0 .LBB47_84
.LBB47_82:                              ; =>This Inner Loop Header: Depth=1
	s_and_saveexec_b32 s15, s12
	s_cbranch_execz .LBB47_81
; %bb.83:                               ;   in Loop: Header=BB47_82 Depth=1
	s_delay_alu instid0(VALU_DEP_1)
	v_lshrrev_b32_e32 v18, s14, v16
	s_min_u32 s16, s13, 8
	s_delay_alu instid0(VALU_DEP_1) | instid1(SALU_CYCLE_1)
	v_bfe_u32 v18, v18, 0, s16
	s_delay_alu instid0(VALU_DEP_1)
	v_lshl_add_u32 v18, v18, 4, v17
	ds_add_u32 v18, v2
	s_branch .LBB47_81
.LBB47_84:
	v_xor_b32_e32 v15, 0x80, v15
	v_mov_b32_e32 v2, 1
	v_mov_b32_e32 v16, v1
	s_mov_b32 s12, s24
	s_mov_b32 s13, s28
	v_and_b32_e32 v15, 0xff, v15
	s_branch .LBB47_86
	.p2align	6
.LBB47_85:                              ;   in Loop: Header=BB47_86 Depth=1
	s_or_b32 exec_lo, exec_lo, s14
	v_add_nc_u32_e32 v16, 0x1000, v16
	s_add_i32 s13, s13, 8
	s_add_i32 s12, s12, -8
	s_cmp_lt_u32 s13, s29
	s_cbranch_scc0 .LBB47_88
.LBB47_86:                              ; =>This Inner Loop Header: Depth=1
	s_and_saveexec_b32 s14, s11
	s_cbranch_execz .LBB47_85
; %bb.87:                               ;   in Loop: Header=BB47_86 Depth=1
	s_delay_alu instid0(VALU_DEP_1)
	v_lshrrev_b32_e32 v17, s13, v15
	s_min_u32 s15, s12, 8
	s_delay_alu instid0(VALU_DEP_1) | instid1(SALU_CYCLE_1)
	v_bfe_u32 v17, v17, 0, s15
	s_delay_alu instid0(VALU_DEP_1)
	v_lshl_add_u32 v17, v17, 4, v16
	ds_add_u32 v17, v2
	s_branch .LBB47_85
.LBB47_88:
	v_xor_b32_e32 v14, 0x80, v14
	v_dual_mov_b32 v2, 1 :: v_dual_mov_b32 v15, v1
	s_mov_b32 s11, s24
	s_mov_b32 s12, s28
	s_delay_alu instid0(VALU_DEP_2)
	v_and_b32_e32 v14, 0xff, v14
	s_branch .LBB47_90
	.p2align	6
.LBB47_89:                              ;   in Loop: Header=BB47_90 Depth=1
	s_or_b32 exec_lo, exec_lo, s13
	v_add_nc_u32_e32 v15, 0x1000, v15
	s_add_i32 s12, s12, 8
	s_add_i32 s11, s11, -8
	s_cmp_lt_u32 s12, s29
	s_cbranch_scc0 .LBB47_92
.LBB47_90:                              ; =>This Inner Loop Header: Depth=1
	s_and_saveexec_b32 s13, s10
	s_cbranch_execz .LBB47_89
; %bb.91:                               ;   in Loop: Header=BB47_90 Depth=1
	s_delay_alu instid0(VALU_DEP_1)
	v_lshrrev_b32_e32 v16, s12, v14
	s_min_u32 s14, s11, 8
	s_delay_alu instid0(VALU_DEP_1) | instid1(SALU_CYCLE_1)
	v_bfe_u32 v16, v16, 0, s14
	s_delay_alu instid0(VALU_DEP_1)
	v_lshl_add_u32 v16, v16, 4, v15
	ds_add_u32 v16, v2
	s_branch .LBB47_89
.LBB47_92:
	v_xor_b32_e32 v13, 0x80, v13
	v_mov_b32_e32 v2, 1
	v_mov_b32_e32 v14, v1
	s_mov_b32 s10, s24
	s_mov_b32 s11, s28
	v_and_b32_e32 v13, 0xff, v13
	s_branch .LBB47_94
	.p2align	6
.LBB47_93:                              ;   in Loop: Header=BB47_94 Depth=1
	s_or_b32 exec_lo, exec_lo, s12
	v_add_nc_u32_e32 v14, 0x1000, v14
	s_add_i32 s11, s11, 8
	s_add_i32 s10, s10, -8
	s_cmp_lt_u32 s11, s29
	s_cbranch_scc0 .LBB47_96
.LBB47_94:                              ; =>This Inner Loop Header: Depth=1
	s_and_saveexec_b32 s12, s9
	s_cbranch_execz .LBB47_93
; %bb.95:                               ;   in Loop: Header=BB47_94 Depth=1
	s_delay_alu instid0(VALU_DEP_1)
	v_lshrrev_b32_e32 v15, s11, v13
	s_min_u32 s13, s10, 8
	s_delay_alu instid0(VALU_DEP_1) | instid1(SALU_CYCLE_1)
	v_bfe_u32 v15, v15, 0, s13
	s_delay_alu instid0(VALU_DEP_1)
	v_lshl_add_u32 v15, v15, 4, v14
	ds_add_u32 v15, v2
	s_branch .LBB47_93
.LBB47_96:
	v_xor_b32_e32 v12, 0x80, v12
	v_dual_mov_b32 v2, 1 :: v_dual_mov_b32 v13, v1
	s_mov_b32 s9, s24
	s_mov_b32 s10, s28
	s_delay_alu instid0(VALU_DEP_2)
	v_and_b32_e32 v12, 0xff, v12
	s_branch .LBB47_98
	.p2align	6
.LBB47_97:                              ;   in Loop: Header=BB47_98 Depth=1
	s_or_b32 exec_lo, exec_lo, s11
	v_add_nc_u32_e32 v13, 0x1000, v13
	s_add_i32 s10, s10, 8
	s_add_i32 s9, s9, -8
	s_cmp_lt_u32 s10, s29
	s_cbranch_scc0 .LBB47_100
.LBB47_98:                              ; =>This Inner Loop Header: Depth=1
	s_and_saveexec_b32 s11, s8
	s_cbranch_execz .LBB47_97
; %bb.99:                               ;   in Loop: Header=BB47_98 Depth=1
	s_delay_alu instid0(VALU_DEP_1)
	v_lshrrev_b32_e32 v14, s10, v12
	s_min_u32 s12, s9, 8
	s_delay_alu instid0(VALU_DEP_1) | instid1(SALU_CYCLE_1)
	v_bfe_u32 v14, v14, 0, s12
	s_delay_alu instid0(VALU_DEP_1)
	v_lshl_add_u32 v14, v14, 4, v13
	ds_add_u32 v14, v2
	s_branch .LBB47_97
.LBB47_100:
	v_xor_b32_e32 v11, 0x80, v11
	v_mov_b32_e32 v2, 1
	v_mov_b32_e32 v12, v1
	s_mov_b32 s8, s24
	s_mov_b32 s9, s28
	v_and_b32_e32 v11, 0xff, v11
	s_branch .LBB47_102
	.p2align	6
.LBB47_101:                             ;   in Loop: Header=BB47_102 Depth=1
	s_or_b32 exec_lo, exec_lo, s10
	v_add_nc_u32_e32 v12, 0x1000, v12
	s_add_i32 s9, s9, 8
	s_add_i32 s8, s8, -8
	s_cmp_lt_u32 s9, s29
	s_cbranch_scc0 .LBB47_104
.LBB47_102:                             ; =>This Inner Loop Header: Depth=1
	s_and_saveexec_b32 s10, s7
	s_cbranch_execz .LBB47_101
; %bb.103:                              ;   in Loop: Header=BB47_102 Depth=1
	s_delay_alu instid0(VALU_DEP_1)
	v_lshrrev_b32_e32 v13, s9, v11
	s_min_u32 s11, s8, 8
	s_delay_alu instid0(VALU_DEP_1) | instid1(SALU_CYCLE_1)
	v_bfe_u32 v13, v13, 0, s11
	s_delay_alu instid0(VALU_DEP_1)
	v_lshl_add_u32 v13, v13, 4, v12
	ds_add_u32 v13, v2
	s_branch .LBB47_101
.LBB47_104:
	v_xor_b32_e32 v10, 0x80, v10
	v_dual_mov_b32 v2, 1 :: v_dual_mov_b32 v11, v1
	s_mov_b32 s7, s24
	s_mov_b32 s8, s28
	s_delay_alu instid0(VALU_DEP_2)
	v_and_b32_e32 v10, 0xff, v10
	s_branch .LBB47_106
	.p2align	6
.LBB47_105:                             ;   in Loop: Header=BB47_106 Depth=1
	s_or_b32 exec_lo, exec_lo, s9
	v_add_nc_u32_e32 v11, 0x1000, v11
	s_add_i32 s8, s8, 8
	s_add_i32 s7, s7, -8
	s_cmp_lt_u32 s8, s29
	s_cbranch_scc0 .LBB47_108
.LBB47_106:                             ; =>This Inner Loop Header: Depth=1
	s_and_saveexec_b32 s9, s6
	s_cbranch_execz .LBB47_105
; %bb.107:                              ;   in Loop: Header=BB47_106 Depth=1
	s_delay_alu instid0(VALU_DEP_1)
	v_lshrrev_b32_e32 v12, s8, v10
	s_min_u32 s10, s7, 8
	s_delay_alu instid0(VALU_DEP_1) | instid1(SALU_CYCLE_1)
	v_bfe_u32 v12, v12, 0, s10
	s_delay_alu instid0(VALU_DEP_1)
	v_lshl_add_u32 v12, v12, 4, v11
	ds_add_u32 v12, v2
	s_branch .LBB47_105
.LBB47_108:
	v_xor_b32_e32 v9, 0x80, v9
	v_mov_b32_e32 v2, 1
	v_mov_b32_e32 v10, v1
	s_mov_b32 s6, s24
	s_mov_b32 s7, s28
	v_and_b32_e32 v9, 0xff, v9
	s_branch .LBB47_110
	.p2align	6
.LBB47_109:                             ;   in Loop: Header=BB47_110 Depth=1
	s_or_b32 exec_lo, exec_lo, s8
	v_add_nc_u32_e32 v10, 0x1000, v10
	s_add_i32 s7, s7, 8
	s_add_i32 s6, s6, -8
	s_cmp_lt_u32 s7, s29
	s_cbranch_scc0 .LBB47_112
.LBB47_110:                             ; =>This Inner Loop Header: Depth=1
	s_and_saveexec_b32 s8, s5
	s_cbranch_execz .LBB47_109
; %bb.111:                              ;   in Loop: Header=BB47_110 Depth=1
	s_delay_alu instid0(VALU_DEP_1)
	v_lshrrev_b32_e32 v11, s7, v9
	s_min_u32 s9, s6, 8
	s_delay_alu instid0(VALU_DEP_1) | instid1(SALU_CYCLE_1)
	v_bfe_u32 v11, v11, 0, s9
	s_delay_alu instid0(VALU_DEP_1)
	v_lshl_add_u32 v11, v11, 4, v10
	ds_add_u32 v11, v2
	s_branch .LBB47_109
.LBB47_112:
	v_xor_b32_e32 v8, 0x80, v8
	v_dual_mov_b32 v2, 1 :: v_dual_mov_b32 v9, v1
	s_mov_b32 s5, s24
	s_mov_b32 s6, s28
	s_delay_alu instid0(VALU_DEP_2)
	v_and_b32_e32 v8, 0xff, v8
	s_branch .LBB47_114
	.p2align	6
.LBB47_113:                             ;   in Loop: Header=BB47_114 Depth=1
	s_or_b32 exec_lo, exec_lo, s7
	v_add_nc_u32_e32 v9, 0x1000, v9
	s_add_i32 s6, s6, 8
	s_add_i32 s5, s5, -8
	s_cmp_lt_u32 s6, s29
	s_cbranch_scc0 .LBB47_116
.LBB47_114:                             ; =>This Inner Loop Header: Depth=1
	s_and_saveexec_b32 s7, s4
	s_cbranch_execz .LBB47_113
; %bb.115:                              ;   in Loop: Header=BB47_114 Depth=1
	s_delay_alu instid0(VALU_DEP_1)
	v_lshrrev_b32_e32 v10, s6, v8
	s_min_u32 s8, s5, 8
	s_delay_alu instid0(VALU_DEP_1) | instid1(SALU_CYCLE_1)
	v_bfe_u32 v10, v10, 0, s8
	s_delay_alu instid0(VALU_DEP_1)
	v_lshl_add_u32 v10, v10, 4, v9
	ds_add_u32 v10, v2
	s_branch .LBB47_113
.LBB47_116:
	v_xor_b32_e32 v7, 0x80, v7
	v_mov_b32_e32 v2, 1
	v_mov_b32_e32 v8, v1
	s_mov_b32 s4, s24
	s_mov_b32 s5, s28
	v_and_b32_e32 v7, 0xff, v7
	s_branch .LBB47_118
	.p2align	6
.LBB47_117:                             ;   in Loop: Header=BB47_118 Depth=1
	s_or_b32 exec_lo, exec_lo, s6
	v_add_nc_u32_e32 v8, 0x1000, v8
	s_add_i32 s5, s5, 8
	s_add_i32 s4, s4, -8
	s_cmp_lt_u32 s5, s29
	s_cbranch_scc0 .LBB47_120
.LBB47_118:                             ; =>This Inner Loop Header: Depth=1
	s_and_saveexec_b32 s6, s3
	s_cbranch_execz .LBB47_117
; %bb.119:                              ;   in Loop: Header=BB47_118 Depth=1
	s_delay_alu instid0(VALU_DEP_1)
	v_lshrrev_b32_e32 v9, s5, v7
	s_min_u32 s7, s4, 8
	s_delay_alu instid0(VALU_DEP_1) | instid1(SALU_CYCLE_1)
	v_bfe_u32 v9, v9, 0, s7
	s_delay_alu instid0(VALU_DEP_1)
	v_lshl_add_u32 v9, v9, 4, v8
	ds_add_u32 v9, v2
	s_branch .LBB47_117
.LBB47_120:
	v_xor_b32_e32 v6, 0x80, v6
	v_dual_mov_b32 v2, 1 :: v_dual_mov_b32 v7, v1
	s_mov_b32 s3, s24
	s_mov_b32 s4, s28
	s_delay_alu instid0(VALU_DEP_2)
	v_and_b32_e32 v6, 0xff, v6
	s_branch .LBB47_122
	.p2align	6
.LBB47_121:                             ;   in Loop: Header=BB47_122 Depth=1
	s_or_b32 exec_lo, exec_lo, s5
	v_add_nc_u32_e32 v7, 0x1000, v7
	s_add_i32 s4, s4, 8
	s_add_i32 s3, s3, -8
	s_cmp_lt_u32 s4, s29
	s_cbranch_scc0 .LBB47_124
.LBB47_122:                             ; =>This Inner Loop Header: Depth=1
	s_and_saveexec_b32 s5, s2
	s_cbranch_execz .LBB47_121
; %bb.123:                              ;   in Loop: Header=BB47_122 Depth=1
	s_delay_alu instid0(VALU_DEP_1)
	v_lshrrev_b32_e32 v8, s4, v6
	s_min_u32 s6, s3, 8
	s_delay_alu instid0(VALU_DEP_1) | instid1(SALU_CYCLE_1)
	v_bfe_u32 v8, v8, 0, s6
	s_delay_alu instid0(VALU_DEP_1)
	v_lshl_add_u32 v8, v8, 4, v7
	ds_add_u32 v8, v2
	s_branch .LBB47_121
.LBB47_124:
	v_xor_b32_e32 v5, 0x80, v5
	v_mov_b32_e32 v2, 1
	v_mov_b32_e32 v6, v1
	s_mov_b32 s2, s24
	s_mov_b32 s3, s28
	v_and_b32_e32 v5, 0xff, v5
	s_branch .LBB47_126
	.p2align	6
.LBB47_125:                             ;   in Loop: Header=BB47_126 Depth=1
	s_or_b32 exec_lo, exec_lo, s4
	v_add_nc_u32_e32 v6, 0x1000, v6
	s_add_i32 s3, s3, 8
	s_add_i32 s2, s2, -8
	s_cmp_lt_u32 s3, s29
	s_cbranch_scc0 .LBB47_128
.LBB47_126:                             ; =>This Inner Loop Header: Depth=1
	s_and_saveexec_b32 s4, s1
	s_cbranch_execz .LBB47_125
; %bb.127:                              ;   in Loop: Header=BB47_126 Depth=1
	s_delay_alu instid0(VALU_DEP_1)
	v_lshrrev_b32_e32 v7, s3, v5
	s_min_u32 s5, s2, 8
	s_delay_alu instid0(VALU_DEP_1) | instid1(SALU_CYCLE_1)
	v_bfe_u32 v7, v7, 0, s5
	s_delay_alu instid0(VALU_DEP_1)
	v_lshl_add_u32 v7, v7, 4, v6
	ds_add_u32 v7, v2
	s_branch .LBB47_125
.LBB47_128:
	v_xor_b32_e32 v4, 0x80, v4
	v_dual_mov_b32 v2, 1 :: v_dual_mov_b32 v5, v1
	s_mov_b32 s1, s24
	s_mov_b32 s2, s28
	s_delay_alu instid0(VALU_DEP_2)
	v_and_b32_e32 v4, 0xff, v4
	s_branch .LBB47_130
	.p2align	6
.LBB47_129:                             ;   in Loop: Header=BB47_130 Depth=1
	s_or_b32 exec_lo, exec_lo, s3
	v_add_nc_u32_e32 v5, 0x1000, v5
	s_add_i32 s2, s2, 8
	s_add_i32 s1, s1, -8
	s_cmp_lt_u32 s2, s29
	s_cbranch_scc0 .LBB47_132
.LBB47_130:                             ; =>This Inner Loop Header: Depth=1
	s_and_saveexec_b32 s3, s0
	s_cbranch_execz .LBB47_129
; %bb.131:                              ;   in Loop: Header=BB47_130 Depth=1
	s_delay_alu instid0(VALU_DEP_1)
	v_lshrrev_b32_e32 v6, s2, v4
	s_min_u32 s4, s1, 8
	s_delay_alu instid0(VALU_DEP_1) | instid1(SALU_CYCLE_1)
	v_bfe_u32 v6, v6, 0, s4
	s_delay_alu instid0(VALU_DEP_1)
	v_lshl_add_u32 v6, v6, 4, v5
	ds_add_u32 v6, v2
	s_branch .LBB47_129
.LBB47_132:
	v_xor_b32_e32 v2, 0x80, v3
	s_mov_b32 s0, s28
	s_delay_alu instid0(VALU_DEP_1)
	v_dual_mov_b32 v3, 1 :: v_dual_and_b32 v2, 0xff, v2
	s_branch .LBB47_134
	.p2align	6
.LBB47_133:                             ;   in Loop: Header=BB47_134 Depth=1
	s_or_b32 exec_lo, exec_lo, s1
	v_add_nc_u32_e32 v1, 0x1000, v1
	s_add_i32 s0, s0, 8
	s_add_i32 s24, s24, -8
	s_cmp_lt_u32 s0, s29
	s_cbranch_scc0 .LBB47_136
.LBB47_134:                             ; =>This Inner Loop Header: Depth=1
	s_and_saveexec_b32 s1, vcc_lo
	s_cbranch_execz .LBB47_133
; %bb.135:                              ;   in Loop: Header=BB47_134 Depth=1
	s_delay_alu instid0(VALU_DEP_1)
	v_lshrrev_b32_e32 v4, s0, v2
	s_min_u32 s2, s24, 8
	s_delay_alu instid0(VALU_DEP_1) | instid1(SALU_CYCLE_1)
	v_bfe_u32 v4, v4, 0, s2
	s_delay_alu instid0(VALU_DEP_1)
	v_lshl_add_u32 v4, v4, 4, v1
	ds_add_u32 v4, v3
	s_branch .LBB47_133
.LBB47_136:
	s_and_b32 vcc_lo, exec_lo, s21
	s_waitcnt lgkmcnt(0)
	s_barrier
	buffer_gl0_inv
	s_cbranch_vccz .LBB47_141
; %bb.137:
	v_cmp_gt_u32_e32 vcc_lo, 0x100, v0
	v_dual_mov_b32 v2, 0 :: v_dual_lshlrev_b32 v3, 4, v0
	v_mov_b32_e32 v1, v0
	s_mov_b32 s1, s28
	s_set_inst_prefetch_distance 0x1
	s_branch .LBB47_139
	.p2align	6
.LBB47_138:                             ;   in Loop: Header=BB47_139 Depth=1
	s_or_b32 exec_lo, exec_lo, s2
	v_add_nc_u32_e32 v1, 0x100, v1
	v_add_nc_u32_e32 v3, 0x1000, v3
	s_add_i32 s1, s1, 8
	s_delay_alu instid0(SALU_CYCLE_1)
	s_cmp_lt_u32 s1, s29
	s_cbranch_scc0 .LBB47_141
.LBB47_139:                             ; =>This Inner Loop Header: Depth=1
	s_and_saveexec_b32 s2, vcc_lo
	s_cbranch_execz .LBB47_138
; %bb.140:                              ;   in Loop: Header=BB47_139 Depth=1
	ds_load_2addr_b32 v[4:5], v3 offset1:1
	ds_load_2addr_b32 v[6:7], v3 offset0:2 offset1:3
	v_lshlrev_b64 v[8:9], 3, v[1:2]
	s_waitcnt lgkmcnt(1)
	v_add_nc_u32_e32 v10, v5, v4
	s_delay_alu instid0(VALU_DEP_2) | instskip(NEXT) | instid1(VALU_DEP_1)
	v_add_co_u32 v4, s0, s22, v8
	v_add_co_ci_u32_e64 v5, s0, s23, v9, s0
	s_waitcnt lgkmcnt(0)
	s_delay_alu instid0(VALU_DEP_3)
	v_add3_u32 v6, v10, v6, v7
	v_mov_b32_e32 v7, v2
	global_atomic_add_u64 v[4:5], v[6:7], off
	s_branch .LBB47_138
.LBB47_141:
	s_set_inst_prefetch_distance 0x2
	s_mov_b32 s0, 0
.LBB47_142:
	s_delay_alu instid0(SALU_CYCLE_1)
	s_and_b32 vcc_lo, exec_lo, s0
	s_cbranch_vccz .LBB47_202
; %bb.143:
	v_add_co_u32 v1, s0, s30, v0
	s_delay_alu instid0(VALU_DEP_1)
	v_add_co_ci_u32_e64 v2, null, s31, 0, s0
	s_clause 0x8
	global_load_u8 v13, v0, s[30:31] offset:256
	global_load_u8 v14, v0, s[30:31] offset:512
	;; [unrolled: 1-line block ×9, first 2 shown]
	v_add_co_u32 v1, vcc_lo, 0x1000, v1
	v_add_co_ci_u32_e32 v2, vcc_lo, 0, v2, vcc_lo
	s_clause 0xc
	global_load_u8 v22, v0, s[30:31] offset:2560
	global_load_u8 v23, v0, s[30:31] offset:2816
	;; [unrolled: 1-line block ×6, first 2 shown]
	global_load_u8 v12, v[1:2], off
	global_load_u8 v7, v[1:2], off offset:256
	global_load_u8 v8, v[1:2], off offset:512
	;; [unrolled: 1-line block ×4, first 2 shown]
	global_load_u8 v25, v0, s[30:31]
	global_load_u8 v6, v[1:2], off offset:1280
	s_cmp_eq_u32 s28, 0
	v_mov_b32_e32 v1, 0
	s_cselect_b32 s1, -1, 0
	s_cmp_eq_u32 s29, 8
	v_or_b32_e32 v26, 0xffffff00, v0
	s_cselect_b32 s2, -1, 0
	v_lshlrev_b32_e32 v3, 2, v0
	s_and_b32 s1, s1, s2
	s_mov_b32 s0, 0
	s_and_b32 vcc_lo, exec_lo, s1
	s_mov_b32 s1, -1
	s_cbranch_vccnz .LBB47_197
; %bb.144:
	v_or_b32_e32 v2, 0xffffff00, v0
	v_lshlrev_b32_e32 v27, 2, v0
.LBB47_145:                             ; =>This Inner Loop Header: Depth=1
	s_delay_alu instid0(VALU_DEP_2) | instskip(SKIP_4) | instid1(SALU_CYCLE_1)
	v_add_nc_u32_e32 v2, 0x100, v2
	ds_store_b32 v27, v1
	v_add_nc_u32_e32 v27, 0x400, v27
	v_cmp_lt_u32_e32 vcc_lo, 0x2ff, v2
	s_or_b32 s0, vcc_lo, s0
	s_and_not1_b32 exec_lo, exec_lo, s0
	s_cbranch_execnz .LBB47_145
; %bb.146:
	s_or_b32 exec_lo, exec_lo, s0
	s_cmp_gt_u32 s29, s28
	s_waitcnt vmcnt(0) lgkmcnt(0)
	s_waitcnt_vscnt null, 0x0
	s_cselect_b32 s0, -1, 0
	s_cmp_le_u32 s29, s28
	s_barrier
	buffer_gl0_inv
	s_cbranch_scc1 .LBB47_191
; %bb.147:
	v_and_b32_e32 v1, 3, v0
	v_xor_b32_e32 v2, 0x80, v25
	s_sub_i32 s1, s29, s28
	s_mov_b32 s3, s28
	s_mov_b32 s2, s1
	v_lshlrev_b32_e32 v1, 2, v1
	v_dual_mov_b32 v27, 1 :: v_dual_and_b32 v2, 0xff, v2
	s_delay_alu instid0(VALU_DEP_2)
	v_mov_b32_e32 v28, v1
.LBB47_148:                             ; =>This Inner Loop Header: Depth=1
	s_delay_alu instid0(VALU_DEP_2)
	v_lshrrev_b32_e32 v29, s3, v2
	s_min_u32 s4, s2, 8
	s_add_i32 s3, s3, 8
	s_add_i32 s2, s2, -8
	s_cmp_ge_u32 s3, s29
	v_bfe_u32 v29, v29, 0, s4
	s_delay_alu instid0(VALU_DEP_1)
	v_lshl_add_u32 v29, v29, 4, v28
	v_add_nc_u32_e32 v28, 0x1000, v28
	ds_add_u32 v29, v27
	s_cbranch_scc0 .LBB47_148
; %bb.149:
	v_xor_b32_e32 v27, 0x80, v13
	v_mov_b32_e32 v2, 1
	v_mov_b32_e32 v28, v1
	s_mov_b32 s2, s1
	s_mov_b32 s3, s28
	v_and_b32_e32 v27, 0xff, v27
.LBB47_150:                             ; =>This Inner Loop Header: Depth=1
	s_delay_alu instid0(VALU_DEP_1)
	v_lshrrev_b32_e32 v29, s3, v27
	s_min_u32 s4, s2, 8
	s_add_i32 s3, s3, 8
	s_add_i32 s2, s2, -8
	s_cmp_lt_u32 s3, s29
	v_bfe_u32 v29, v29, 0, s4
	s_delay_alu instid0(VALU_DEP_1)
	v_lshl_add_u32 v29, v29, 4, v28
	v_add_nc_u32_e32 v28, 0x1000, v28
	ds_add_u32 v29, v2
	s_cbranch_scc1 .LBB47_150
; %bb.151:
	v_xor_b32_e32 v27, 0x80, v14
	v_mov_b32_e32 v2, 1
	v_mov_b32_e32 v28, v1
	s_mov_b32 s2, s1
	s_mov_b32 s3, s28
	v_and_b32_e32 v27, 0xff, v27
.LBB47_152:                             ; =>This Inner Loop Header: Depth=1
	s_delay_alu instid0(VALU_DEP_1)
	v_lshrrev_b32_e32 v29, s3, v27
	s_min_u32 s4, s2, 8
	s_add_i32 s3, s3, 8
	s_add_i32 s2, s2, -8
	s_cmp_lt_u32 s3, s29
	v_bfe_u32 v29, v29, 0, s4
	s_delay_alu instid0(VALU_DEP_1)
	v_lshl_add_u32 v29, v29, 4, v28
	v_add_nc_u32_e32 v28, 0x1000, v28
	ds_add_u32 v29, v2
	s_cbranch_scc1 .LBB47_152
	;; [unrolled: 20-line block ×20, first 2 shown]
; %bb.189:
	v_xor_b32_e32 v2, 0x80, v6
	s_mov_b32 s2, s28
	s_delay_alu instid0(VALU_DEP_1)
	v_dual_mov_b32 v27, 1 :: v_dual_and_b32 v2, 0xff, v2
.LBB47_190:                             ; =>This Inner Loop Header: Depth=1
	s_delay_alu instid0(VALU_DEP_1)
	v_lshrrev_b32_e32 v28, s2, v2
	s_min_u32 s3, s1, 8
	s_add_i32 s2, s2, 8
	s_add_i32 s1, s1, -8
	s_cmp_lt_u32 s2, s29
	v_bfe_u32 v28, v28, 0, s3
	s_delay_alu instid0(VALU_DEP_1)
	v_lshl_add_u32 v28, v28, 4, v1
	v_add_nc_u32_e32 v1, 0x1000, v1
	ds_add_u32 v28, v27
	s_cbranch_scc1 .LBB47_190
.LBB47_191:
	s_and_b32 vcc_lo, exec_lo, s0
	s_waitcnt lgkmcnt(0)
	s_barrier
	buffer_gl0_inv
	s_cbranch_vccz .LBB47_196
; %bb.192:
	v_cmp_gt_u32_e32 vcc_lo, 0x100, v0
	v_dual_mov_b32 v2, 0 :: v_dual_lshlrev_b32 v27, 4, v0
	v_mov_b32_e32 v1, v0
	s_set_inst_prefetch_distance 0x1
	s_branch .LBB47_194
	.p2align	6
.LBB47_193:                             ;   in Loop: Header=BB47_194 Depth=1
	s_or_b32 exec_lo, exec_lo, s1
	v_add_nc_u32_e32 v1, 0x100, v1
	v_add_nc_u32_e32 v27, 0x1000, v27
	s_add_i32 s28, s28, 8
	s_delay_alu instid0(SALU_CYCLE_1)
	s_cmp_ge_u32 s28, s29
	s_cbranch_scc1 .LBB47_196
.LBB47_194:                             ; =>This Inner Loop Header: Depth=1
	s_and_saveexec_b32 s1, vcc_lo
	s_cbranch_execz .LBB47_193
; %bb.195:                              ;   in Loop: Header=BB47_194 Depth=1
	ds_load_2addr_b32 v[28:29], v27 offset1:1
	ds_load_2addr_b32 v[30:31], v27 offset0:2 offset1:3
	v_lshlrev_b64 v[32:33], 3, v[1:2]
	s_waitcnt lgkmcnt(1)
	v_add_nc_u32_e32 v34, v29, v28
	s_delay_alu instid0(VALU_DEP_2) | instskip(NEXT) | instid1(VALU_DEP_1)
	v_add_co_u32 v28, s0, s22, v32
	v_add_co_ci_u32_e64 v29, s0, s23, v33, s0
	s_waitcnt lgkmcnt(0)
	s_delay_alu instid0(VALU_DEP_3)
	v_add3_u32 v30, v34, v30, v31
	v_mov_b32_e32 v31, v2
	global_atomic_add_u64 v[28:29], v[30:31], off
	s_branch .LBB47_193
.LBB47_196:
	s_set_inst_prefetch_distance 0x2
	s_mov_b32 s1, 0
.LBB47_197:
	s_delay_alu instid0(SALU_CYCLE_1)
	s_and_b32 vcc_lo, exec_lo, s1
	s_cbranch_vccz .LBB47_202
; %bb.198:
	v_dual_mov_b32 v1, 0 :: v_dual_mov_b32 v2, v3
	s_mov_b32 s0, 0
.LBB47_199:                             ; =>This Inner Loop Header: Depth=1
	v_add_nc_u32_e32 v26, 0x100, v26
	ds_store_b32 v2, v1
	v_add_nc_u32_e32 v2, 0x400, v2
	v_cmp_lt_u32_e32 vcc_lo, 0x2ff, v26
	s_or_b32 s0, vcc_lo, s0
	s_delay_alu instid0(SALU_CYCLE_1)
	s_and_not1_b32 exec_lo, exec_lo, s0
	s_cbranch_execnz .LBB47_199
; %bb.200:
	s_or_b32 exec_lo, exec_lo, s0
	s_waitcnt vmcnt(1)
	v_xor_b32_e32 v1, 0x80, v25
	v_xor_b32_e32 v2, 0x80, v13
	;; [unrolled: 1-line block ×13, first 2 shown]
	v_dual_mov_b32 v25, 1 :: v_dual_and_b32 v24, 3, v0
	v_and_b32_e32 v1, 0xff, v1
	v_and_b32_e32 v2, 0xff, v2
	s_waitcnt vmcnt(0) lgkmcnt(0)
	s_waitcnt_vscnt null, 0x0
	v_lshlrev_b32_e32 v24, 2, v24
	s_barrier
	buffer_gl0_inv
	v_xor_b32_e32 v9, 0x80, v9
	v_xor_b32_e32 v10, 0x80, v10
	v_lshl_or_b32 v1, v1, 4, v24
	v_lshl_or_b32 v2, v2, 4, v24
	ds_add_u32 v1, v25
	ds_add_u32 v2, v25
	v_and_b32_e32 v1, 0xff, v13
	v_and_b32_e32 v2, 0xff, v14
	v_and_b32_e32 v13, 0xff, v15
	v_and_b32_e32 v14, 0xff, v16
	v_and_b32_e32 v15, 0xff, v17
	v_lshl_or_b32 v1, v1, 4, v24
	v_lshl_or_b32 v2, v2, 4, v24
	;; [unrolled: 1-line block ×5, first 2 shown]
	ds_add_u32 v1, v25
	ds_add_u32 v2, v25
	;; [unrolled: 1-line block ×5, first 2 shown]
	v_and_b32_e32 v1, 0xff, v18
	v_and_b32_e32 v2, 0xff, v19
	;; [unrolled: 1-line block ×5, first 2 shown]
	v_lshl_or_b32 v1, v1, 4, v24
	v_lshl_or_b32 v2, v2, 4, v24
	;; [unrolled: 1-line block ×3, first 2 shown]
	v_xor_b32_e32 v11, 0x80, v11
	v_lshl_or_b32 v14, v14, 4, v24
	v_xor_b32_e32 v12, 0x80, v12
	v_lshl_or_b32 v15, v15, 4, v24
	ds_add_u32 v1, v25
	ds_add_u32 v2, v25
	;; [unrolled: 1-line block ×5, first 2 shown]
	v_and_b32_e32 v1, 0xff, v23
	v_and_b32_e32 v2, 0xff, v9
	;; [unrolled: 1-line block ×5, first 2 shown]
	v_xor_b32_e32 v7, 0x80, v7
	v_lshl_or_b32 v1, v1, 4, v24
	v_xor_b32_e32 v8, 0x80, v8
	v_lshl_or_b32 v2, v2, 4, v24
	;; [unrolled: 2-line block ×5, first 2 shown]
	ds_add_u32 v1, v25
	ds_add_u32 v2, v25
	;; [unrolled: 1-line block ×5, first 2 shown]
	v_and_b32_e32 v1, 0xff, v7
	v_and_b32_e32 v2, 0xff, v8
	;; [unrolled: 1-line block ×5, first 2 shown]
	v_lshl_or_b32 v1, v1, 4, v24
	v_lshl_or_b32 v2, v2, 4, v24
	;; [unrolled: 1-line block ×5, first 2 shown]
	ds_add_u32 v1, v25
	ds_add_u32 v2, v25
	;; [unrolled: 1-line block ×5, first 2 shown]
	s_waitcnt lgkmcnt(0)
	s_barrier
	buffer_gl0_inv
	s_mov_b32 s0, exec_lo
	v_cmpx_gt_u32_e32 0x100, v0
	s_cbranch_execz .LBB47_202
; %bb.201:
	v_lshlrev_b32_e32 v3, 2, v3
	ds_load_2addr_b32 v[1:2], v3 offset1:1
	ds_load_2addr_b32 v[3:4], v3 offset0:2 offset1:3
	s_waitcnt lgkmcnt(1)
	v_add_nc_u32_e32 v1, v2, v1
	v_lshlrev_b32_e32 v2, 3, v0
	s_waitcnt lgkmcnt(0)
	s_delay_alu instid0(VALU_DEP_2)
	v_add3_u32 v0, v1, v3, v4
	v_mov_b32_e32 v1, 0
	global_atomic_add_u64 v2, v[0:1], s[22:23]
.LBB47_202:
	s_nop 0
	s_sendmsg sendmsg(MSG_DEALLOC_VGPRS)
	s_endpgm
	.section	.rodata,"a",@progbits
	.p2align	6, 0x0
	.amdhsa_kernel _ZN7rocprim17ROCPRIM_304000_NS6detail26onesweep_histograms_kernelINS1_34wrapped_radix_sort_onesweep_configINS0_14default_configEaN2at4cuda3cub6detail10OpaqueTypeILi8EEEEELb0EPKamNS0_19identity_decomposerEEEvT1_PT2_SG_SG_T3_jj
		.amdhsa_group_segment_fixed_size 4096
		.amdhsa_private_segment_fixed_size 0
		.amdhsa_kernarg_size 44
		.amdhsa_user_sgpr_count 15
		.amdhsa_user_sgpr_dispatch_ptr 0
		.amdhsa_user_sgpr_queue_ptr 0
		.amdhsa_user_sgpr_kernarg_segment_ptr 1
		.amdhsa_user_sgpr_dispatch_id 0
		.amdhsa_user_sgpr_private_segment_size 0
		.amdhsa_wavefront_size32 1
		.amdhsa_uses_dynamic_stack 0
		.amdhsa_enable_private_segment 0
		.amdhsa_system_sgpr_workgroup_id_x 1
		.amdhsa_system_sgpr_workgroup_id_y 0
		.amdhsa_system_sgpr_workgroup_id_z 0
		.amdhsa_system_sgpr_workgroup_info 0
		.amdhsa_system_vgpr_workitem_id 0
		.amdhsa_next_free_vgpr 35
		.amdhsa_next_free_sgpr 34
		.amdhsa_reserve_vcc 1
		.amdhsa_float_round_mode_32 0
		.amdhsa_float_round_mode_16_64 0
		.amdhsa_float_denorm_mode_32 3
		.amdhsa_float_denorm_mode_16_64 3
		.amdhsa_dx10_clamp 1
		.amdhsa_ieee_mode 1
		.amdhsa_fp16_overflow 0
		.amdhsa_workgroup_processor_mode 1
		.amdhsa_memory_ordered 1
		.amdhsa_forward_progress 0
		.amdhsa_shared_vgpr_count 0
		.amdhsa_exception_fp_ieee_invalid_op 0
		.amdhsa_exception_fp_denorm_src 0
		.amdhsa_exception_fp_ieee_div_zero 0
		.amdhsa_exception_fp_ieee_overflow 0
		.amdhsa_exception_fp_ieee_underflow 0
		.amdhsa_exception_fp_ieee_inexact 0
		.amdhsa_exception_int_div_zero 0
	.end_amdhsa_kernel
	.section	.text._ZN7rocprim17ROCPRIM_304000_NS6detail26onesweep_histograms_kernelINS1_34wrapped_radix_sort_onesweep_configINS0_14default_configEaN2at4cuda3cub6detail10OpaqueTypeILi8EEEEELb0EPKamNS0_19identity_decomposerEEEvT1_PT2_SG_SG_T3_jj,"axG",@progbits,_ZN7rocprim17ROCPRIM_304000_NS6detail26onesweep_histograms_kernelINS1_34wrapped_radix_sort_onesweep_configINS0_14default_configEaN2at4cuda3cub6detail10OpaqueTypeILi8EEEEELb0EPKamNS0_19identity_decomposerEEEvT1_PT2_SG_SG_T3_jj,comdat
.Lfunc_end47:
	.size	_ZN7rocprim17ROCPRIM_304000_NS6detail26onesweep_histograms_kernelINS1_34wrapped_radix_sort_onesweep_configINS0_14default_configEaN2at4cuda3cub6detail10OpaqueTypeILi8EEEEELb0EPKamNS0_19identity_decomposerEEEvT1_PT2_SG_SG_T3_jj, .Lfunc_end47-_ZN7rocprim17ROCPRIM_304000_NS6detail26onesweep_histograms_kernelINS1_34wrapped_radix_sort_onesweep_configINS0_14default_configEaN2at4cuda3cub6detail10OpaqueTypeILi8EEEEELb0EPKamNS0_19identity_decomposerEEEvT1_PT2_SG_SG_T3_jj
                                        ; -- End function
	.section	.AMDGPU.csdata,"",@progbits
; Kernel info:
; codeLenInByte = 7688
; NumSgprs: 36
; NumVgprs: 35
; ScratchSize: 0
; MemoryBound: 0
; FloatMode: 240
; IeeeMode: 1
; LDSByteSize: 4096 bytes/workgroup (compile time only)
; SGPRBlocks: 4
; VGPRBlocks: 4
; NumSGPRsForWavesPerEU: 36
; NumVGPRsForWavesPerEU: 35
; Occupancy: 16
; WaveLimiterHint : 1
; COMPUTE_PGM_RSRC2:SCRATCH_EN: 0
; COMPUTE_PGM_RSRC2:USER_SGPR: 15
; COMPUTE_PGM_RSRC2:TRAP_HANDLER: 0
; COMPUTE_PGM_RSRC2:TGID_X_EN: 1
; COMPUTE_PGM_RSRC2:TGID_Y_EN: 0
; COMPUTE_PGM_RSRC2:TGID_Z_EN: 0
; COMPUTE_PGM_RSRC2:TIDIG_COMP_CNT: 0
	.section	.text._ZN7rocprim17ROCPRIM_304000_NS6detail25onesweep_iteration_kernelINS1_34wrapped_radix_sort_onesweep_configINS0_14default_configEaN2at4cuda3cub6detail10OpaqueTypeILi8EEEEELb0EPKaPaPKSA_PSA_mNS0_19identity_decomposerEEEvT1_T2_T3_T4_jPT5_SO_PNS1_23onesweep_lookback_stateET6_jjj,"axG",@progbits,_ZN7rocprim17ROCPRIM_304000_NS6detail25onesweep_iteration_kernelINS1_34wrapped_radix_sort_onesweep_configINS0_14default_configEaN2at4cuda3cub6detail10OpaqueTypeILi8EEEEELb0EPKaPaPKSA_PSA_mNS0_19identity_decomposerEEEvT1_T2_T3_T4_jPT5_SO_PNS1_23onesweep_lookback_stateET6_jjj,comdat
	.protected	_ZN7rocprim17ROCPRIM_304000_NS6detail25onesweep_iteration_kernelINS1_34wrapped_radix_sort_onesweep_configINS0_14default_configEaN2at4cuda3cub6detail10OpaqueTypeILi8EEEEELb0EPKaPaPKSA_PSA_mNS0_19identity_decomposerEEEvT1_T2_T3_T4_jPT5_SO_PNS1_23onesweep_lookback_stateET6_jjj ; -- Begin function _ZN7rocprim17ROCPRIM_304000_NS6detail25onesweep_iteration_kernelINS1_34wrapped_radix_sort_onesweep_configINS0_14default_configEaN2at4cuda3cub6detail10OpaqueTypeILi8EEEEELb0EPKaPaPKSA_PSA_mNS0_19identity_decomposerEEEvT1_T2_T3_T4_jPT5_SO_PNS1_23onesweep_lookback_stateET6_jjj
	.globl	_ZN7rocprim17ROCPRIM_304000_NS6detail25onesweep_iteration_kernelINS1_34wrapped_radix_sort_onesweep_configINS0_14default_configEaN2at4cuda3cub6detail10OpaqueTypeILi8EEEEELb0EPKaPaPKSA_PSA_mNS0_19identity_decomposerEEEvT1_T2_T3_T4_jPT5_SO_PNS1_23onesweep_lookback_stateET6_jjj
	.p2align	8
	.type	_ZN7rocprim17ROCPRIM_304000_NS6detail25onesweep_iteration_kernelINS1_34wrapped_radix_sort_onesweep_configINS0_14default_configEaN2at4cuda3cub6detail10OpaqueTypeILi8EEEEELb0EPKaPaPKSA_PSA_mNS0_19identity_decomposerEEEvT1_T2_T3_T4_jPT5_SO_PNS1_23onesweep_lookback_stateET6_jjj,@function
_ZN7rocprim17ROCPRIM_304000_NS6detail25onesweep_iteration_kernelINS1_34wrapped_radix_sort_onesweep_configINS0_14default_configEaN2at4cuda3cub6detail10OpaqueTypeILi8EEEEELb0EPKaPaPKSA_PSA_mNS0_19identity_decomposerEEEvT1_T2_T3_T4_jPT5_SO_PNS1_23onesweep_lookback_stateET6_jjj: ; @_ZN7rocprim17ROCPRIM_304000_NS6detail25onesweep_iteration_kernelINS1_34wrapped_radix_sort_onesweep_configINS0_14default_configEaN2at4cuda3cub6detail10OpaqueTypeILi8EEEEELb0EPKaPaPKSA_PSA_mNS0_19identity_decomposerEEEvT1_T2_T3_T4_jPT5_SO_PNS1_23onesweep_lookback_stateET6_jjj
; %bb.0:
	s_clause 0x3
	s_load_b128 s[60:63], s[0:1], 0x44
	s_load_b256 s[48:55], s[0:1], 0x0
	s_load_b128 s[56:59], s[0:1], 0x28
	s_load_b64 s[66:67], s[0:1], 0x38
	v_and_b32_e32 v1, 0x3ff, v0
	v_mbcnt_lo_u32_b32 v51, -1, 0
	s_waitcnt lgkmcnt(0)
	s_mov_b32 s63, s15
	s_mul_i32 s64, s15, 0x1600
	s_cmp_ge_u32 s15, s62
	s_cbranch_scc0 .LBB48_218
; %bb.1:
	s_load_b32 s2, s[0:1], 0x20
	v_and_b32_e32 v11, 0xe0, v1
	s_mul_i32 s47, s62, 0xffffea00
	v_dual_mov_b32 v13, 0x7f :: v_dual_mov_b32 v12, 0x7f
	s_mov_b32 s65, 0
	s_delay_alu instid0(VALU_DEP_2) | instskip(NEXT) | instid1(VALU_DEP_1)
	v_mul_u32_u24_e32 v10, 22, v11
	v_or_b32_e32 v14, v51, v10
	s_waitcnt lgkmcnt(0)
	s_add_i32 s47, s47, s2
	s_add_u32 s2, s48, s64
	s_addc_u32 s3, s49, 0
	v_add_co_u32 v2, s2, s2, v51
	s_delay_alu instid0(VALU_DEP_1) | instskip(SKIP_1) | instid1(VALU_DEP_3)
	v_add_co_ci_u32_e64 v3, null, s3, 0, s2
	v_cmp_gt_u32_e32 vcc_lo, s47, v14
	v_add_co_u32 v2, s2, v2, v10
	s_delay_alu instid0(VALU_DEP_1)
	v_add_co_ci_u32_e64 v3, s2, 0, v3, s2
	s_and_saveexec_b32 s2, vcc_lo
	s_cbranch_execz .LBB48_3
; %bb.2:
	global_load_u8 v12, v[2:3], off
.LBB48_3:
	s_or_b32 exec_lo, exec_lo, s2
	v_add_nc_u32_e32 v4, 32, v14
	s_delay_alu instid0(VALU_DEP_1) | instskip(NEXT) | instid1(VALU_DEP_1)
	v_cmp_gt_u32_e64 s2, s47, v4
	s_and_saveexec_b32 s3, s2
	s_cbranch_execz .LBB48_5
; %bb.4:
	global_load_u8 v13, v[2:3], off offset:32
.LBB48_5:
	s_or_b32 exec_lo, exec_lo, s3
	v_dual_mov_b32 v21, 0x7f :: v_dual_add_nc_u32 v4, 64, v14
	v_mov_b32_e32 v17, 0x7f
	s_delay_alu instid0(VALU_DEP_2) | instskip(NEXT) | instid1(VALU_DEP_1)
	v_cmp_gt_u32_e64 s3, s47, v4
	s_and_saveexec_b32 s4, s3
	s_cbranch_execz .LBB48_7
; %bb.6:
	global_load_u8 v17, v[2:3], off offset:64
.LBB48_7:
	s_or_b32 exec_lo, exec_lo, s4
	v_add_nc_u32_e32 v4, 0x60, v14
	s_delay_alu instid0(VALU_DEP_1) | instskip(NEXT) | instid1(VALU_DEP_1)
	v_cmp_gt_u32_e64 s4, s47, v4
	s_and_saveexec_b32 s5, s4
	s_cbranch_execz .LBB48_9
; %bb.8:
	global_load_u8 v21, v[2:3], off offset:96
.LBB48_9:
	s_or_b32 exec_lo, exec_lo, s5
	v_add_nc_u32_e32 v4, 0x80, v14
	v_mov_b32_e32 v29, 0x7f
	v_mov_b32_e32 v25, 0x7f
	s_delay_alu instid0(VALU_DEP_3) | instskip(NEXT) | instid1(VALU_DEP_1)
	v_cmp_gt_u32_e64 s5, s47, v4
	s_and_saveexec_b32 s6, s5
	s_cbranch_execz .LBB48_11
; %bb.10:
	global_load_u8 v25, v[2:3], off offset:128
.LBB48_11:
	s_or_b32 exec_lo, exec_lo, s6
	v_add_nc_u32_e32 v4, 0xa0, v14
	s_delay_alu instid0(VALU_DEP_1) | instskip(NEXT) | instid1(VALU_DEP_1)
	v_cmp_gt_u32_e64 s6, s47, v4
	s_and_saveexec_b32 s7, s6
	s_cbranch_execz .LBB48_13
; %bb.12:
	global_load_u8 v29, v[2:3], off offset:160
.LBB48_13:
	s_or_b32 exec_lo, exec_lo, s7
	v_add_nc_u32_e32 v4, 0xc0, v14
	v_mov_b32_e32 v37, 0x7f
	v_mov_b32_e32 v33, 0x7f
	s_delay_alu instid0(VALU_DEP_3) | instskip(NEXT) | instid1(VALU_DEP_1)
	v_cmp_gt_u32_e64 s7, s47, v4
	s_and_saveexec_b32 s8, s7
	s_cbranch_execz .LBB48_15
; %bb.14:
	global_load_u8 v33, v[2:3], off offset:192
.LBB48_15:
	s_or_b32 exec_lo, exec_lo, s8
	v_add_nc_u32_e32 v4, 0xe0, v14
	s_delay_alu instid0(VALU_DEP_1) | instskip(NEXT) | instid1(VALU_DEP_1)
	v_cmp_gt_u32_e64 s8, s47, v4
	s_and_saveexec_b32 s9, s8
	s_cbranch_execz .LBB48_17
; %bb.16:
	global_load_u8 v37, v[2:3], off offset:224
.LBB48_17:
	s_or_b32 exec_lo, exec_lo, s9
	v_add_nc_u32_e32 v4, 0x100, v14
	v_dual_mov_b32 v47, 0x7f :: v_dual_mov_b32 v42, 0x7f
	s_delay_alu instid0(VALU_DEP_2) | instskip(NEXT) | instid1(VALU_DEP_1)
	v_cmp_gt_u32_e64 s9, s47, v4
	s_and_saveexec_b32 s10, s9
	s_cbranch_execz .LBB48_19
; %bb.18:
	global_load_u8 v42, v[2:3], off offset:256
.LBB48_19:
	s_or_b32 exec_lo, exec_lo, s10
	v_add_nc_u32_e32 v4, 0x120, v14
	s_delay_alu instid0(VALU_DEP_1) | instskip(NEXT) | instid1(VALU_DEP_1)
	v_cmp_gt_u32_e64 s10, s47, v4
	s_and_saveexec_b32 s11, s10
	s_cbranch_execz .LBB48_21
; %bb.20:
	global_load_u8 v47, v[2:3], off offset:288
.LBB48_21:
	s_or_b32 exec_lo, exec_lo, s11
	v_add_nc_u32_e32 v4, 0x140, v14
	v_dual_mov_b32 v58, 0x7f :: v_dual_mov_b32 v53, 0x7f
	s_delay_alu instid0(VALU_DEP_2) | instskip(NEXT) | instid1(VALU_DEP_1)
	v_cmp_gt_u32_e64 s11, s47, v4
	s_and_saveexec_b32 s12, s11
	s_cbranch_execz .LBB48_23
; %bb.22:
	global_load_u8 v53, v[2:3], off offset:320
.LBB48_23:
	s_or_b32 exec_lo, exec_lo, s12
	v_add_nc_u32_e32 v4, 0x160, v14
	s_delay_alu instid0(VALU_DEP_1) | instskip(NEXT) | instid1(VALU_DEP_1)
	v_cmp_gt_u32_e64 s12, s47, v4
	s_and_saveexec_b32 s13, s12
	s_cbranch_execz .LBB48_25
; %bb.24:
	global_load_u8 v58, v[2:3], off offset:352
.LBB48_25:
	s_or_b32 exec_lo, exec_lo, s13
	v_add_nc_u32_e32 v4, 0x180, v14
	v_mov_b32_e32 v50, 0x7f
	v_mov_b32_e32 v56, 0x7f
	s_delay_alu instid0(VALU_DEP_3) | instskip(NEXT) | instid1(VALU_DEP_1)
	v_cmp_gt_u32_e64 s13, s47, v4
	s_and_saveexec_b32 s14, s13
	s_cbranch_execz .LBB48_27
; %bb.26:
	global_load_u8 v56, v[2:3], off offset:384
.LBB48_27:
	s_or_b32 exec_lo, exec_lo, s14
	v_add_nc_u32_e32 v4, 0x1a0, v14
	s_delay_alu instid0(VALU_DEP_1) | instskip(NEXT) | instid1(VALU_DEP_1)
	v_cmp_gt_u32_e64 s14, s47, v4
	s_and_saveexec_b32 s16, s14
	s_cbranch_execz .LBB48_29
; %bb.28:
	global_load_u8 v50, v[2:3], off offset:416
.LBB48_29:
	s_or_b32 exec_lo, exec_lo, s16
	v_add_nc_u32_e32 v4, 0x1c0, v14
	v_dual_mov_b32 v41, 0x7f :: v_dual_mov_b32 v46, 0x7f
	s_delay_alu instid0(VALU_DEP_2) | instskip(NEXT) | instid1(VALU_DEP_1)
	v_cmp_gt_u32_e64 s16, s47, v4
	s_and_saveexec_b32 s17, s16
	s_cbranch_execz .LBB48_31
; %bb.30:
	global_load_u8 v46, v[2:3], off offset:448
.LBB48_31:
	s_or_b32 exec_lo, exec_lo, s17
	v_add_nc_u32_e32 v4, 0x1e0, v14
	s_delay_alu instid0(VALU_DEP_1) | instskip(NEXT) | instid1(VALU_DEP_1)
	v_cmp_gt_u32_e64 s18, s47, v4
	s_and_saveexec_b32 s17, s18
	s_cbranch_execz .LBB48_33
; %bb.32:
	global_load_u8 v41, v[2:3], off offset:480
.LBB48_33:
	s_or_b32 exec_lo, exec_lo, s17
	v_add_nc_u32_e32 v4, 0x200, v14
	v_dual_mov_b32 v8, 0x7f :: v_dual_mov_b32 v9, 0x7f
	s_delay_alu instid0(VALU_DEP_2) | instskip(NEXT) | instid1(VALU_DEP_1)
	v_cmp_gt_u32_e64 s23, s47, v4
	s_and_saveexec_b32 s17, s23
	s_cbranch_execz .LBB48_35
; %bb.34:
	global_load_u8 v9, v[2:3], off offset:512
.LBB48_35:
	s_or_b32 exec_lo, exec_lo, s17
	v_add_nc_u32_e32 v4, 0x220, v14
	s_delay_alu instid0(VALU_DEP_1) | instskip(NEXT) | instid1(VALU_DEP_1)
	v_cmp_gt_u32_e64 s21, s47, v4
	s_and_saveexec_b32 s17, s21
	s_cbranch_execz .LBB48_37
; %bb.36:
	global_load_u8 v8, v[2:3], off offset:544
.LBB48_37:
	s_or_b32 exec_lo, exec_lo, s17
	v_add_nc_u32_e32 v4, 0x240, v14
	v_dual_mov_b32 v6, 0x7f :: v_dual_mov_b32 v7, 0x7f
	s_delay_alu instid0(VALU_DEP_2) | instskip(NEXT) | instid1(VALU_DEP_1)
	v_cmp_gt_u32_e64 s22, s47, v4
	s_and_saveexec_b32 s17, s22
	s_cbranch_execz .LBB48_39
; %bb.38:
	global_load_u8 v7, v[2:3], off offset:576
.LBB48_39:
	s_or_b32 exec_lo, exec_lo, s17
	v_add_nc_u32_e32 v4, 0x260, v14
	s_delay_alu instid0(VALU_DEP_1) | instskip(NEXT) | instid1(VALU_DEP_1)
	v_cmp_gt_u32_e64 s19, s47, v4
	s_and_saveexec_b32 s17, s19
	s_cbranch_execz .LBB48_41
; %bb.40:
	global_load_u8 v6, v[2:3], off offset:608
.LBB48_41:
	s_or_b32 exec_lo, exec_lo, s17
	v_add_nc_u32_e32 v5, 0x280, v14
	v_mov_b32_e32 v4, 0x7f
	s_delay_alu instid0(VALU_DEP_2) | instskip(SKIP_1) | instid1(VALU_DEP_2)
	v_cmp_gt_u32_e64 s20, s47, v5
	v_mov_b32_e32 v5, 0x7f
	s_and_saveexec_b32 s17, s20
	s_cbranch_execz .LBB48_43
; %bb.42:
	global_load_u8 v5, v[2:3], off offset:640
.LBB48_43:
	s_or_b32 exec_lo, exec_lo, s17
	v_add_nc_u32_e32 v14, 0x2a0, v14
	s_delay_alu instid0(VALU_DEP_1) | instskip(NEXT) | instid1(VALU_DEP_1)
	v_cmp_gt_u32_e64 s17, s47, v14
	s_and_saveexec_b32 s24, s17
	s_cbranch_execz .LBB48_45
; %bb.44:
	global_load_u8 v4, v[2:3], off offset:672
.LBB48_45:
	s_or_b32 exec_lo, exec_lo, s24
	s_clause 0x1
	s_load_b32 s24, s[0:1], 0x5c
	s_load_b32 s62, s[0:1], 0x50
	s_add_u32 s25, s0, 0x50
	s_addc_u32 s26, s1, 0
	v_mov_b32_e32 v16, 0
	s_waitcnt vmcnt(0)
	v_xor_b32_e32 v12, 0xffffff80, v12
	s_delay_alu instid0(VALU_DEP_1) | instskip(NEXT) | instid1(VALU_DEP_1)
	v_and_b32_e32 v2, 0xff, v12
	v_lshrrev_b32_e32 v2, s60, v2
	s_waitcnt lgkmcnt(0)
	s_lshr_b32 s27, s24, 16
	s_cmp_lt_u32 s15, s62
	s_cselect_b32 s24, 12, 18
	s_delay_alu instid0(SALU_CYCLE_1) | instskip(SKIP_3) | instid1(SALU_CYCLE_1)
	s_add_u32 s24, s25, s24
	s_addc_u32 s25, s26, 0
	global_load_u16 v14, v16, s[24:25]
	s_lshl_b32 s24, -1, s61
	s_not_b32 s68, s24
	s_delay_alu instid0(SALU_CYCLE_1) | instskip(SKIP_1) | instid1(VALU_DEP_2)
	v_and_b32_e32 v18, s68, v2
	v_bfe_u32 v2, v0, 10, 10
	v_and_b32_e32 v3, 1, v18
	v_lshlrev_b32_e32 v15, 30, v18
	v_lshlrev_b32_e32 v19, 29, v18
	;; [unrolled: 1-line block ×4, first 2 shown]
	v_add_co_u32 v3, s24, v3, -1
	s_delay_alu instid0(VALU_DEP_1)
	v_cndmask_b32_e64 v22, 0, 1, s24
	v_not_b32_e32 v27, v15
	v_cmp_gt_i32_e64 s25, 0, v15
	v_not_b32_e32 v15, v19
	v_lshlrev_b32_e32 v24, 26, v18
	v_cmp_ne_u32_e64 s24, 0, v22
	v_ashrrev_i32_e32 v27, 31, v27
	v_lshlrev_b32_e32 v26, 25, v18
	v_ashrrev_i32_e32 v15, 31, v15
	v_lshlrev_b32_e32 v22, 24, v18
	v_xor_b32_e32 v3, s24, v3
	v_cmp_gt_i32_e64 s24, 0, v19
	v_not_b32_e32 v19, v20
	v_xor_b32_e32 v27, s25, v27
	v_cmp_gt_i32_e64 s25, 0, v20
	v_and_b32_e32 v3, exec_lo, v3
	v_not_b32_e32 v20, v23
	v_ashrrev_i32_e32 v19, 31, v19
	v_xor_b32_e32 v15, s24, v15
	v_cmp_gt_i32_e64 s24, 0, v23
	v_and_b32_e32 v3, v3, v27
	v_not_b32_e32 v23, v24
	v_ashrrev_i32_e32 v20, 31, v20
	v_xor_b32_e32 v19, s25, v19
	v_cmp_gt_i32_e64 s25, 0, v24
	v_and_b32_e32 v3, v3, v15
	v_not_b32_e32 v15, v26
	v_ashrrev_i32_e32 v23, 31, v23
	v_xor_b32_e32 v20, s24, v20
	v_cmp_gt_i32_e64 s24, 0, v26
	v_and_b32_e32 v3, v3, v19
	v_not_b32_e32 v19, v22
	v_ashrrev_i32_e32 v15, 31, v15
	v_xor_b32_e32 v23, s25, v23
	v_cmp_gt_i32_e64 s25, 0, v22
	v_and_b32_e32 v3, v3, v20
	v_bfe_u32 v20, v0, 20, 10
	v_ashrrev_i32_e32 v19, 31, v19
	v_xor_b32_e32 v15, s24, v15
	v_mul_u32_u24_e32 v22, 9, v1
	v_and_b32_e32 v3, v3, v23
	v_mad_u32_u24 v20, v20, s27, v2
	v_xor_b32_e32 v19, s25, v19
	s_delay_alu instid0(VALU_DEP_3)
	v_and_b32_e32 v23, v3, v15
	v_lshlrev_b32_e32 v15, 2, v22
	ds_store_2addr_b32 v15, v16, v16 offset0:8 offset1:9
	ds_store_2addr_b32 v15, v16, v16 offset0:10 offset1:11
	ds_store_2addr_b32 v15, v16, v16 offset0:12 offset1:13
	ds_store_2addr_b32 v15, v16, v16 offset0:14 offset1:15
	ds_store_b32 v15, v16 offset:64
	v_mul_u32_u24_e32 v16, 9, v18
	s_waitcnt vmcnt(0) lgkmcnt(0)
	s_barrier
	buffer_gl0_inv
	; wave barrier
	v_mad_u64_u32 v[2:3], null, v20, v14, v[1:2]
	v_and_b32_e32 v3, v23, v19
	s_delay_alu instid0(VALU_DEP_1) | instskip(NEXT) | instid1(VALU_DEP_3)
	v_mbcnt_lo_u32_b32 v14, v3, 0
	v_lshrrev_b32_e32 v2, 5, v2
	v_cmp_ne_u32_e64 s25, 0, v3
	s_delay_alu instid0(VALU_DEP_3) | instskip(NEXT) | instid1(VALU_DEP_3)
	v_cmp_eq_u32_e64 s24, 0, v14
	v_add_lshl_u32 v16, v2, v16, 2
	s_delay_alu instid0(VALU_DEP_2) | instskip(NEXT) | instid1(SALU_CYCLE_1)
	s_and_b32 s25, s25, s24
	s_and_saveexec_b32 s24, s25
	s_cbranch_execz .LBB48_47
; %bb.46:
	v_bcnt_u32_b32 v3, v3, 0
	ds_store_b32 v16, v3 offset:32
.LBB48_47:
	s_or_b32 exec_lo, exec_lo, s24
	v_xor_b32_e32 v13, 0xffffff80, v13
	; wave barrier
	s_delay_alu instid0(VALU_DEP_1) | instskip(NEXT) | instid1(VALU_DEP_1)
	v_and_b32_e32 v3, 0xff, v13
	v_lshrrev_b32_e32 v3, s60, v3
	s_delay_alu instid0(VALU_DEP_1) | instskip(NEXT) | instid1(VALU_DEP_1)
	v_and_b32_e32 v3, s68, v3
	v_and_b32_e32 v18, 1, v3
	v_lshlrev_b32_e32 v19, 30, v3
	v_lshlrev_b32_e32 v20, 29, v3
	;; [unrolled: 1-line block ×4, first 2 shown]
	v_add_co_u32 v18, s24, v18, -1
	s_delay_alu instid0(VALU_DEP_1)
	v_cndmask_b32_e64 v23, 0, 1, s24
	v_not_b32_e32 v28, v19
	v_cmp_gt_i32_e64 s25, 0, v19
	v_not_b32_e32 v19, v20
	v_lshlrev_b32_e32 v26, 26, v3
	v_cmp_ne_u32_e64 s24, 0, v23
	v_ashrrev_i32_e32 v28, 31, v28
	v_lshlrev_b32_e32 v27, 25, v3
	v_ashrrev_i32_e32 v19, 31, v19
	v_lshlrev_b32_e32 v23, 24, v3
	v_xor_b32_e32 v18, s24, v18
	v_cmp_gt_i32_e64 s24, 0, v20
	v_not_b32_e32 v20, v22
	v_xor_b32_e32 v28, s25, v28
	v_cmp_gt_i32_e64 s25, 0, v22
	v_and_b32_e32 v18, exec_lo, v18
	v_not_b32_e32 v22, v24
	v_ashrrev_i32_e32 v20, 31, v20
	v_xor_b32_e32 v19, s24, v19
	v_cmp_gt_i32_e64 s24, 0, v24
	v_and_b32_e32 v18, v18, v28
	v_not_b32_e32 v24, v26
	v_ashrrev_i32_e32 v22, 31, v22
	v_xor_b32_e32 v20, s25, v20
	v_cmp_gt_i32_e64 s25, 0, v26
	v_and_b32_e32 v18, v18, v19
	;; [unrolled: 5-line block ×3, first 2 shown]
	v_not_b32_e32 v20, v23
	v_ashrrev_i32_e32 v19, 31, v19
	v_xor_b32_e32 v24, s25, v24
	v_mul_u32_u24_e32 v3, 9, v3
	v_and_b32_e32 v18, v18, v22
	v_cmp_gt_i32_e64 s25, 0, v23
	v_ashrrev_i32_e32 v22, 31, v20
	v_xor_b32_e32 v19, s24, v19
	v_add_lshl_u32 v20, v2, v3, 2
	v_and_b32_e32 v18, v18, v24
	s_delay_alu instid0(VALU_DEP_4) | instskip(NEXT) | instid1(VALU_DEP_2)
	v_xor_b32_e32 v3, s25, v22
	v_and_b32_e32 v19, v18, v19
	ds_load_b32 v18, v20 offset:32
	; wave barrier
	v_and_b32_e32 v3, v19, v3
	s_delay_alu instid0(VALU_DEP_1) | instskip(SKIP_1) | instid1(VALU_DEP_2)
	v_mbcnt_lo_u32_b32 v19, v3, 0
	v_cmp_ne_u32_e64 s25, 0, v3
	v_cmp_eq_u32_e64 s24, 0, v19
	s_delay_alu instid0(VALU_DEP_1) | instskip(NEXT) | instid1(SALU_CYCLE_1)
	s_and_b32 s25, s25, s24
	s_and_saveexec_b32 s24, s25
	s_cbranch_execz .LBB48_49
; %bb.48:
	s_waitcnt lgkmcnt(0)
	v_bcnt_u32_b32 v3, v3, v18
	ds_store_b32 v20, v3 offset:32
.LBB48_49:
	s_or_b32 exec_lo, exec_lo, s24
	v_xor_b32_e32 v17, 0xffffff80, v17
	; wave barrier
	s_delay_alu instid0(VALU_DEP_1) | instskip(NEXT) | instid1(VALU_DEP_1)
	v_and_b32_e32 v3, 0xff, v17
	v_lshrrev_b32_e32 v3, s60, v3
	s_delay_alu instid0(VALU_DEP_1) | instskip(NEXT) | instid1(VALU_DEP_1)
	v_and_b32_e32 v3, s68, v3
	v_and_b32_e32 v22, 1, v3
	v_lshlrev_b32_e32 v23, 30, v3
	v_lshlrev_b32_e32 v24, 29, v3
	;; [unrolled: 1-line block ×4, first 2 shown]
	v_add_co_u32 v22, s24, v22, -1
	s_delay_alu instid0(VALU_DEP_1)
	v_cndmask_b32_e64 v27, 0, 1, s24
	v_not_b32_e32 v32, v23
	v_cmp_gt_i32_e64 s25, 0, v23
	v_not_b32_e32 v23, v24
	v_lshlrev_b32_e32 v30, 26, v3
	v_cmp_ne_u32_e64 s24, 0, v27
	v_ashrrev_i32_e32 v32, 31, v32
	v_lshlrev_b32_e32 v31, 25, v3
	v_ashrrev_i32_e32 v23, 31, v23
	v_lshlrev_b32_e32 v27, 24, v3
	v_xor_b32_e32 v22, s24, v22
	v_cmp_gt_i32_e64 s24, 0, v24
	v_not_b32_e32 v24, v26
	v_xor_b32_e32 v32, s25, v32
	v_cmp_gt_i32_e64 s25, 0, v26
	v_and_b32_e32 v22, exec_lo, v22
	v_not_b32_e32 v26, v28
	v_ashrrev_i32_e32 v24, 31, v24
	v_xor_b32_e32 v23, s24, v23
	v_cmp_gt_i32_e64 s24, 0, v28
	v_and_b32_e32 v22, v22, v32
	v_not_b32_e32 v28, v30
	v_ashrrev_i32_e32 v26, 31, v26
	v_xor_b32_e32 v24, s25, v24
	v_cmp_gt_i32_e64 s25, 0, v30
	v_and_b32_e32 v22, v22, v23
	;; [unrolled: 5-line block ×3, first 2 shown]
	v_not_b32_e32 v24, v27
	v_ashrrev_i32_e32 v23, 31, v23
	v_xor_b32_e32 v28, s25, v28
	v_mul_u32_u24_e32 v3, 9, v3
	v_and_b32_e32 v22, v22, v26
	v_cmp_gt_i32_e64 s25, 0, v27
	v_ashrrev_i32_e32 v26, 31, v24
	v_xor_b32_e32 v23, s24, v23
	v_add_lshl_u32 v24, v2, v3, 2
	v_and_b32_e32 v22, v22, v28
	s_delay_alu instid0(VALU_DEP_4) | instskip(NEXT) | instid1(VALU_DEP_2)
	v_xor_b32_e32 v3, s25, v26
	v_and_b32_e32 v23, v22, v23
	ds_load_b32 v22, v24 offset:32
	; wave barrier
	v_and_b32_e32 v3, v23, v3
	s_delay_alu instid0(VALU_DEP_1) | instskip(SKIP_1) | instid1(VALU_DEP_2)
	v_mbcnt_lo_u32_b32 v23, v3, 0
	v_cmp_ne_u32_e64 s25, 0, v3
	v_cmp_eq_u32_e64 s24, 0, v23
	s_delay_alu instid0(VALU_DEP_1) | instskip(NEXT) | instid1(SALU_CYCLE_1)
	s_and_b32 s25, s25, s24
	s_and_saveexec_b32 s24, s25
	s_cbranch_execz .LBB48_51
; %bb.50:
	s_waitcnt lgkmcnt(0)
	v_bcnt_u32_b32 v3, v3, v22
	ds_store_b32 v24, v3 offset:32
.LBB48_51:
	s_or_b32 exec_lo, exec_lo, s24
	v_xor_b32_e32 v21, 0xffffff80, v21
	; wave barrier
	s_delay_alu instid0(VALU_DEP_1) | instskip(NEXT) | instid1(VALU_DEP_1)
	v_and_b32_e32 v3, 0xff, v21
	v_lshrrev_b32_e32 v3, s60, v3
	s_delay_alu instid0(VALU_DEP_1) | instskip(NEXT) | instid1(VALU_DEP_1)
	v_and_b32_e32 v3, s68, v3
	v_and_b32_e32 v26, 1, v3
	v_lshlrev_b32_e32 v27, 30, v3
	v_lshlrev_b32_e32 v28, 29, v3
	;; [unrolled: 1-line block ×4, first 2 shown]
	v_add_co_u32 v26, s24, v26, -1
	s_delay_alu instid0(VALU_DEP_1)
	v_cndmask_b32_e64 v31, 0, 1, s24
	v_not_b32_e32 v36, v27
	v_cmp_gt_i32_e64 s25, 0, v27
	v_not_b32_e32 v27, v28
	v_lshlrev_b32_e32 v34, 26, v3
	v_cmp_ne_u32_e64 s24, 0, v31
	v_ashrrev_i32_e32 v36, 31, v36
	v_lshlrev_b32_e32 v35, 25, v3
	v_ashrrev_i32_e32 v27, 31, v27
	v_lshlrev_b32_e32 v31, 24, v3
	v_xor_b32_e32 v26, s24, v26
	v_cmp_gt_i32_e64 s24, 0, v28
	v_not_b32_e32 v28, v30
	v_xor_b32_e32 v36, s25, v36
	v_cmp_gt_i32_e64 s25, 0, v30
	v_and_b32_e32 v26, exec_lo, v26
	v_not_b32_e32 v30, v32
	v_ashrrev_i32_e32 v28, 31, v28
	v_xor_b32_e32 v27, s24, v27
	v_cmp_gt_i32_e64 s24, 0, v32
	v_and_b32_e32 v26, v26, v36
	v_not_b32_e32 v32, v34
	v_ashrrev_i32_e32 v30, 31, v30
	v_xor_b32_e32 v28, s25, v28
	v_cmp_gt_i32_e64 s25, 0, v34
	v_and_b32_e32 v26, v26, v27
	;; [unrolled: 5-line block ×3, first 2 shown]
	v_not_b32_e32 v28, v31
	v_ashrrev_i32_e32 v27, 31, v27
	v_xor_b32_e32 v32, s25, v32
	v_mul_u32_u24_e32 v3, 9, v3
	v_and_b32_e32 v26, v26, v30
	v_cmp_gt_i32_e64 s25, 0, v31
	v_ashrrev_i32_e32 v30, 31, v28
	v_xor_b32_e32 v27, s24, v27
	v_add_lshl_u32 v28, v2, v3, 2
	v_and_b32_e32 v26, v26, v32
	s_delay_alu instid0(VALU_DEP_4) | instskip(NEXT) | instid1(VALU_DEP_2)
	v_xor_b32_e32 v3, s25, v30
	v_and_b32_e32 v27, v26, v27
	ds_load_b32 v26, v28 offset:32
	; wave barrier
	v_and_b32_e32 v3, v27, v3
	s_delay_alu instid0(VALU_DEP_1) | instskip(SKIP_1) | instid1(VALU_DEP_2)
	v_mbcnt_lo_u32_b32 v27, v3, 0
	v_cmp_ne_u32_e64 s25, 0, v3
	v_cmp_eq_u32_e64 s24, 0, v27
	s_delay_alu instid0(VALU_DEP_1) | instskip(NEXT) | instid1(SALU_CYCLE_1)
	s_and_b32 s25, s25, s24
	s_and_saveexec_b32 s24, s25
	s_cbranch_execz .LBB48_53
; %bb.52:
	s_waitcnt lgkmcnt(0)
	v_bcnt_u32_b32 v3, v3, v26
	ds_store_b32 v28, v3 offset:32
.LBB48_53:
	s_or_b32 exec_lo, exec_lo, s24
	v_xor_b32_e32 v25, 0xffffff80, v25
	; wave barrier
	s_delay_alu instid0(VALU_DEP_1) | instskip(NEXT) | instid1(VALU_DEP_1)
	v_and_b32_e32 v3, 0xff, v25
	v_lshrrev_b32_e32 v3, s60, v3
	s_delay_alu instid0(VALU_DEP_1) | instskip(NEXT) | instid1(VALU_DEP_1)
	v_and_b32_e32 v3, s68, v3
	v_and_b32_e32 v30, 1, v3
	v_lshlrev_b32_e32 v31, 30, v3
	v_lshlrev_b32_e32 v32, 29, v3
	;; [unrolled: 1-line block ×4, first 2 shown]
	v_add_co_u32 v30, s24, v30, -1
	s_delay_alu instid0(VALU_DEP_1)
	v_cndmask_b32_e64 v35, 0, 1, s24
	v_not_b32_e32 v40, v31
	v_cmp_gt_i32_e64 s25, 0, v31
	v_not_b32_e32 v31, v32
	v_lshlrev_b32_e32 v38, 26, v3
	v_cmp_ne_u32_e64 s24, 0, v35
	v_ashrrev_i32_e32 v40, 31, v40
	v_lshlrev_b32_e32 v39, 25, v3
	v_ashrrev_i32_e32 v31, 31, v31
	v_lshlrev_b32_e32 v35, 24, v3
	v_xor_b32_e32 v30, s24, v30
	v_cmp_gt_i32_e64 s24, 0, v32
	v_not_b32_e32 v32, v34
	v_xor_b32_e32 v40, s25, v40
	v_cmp_gt_i32_e64 s25, 0, v34
	v_and_b32_e32 v30, exec_lo, v30
	v_not_b32_e32 v34, v36
	v_ashrrev_i32_e32 v32, 31, v32
	v_xor_b32_e32 v31, s24, v31
	v_cmp_gt_i32_e64 s24, 0, v36
	v_and_b32_e32 v30, v30, v40
	v_not_b32_e32 v36, v38
	v_ashrrev_i32_e32 v34, 31, v34
	v_xor_b32_e32 v32, s25, v32
	v_cmp_gt_i32_e64 s25, 0, v38
	v_and_b32_e32 v30, v30, v31
	;; [unrolled: 5-line block ×3, first 2 shown]
	v_not_b32_e32 v32, v35
	v_ashrrev_i32_e32 v31, 31, v31
	v_xor_b32_e32 v36, s25, v36
	v_mul_u32_u24_e32 v3, 9, v3
	v_and_b32_e32 v30, v30, v34
	v_cmp_gt_i32_e64 s25, 0, v35
	v_ashrrev_i32_e32 v34, 31, v32
	v_xor_b32_e32 v31, s24, v31
	v_add_lshl_u32 v32, v2, v3, 2
	v_and_b32_e32 v30, v30, v36
	s_delay_alu instid0(VALU_DEP_4) | instskip(NEXT) | instid1(VALU_DEP_2)
	v_xor_b32_e32 v3, s25, v34
	v_and_b32_e32 v31, v30, v31
	ds_load_b32 v30, v32 offset:32
	; wave barrier
	v_and_b32_e32 v3, v31, v3
	s_delay_alu instid0(VALU_DEP_1) | instskip(SKIP_1) | instid1(VALU_DEP_2)
	v_mbcnt_lo_u32_b32 v31, v3, 0
	v_cmp_ne_u32_e64 s25, 0, v3
	v_cmp_eq_u32_e64 s24, 0, v31
	s_delay_alu instid0(VALU_DEP_1) | instskip(NEXT) | instid1(SALU_CYCLE_1)
	s_and_b32 s25, s25, s24
	s_and_saveexec_b32 s24, s25
	s_cbranch_execz .LBB48_55
; %bb.54:
	s_waitcnt lgkmcnt(0)
	v_bcnt_u32_b32 v3, v3, v30
	ds_store_b32 v32, v3 offset:32
.LBB48_55:
	s_or_b32 exec_lo, exec_lo, s24
	v_xor_b32_e32 v29, 0xffffff80, v29
	; wave barrier
	s_delay_alu instid0(VALU_DEP_1) | instskip(NEXT) | instid1(VALU_DEP_1)
	v_and_b32_e32 v3, 0xff, v29
	v_lshrrev_b32_e32 v3, s60, v3
	s_delay_alu instid0(VALU_DEP_1) | instskip(NEXT) | instid1(VALU_DEP_1)
	v_and_b32_e32 v3, s68, v3
	v_and_b32_e32 v34, 1, v3
	v_lshlrev_b32_e32 v35, 30, v3
	v_lshlrev_b32_e32 v36, 29, v3
	;; [unrolled: 1-line block ×4, first 2 shown]
	v_add_co_u32 v34, s24, v34, -1
	s_delay_alu instid0(VALU_DEP_1)
	v_cndmask_b32_e64 v39, 0, 1, s24
	v_not_b32_e32 v45, v35
	v_cmp_gt_i32_e64 s25, 0, v35
	v_not_b32_e32 v35, v36
	v_lshlrev_b32_e32 v43, 26, v3
	v_cmp_ne_u32_e64 s24, 0, v39
	v_ashrrev_i32_e32 v45, 31, v45
	v_lshlrev_b32_e32 v44, 25, v3
	v_ashrrev_i32_e32 v35, 31, v35
	v_lshlrev_b32_e32 v39, 24, v3
	v_xor_b32_e32 v34, s24, v34
	v_cmp_gt_i32_e64 s24, 0, v36
	v_not_b32_e32 v36, v38
	v_xor_b32_e32 v45, s25, v45
	v_cmp_gt_i32_e64 s25, 0, v38
	v_and_b32_e32 v34, exec_lo, v34
	v_not_b32_e32 v38, v40
	v_ashrrev_i32_e32 v36, 31, v36
	v_xor_b32_e32 v35, s24, v35
	v_cmp_gt_i32_e64 s24, 0, v40
	v_and_b32_e32 v34, v34, v45
	v_not_b32_e32 v40, v43
	v_ashrrev_i32_e32 v38, 31, v38
	v_xor_b32_e32 v36, s25, v36
	v_cmp_gt_i32_e64 s25, 0, v43
	v_and_b32_e32 v34, v34, v35
	;; [unrolled: 5-line block ×3, first 2 shown]
	v_not_b32_e32 v36, v39
	v_ashrrev_i32_e32 v35, 31, v35
	v_xor_b32_e32 v40, s25, v40
	v_mul_u32_u24_e32 v3, 9, v3
	v_and_b32_e32 v34, v34, v38
	v_cmp_gt_i32_e64 s25, 0, v39
	v_ashrrev_i32_e32 v38, 31, v36
	v_xor_b32_e32 v35, s24, v35
	v_add_lshl_u32 v36, v2, v3, 2
	v_and_b32_e32 v34, v34, v40
	s_delay_alu instid0(VALU_DEP_4) | instskip(NEXT) | instid1(VALU_DEP_2)
	v_xor_b32_e32 v3, s25, v38
	v_and_b32_e32 v35, v34, v35
	ds_load_b32 v34, v36 offset:32
	; wave barrier
	v_and_b32_e32 v3, v35, v3
	s_delay_alu instid0(VALU_DEP_1) | instskip(SKIP_1) | instid1(VALU_DEP_2)
	v_mbcnt_lo_u32_b32 v35, v3, 0
	v_cmp_ne_u32_e64 s25, 0, v3
	v_cmp_eq_u32_e64 s24, 0, v35
	s_delay_alu instid0(VALU_DEP_1) | instskip(NEXT) | instid1(SALU_CYCLE_1)
	s_and_b32 s25, s25, s24
	s_and_saveexec_b32 s24, s25
	s_cbranch_execz .LBB48_57
; %bb.56:
	s_waitcnt lgkmcnt(0)
	v_bcnt_u32_b32 v3, v3, v34
	ds_store_b32 v36, v3 offset:32
.LBB48_57:
	s_or_b32 exec_lo, exec_lo, s24
	v_xor_b32_e32 v33, 0xffffff80, v33
	; wave barrier
	s_delay_alu instid0(VALU_DEP_1) | instskip(NEXT) | instid1(VALU_DEP_1)
	v_and_b32_e32 v3, 0xff, v33
	v_lshrrev_b32_e32 v3, s60, v3
	s_delay_alu instid0(VALU_DEP_1) | instskip(NEXT) | instid1(VALU_DEP_1)
	v_and_b32_e32 v3, s68, v3
	v_and_b32_e32 v38, 1, v3
	v_lshlrev_b32_e32 v39, 30, v3
	v_lshlrev_b32_e32 v40, 29, v3
	;; [unrolled: 1-line block ×4, first 2 shown]
	v_add_co_u32 v38, s24, v38, -1
	s_delay_alu instid0(VALU_DEP_1)
	v_cndmask_b32_e64 v44, 0, 1, s24
	v_not_b32_e32 v52, v39
	v_cmp_gt_i32_e64 s25, 0, v39
	v_not_b32_e32 v39, v40
	v_lshlrev_b32_e32 v48, 26, v3
	v_cmp_ne_u32_e64 s24, 0, v44
	v_ashrrev_i32_e32 v52, 31, v52
	v_lshlrev_b32_e32 v49, 25, v3
	v_ashrrev_i32_e32 v39, 31, v39
	v_lshlrev_b32_e32 v44, 24, v3
	v_xor_b32_e32 v38, s24, v38
	v_cmp_gt_i32_e64 s24, 0, v40
	v_not_b32_e32 v40, v43
	v_xor_b32_e32 v52, s25, v52
	v_cmp_gt_i32_e64 s25, 0, v43
	v_and_b32_e32 v38, exec_lo, v38
	v_not_b32_e32 v43, v45
	v_ashrrev_i32_e32 v40, 31, v40
	v_xor_b32_e32 v39, s24, v39
	v_cmp_gt_i32_e64 s24, 0, v45
	v_and_b32_e32 v38, v38, v52
	v_not_b32_e32 v45, v48
	v_ashrrev_i32_e32 v43, 31, v43
	v_xor_b32_e32 v40, s25, v40
	v_cmp_gt_i32_e64 s25, 0, v48
	v_and_b32_e32 v38, v38, v39
	;; [unrolled: 5-line block ×3, first 2 shown]
	v_not_b32_e32 v40, v44
	v_ashrrev_i32_e32 v39, 31, v39
	v_xor_b32_e32 v45, s25, v45
	v_mul_u32_u24_e32 v3, 9, v3
	v_and_b32_e32 v38, v38, v43
	v_cmp_gt_i32_e64 s25, 0, v44
	v_ashrrev_i32_e32 v43, 31, v40
	v_xor_b32_e32 v39, s24, v39
	v_add_lshl_u32 v40, v2, v3, 2
	v_and_b32_e32 v38, v38, v45
	s_delay_alu instid0(VALU_DEP_4) | instskip(NEXT) | instid1(VALU_DEP_2)
	v_xor_b32_e32 v3, s25, v43
	v_and_b32_e32 v39, v38, v39
	ds_load_b32 v38, v40 offset:32
	; wave barrier
	v_and_b32_e32 v3, v39, v3
	s_delay_alu instid0(VALU_DEP_1) | instskip(SKIP_1) | instid1(VALU_DEP_2)
	v_mbcnt_lo_u32_b32 v39, v3, 0
	v_cmp_ne_u32_e64 s25, 0, v3
	v_cmp_eq_u32_e64 s24, 0, v39
	s_delay_alu instid0(VALU_DEP_1) | instskip(NEXT) | instid1(SALU_CYCLE_1)
	s_and_b32 s25, s25, s24
	s_and_saveexec_b32 s24, s25
	s_cbranch_execz .LBB48_59
; %bb.58:
	s_waitcnt lgkmcnt(0)
	v_bcnt_u32_b32 v3, v3, v38
	ds_store_b32 v40, v3 offset:32
.LBB48_59:
	s_or_b32 exec_lo, exec_lo, s24
	v_xor_b32_e32 v37, 0xffffff80, v37
	; wave barrier
	s_delay_alu instid0(VALU_DEP_1) | instskip(NEXT) | instid1(VALU_DEP_1)
	v_and_b32_e32 v3, 0xff, v37
	v_lshrrev_b32_e32 v3, s60, v3
	s_delay_alu instid0(VALU_DEP_1) | instskip(NEXT) | instid1(VALU_DEP_1)
	v_and_b32_e32 v3, s68, v3
	v_and_b32_e32 v43, 1, v3
	v_lshlrev_b32_e32 v44, 30, v3
	v_lshlrev_b32_e32 v45, 29, v3
	;; [unrolled: 1-line block ×4, first 2 shown]
	v_add_co_u32 v43, s24, v43, -1
	s_delay_alu instid0(VALU_DEP_1)
	v_cndmask_b32_e64 v49, 0, 1, s24
	v_not_b32_e32 v57, v44
	v_cmp_gt_i32_e64 s25, 0, v44
	v_not_b32_e32 v44, v45
	v_lshlrev_b32_e32 v54, 26, v3
	v_cmp_ne_u32_e64 s24, 0, v49
	v_ashrrev_i32_e32 v57, 31, v57
	v_lshlrev_b32_e32 v55, 25, v3
	v_ashrrev_i32_e32 v44, 31, v44
	v_lshlrev_b32_e32 v49, 24, v3
	v_xor_b32_e32 v43, s24, v43
	v_cmp_gt_i32_e64 s24, 0, v45
	v_not_b32_e32 v45, v48
	v_xor_b32_e32 v57, s25, v57
	v_cmp_gt_i32_e64 s25, 0, v48
	v_and_b32_e32 v43, exec_lo, v43
	v_not_b32_e32 v48, v52
	v_ashrrev_i32_e32 v45, 31, v45
	v_xor_b32_e32 v44, s24, v44
	v_cmp_gt_i32_e64 s24, 0, v52
	v_and_b32_e32 v43, v43, v57
	v_not_b32_e32 v52, v54
	v_ashrrev_i32_e32 v48, 31, v48
	v_xor_b32_e32 v45, s25, v45
	v_cmp_gt_i32_e64 s25, 0, v54
	v_and_b32_e32 v43, v43, v44
	;; [unrolled: 5-line block ×3, first 2 shown]
	v_not_b32_e32 v45, v49
	v_ashrrev_i32_e32 v44, 31, v44
	v_xor_b32_e32 v52, s25, v52
	v_mul_u32_u24_e32 v3, 9, v3
	v_and_b32_e32 v43, v43, v48
	v_cmp_gt_i32_e64 s25, 0, v49
	v_ashrrev_i32_e32 v48, 31, v45
	v_xor_b32_e32 v44, s24, v44
	v_add_lshl_u32 v45, v2, v3, 2
	v_and_b32_e32 v43, v43, v52
	s_delay_alu instid0(VALU_DEP_4) | instskip(NEXT) | instid1(VALU_DEP_2)
	v_xor_b32_e32 v3, s25, v48
	v_and_b32_e32 v44, v43, v44
	ds_load_b32 v43, v45 offset:32
	; wave barrier
	v_and_b32_e32 v3, v44, v3
	s_delay_alu instid0(VALU_DEP_1) | instskip(SKIP_1) | instid1(VALU_DEP_2)
	v_mbcnt_lo_u32_b32 v44, v3, 0
	v_cmp_ne_u32_e64 s25, 0, v3
	v_cmp_eq_u32_e64 s24, 0, v44
	s_delay_alu instid0(VALU_DEP_1) | instskip(NEXT) | instid1(SALU_CYCLE_1)
	s_and_b32 s25, s25, s24
	s_and_saveexec_b32 s24, s25
	s_cbranch_execz .LBB48_61
; %bb.60:
	s_waitcnt lgkmcnt(0)
	v_bcnt_u32_b32 v3, v3, v43
	ds_store_b32 v45, v3 offset:32
.LBB48_61:
	s_or_b32 exec_lo, exec_lo, s24
	v_xor_b32_e32 v42, 0xffffff80, v42
	; wave barrier
	s_delay_alu instid0(VALU_DEP_1) | instskip(NEXT) | instid1(VALU_DEP_1)
	v_and_b32_e32 v3, 0xff, v42
	v_lshrrev_b32_e32 v3, s60, v3
	s_delay_alu instid0(VALU_DEP_1) | instskip(NEXT) | instid1(VALU_DEP_1)
	v_and_b32_e32 v3, s68, v3
	v_and_b32_e32 v48, 1, v3
	v_lshlrev_b32_e32 v49, 30, v3
	v_lshlrev_b32_e32 v52, 29, v3
	;; [unrolled: 1-line block ×4, first 2 shown]
	v_add_co_u32 v48, s24, v48, -1
	s_delay_alu instid0(VALU_DEP_1)
	v_cndmask_b32_e64 v55, 0, 1, s24
	v_not_b32_e32 v61, v49
	v_cmp_gt_i32_e64 s25, 0, v49
	v_not_b32_e32 v49, v52
	v_lshlrev_b32_e32 v59, 26, v3
	v_cmp_ne_u32_e64 s24, 0, v55
	v_ashrrev_i32_e32 v61, 31, v61
	v_lshlrev_b32_e32 v60, 25, v3
	v_ashrrev_i32_e32 v49, 31, v49
	v_lshlrev_b32_e32 v55, 24, v3
	v_xor_b32_e32 v48, s24, v48
	v_cmp_gt_i32_e64 s24, 0, v52
	v_not_b32_e32 v52, v54
	v_xor_b32_e32 v61, s25, v61
	v_cmp_gt_i32_e64 s25, 0, v54
	v_and_b32_e32 v48, exec_lo, v48
	v_not_b32_e32 v54, v57
	v_ashrrev_i32_e32 v52, 31, v52
	v_xor_b32_e32 v49, s24, v49
	v_cmp_gt_i32_e64 s24, 0, v57
	v_and_b32_e32 v48, v48, v61
	v_not_b32_e32 v57, v59
	v_ashrrev_i32_e32 v54, 31, v54
	v_xor_b32_e32 v52, s25, v52
	v_cmp_gt_i32_e64 s25, 0, v59
	v_and_b32_e32 v48, v48, v49
	;; [unrolled: 5-line block ×3, first 2 shown]
	v_not_b32_e32 v52, v55
	v_ashrrev_i32_e32 v49, 31, v49
	v_xor_b32_e32 v57, s25, v57
	v_mul_u32_u24_e32 v3, 9, v3
	v_and_b32_e32 v48, v48, v54
	v_cmp_gt_i32_e64 s25, 0, v55
	v_ashrrev_i32_e32 v54, 31, v52
	v_xor_b32_e32 v49, s24, v49
	v_add_lshl_u32 v52, v2, v3, 2
	v_and_b32_e32 v48, v48, v57
	s_delay_alu instid0(VALU_DEP_4) | instskip(NEXT) | instid1(VALU_DEP_2)
	v_xor_b32_e32 v3, s25, v54
	v_and_b32_e32 v49, v48, v49
	ds_load_b32 v48, v52 offset:32
	; wave barrier
	v_and_b32_e32 v3, v49, v3
	s_delay_alu instid0(VALU_DEP_1) | instskip(SKIP_1) | instid1(VALU_DEP_2)
	v_mbcnt_lo_u32_b32 v49, v3, 0
	v_cmp_ne_u32_e64 s25, 0, v3
	v_cmp_eq_u32_e64 s24, 0, v49
	s_delay_alu instid0(VALU_DEP_1) | instskip(NEXT) | instid1(SALU_CYCLE_1)
	s_and_b32 s25, s25, s24
	s_and_saveexec_b32 s24, s25
	s_cbranch_execz .LBB48_63
; %bb.62:
	s_waitcnt lgkmcnt(0)
	v_bcnt_u32_b32 v3, v3, v48
	ds_store_b32 v52, v3 offset:32
.LBB48_63:
	s_or_b32 exec_lo, exec_lo, s24
	v_xor_b32_e32 v47, 0xffffff80, v47
	; wave barrier
	s_delay_alu instid0(VALU_DEP_1) | instskip(NEXT) | instid1(VALU_DEP_1)
	v_and_b32_e32 v3, 0xff, v47
	v_lshrrev_b32_e32 v3, s60, v3
	s_delay_alu instid0(VALU_DEP_1) | instskip(NEXT) | instid1(VALU_DEP_1)
	v_and_b32_e32 v3, s68, v3
	v_and_b32_e32 v54, 1, v3
	v_lshlrev_b32_e32 v55, 30, v3
	v_lshlrev_b32_e32 v57, 29, v3
	;; [unrolled: 1-line block ×4, first 2 shown]
	v_add_co_u32 v54, s24, v54, -1
	s_delay_alu instid0(VALU_DEP_1)
	v_cndmask_b32_e64 v60, 0, 1, s24
	v_not_b32_e32 v64, v55
	v_cmp_gt_i32_e64 s25, 0, v55
	v_not_b32_e32 v55, v57
	v_lshlrev_b32_e32 v62, 26, v3
	v_cmp_ne_u32_e64 s24, 0, v60
	v_ashrrev_i32_e32 v64, 31, v64
	v_lshlrev_b32_e32 v63, 25, v3
	v_ashrrev_i32_e32 v55, 31, v55
	v_lshlrev_b32_e32 v60, 24, v3
	v_xor_b32_e32 v54, s24, v54
	v_cmp_gt_i32_e64 s24, 0, v57
	v_not_b32_e32 v57, v59
	v_xor_b32_e32 v64, s25, v64
	v_cmp_gt_i32_e64 s25, 0, v59
	v_and_b32_e32 v54, exec_lo, v54
	v_not_b32_e32 v59, v61
	v_ashrrev_i32_e32 v57, 31, v57
	v_xor_b32_e32 v55, s24, v55
	v_cmp_gt_i32_e64 s24, 0, v61
	v_and_b32_e32 v54, v54, v64
	v_not_b32_e32 v61, v62
	v_ashrrev_i32_e32 v59, 31, v59
	v_xor_b32_e32 v57, s25, v57
	v_cmp_gt_i32_e64 s25, 0, v62
	v_and_b32_e32 v54, v54, v55
	;; [unrolled: 5-line block ×3, first 2 shown]
	v_not_b32_e32 v57, v60
	v_ashrrev_i32_e32 v55, 31, v55
	v_xor_b32_e32 v61, s25, v61
	v_mul_u32_u24_e32 v3, 9, v3
	v_and_b32_e32 v54, v54, v59
	v_cmp_gt_i32_e64 s25, 0, v60
	v_ashrrev_i32_e32 v59, 31, v57
	v_xor_b32_e32 v55, s24, v55
	v_add_lshl_u32 v57, v2, v3, 2
	v_and_b32_e32 v54, v54, v61
	s_delay_alu instid0(VALU_DEP_4) | instskip(NEXT) | instid1(VALU_DEP_2)
	v_xor_b32_e32 v3, s25, v59
	v_and_b32_e32 v55, v54, v55
	ds_load_b32 v54, v57 offset:32
	; wave barrier
	v_and_b32_e32 v3, v55, v3
	s_delay_alu instid0(VALU_DEP_1) | instskip(SKIP_1) | instid1(VALU_DEP_2)
	v_mbcnt_lo_u32_b32 v55, v3, 0
	v_cmp_ne_u32_e64 s25, 0, v3
	v_cmp_eq_u32_e64 s24, 0, v55
	s_delay_alu instid0(VALU_DEP_1) | instskip(NEXT) | instid1(SALU_CYCLE_1)
	s_and_b32 s25, s25, s24
	s_and_saveexec_b32 s24, s25
	s_cbranch_execz .LBB48_65
; %bb.64:
	s_waitcnt lgkmcnt(0)
	v_bcnt_u32_b32 v3, v3, v54
	ds_store_b32 v57, v3 offset:32
.LBB48_65:
	s_or_b32 exec_lo, exec_lo, s24
	v_xor_b32_e32 v53, 0xffffff80, v53
	; wave barrier
	s_delay_alu instid0(VALU_DEP_1) | instskip(NEXT) | instid1(VALU_DEP_1)
	v_and_b32_e32 v3, 0xff, v53
	v_lshrrev_b32_e32 v3, s60, v3
	s_delay_alu instid0(VALU_DEP_1) | instskip(NEXT) | instid1(VALU_DEP_1)
	v_and_b32_e32 v3, s68, v3
	v_and_b32_e32 v59, 1, v3
	v_lshlrev_b32_e32 v60, 30, v3
	v_lshlrev_b32_e32 v61, 29, v3
	;; [unrolled: 1-line block ×4, first 2 shown]
	v_add_co_u32 v59, s24, v59, -1
	s_delay_alu instid0(VALU_DEP_1)
	v_cndmask_b32_e64 v63, 0, 1, s24
	v_not_b32_e32 v67, v60
	v_cmp_gt_i32_e64 s25, 0, v60
	v_not_b32_e32 v60, v61
	v_lshlrev_b32_e32 v65, 26, v3
	v_cmp_ne_u32_e64 s24, 0, v63
	v_ashrrev_i32_e32 v67, 31, v67
	v_lshlrev_b32_e32 v66, 25, v3
	v_ashrrev_i32_e32 v60, 31, v60
	v_lshlrev_b32_e32 v63, 24, v3
	v_xor_b32_e32 v59, s24, v59
	v_cmp_gt_i32_e64 s24, 0, v61
	v_not_b32_e32 v61, v62
	v_xor_b32_e32 v67, s25, v67
	v_cmp_gt_i32_e64 s25, 0, v62
	v_and_b32_e32 v59, exec_lo, v59
	v_not_b32_e32 v62, v64
	v_ashrrev_i32_e32 v61, 31, v61
	v_xor_b32_e32 v60, s24, v60
	v_cmp_gt_i32_e64 s24, 0, v64
	v_and_b32_e32 v59, v59, v67
	v_not_b32_e32 v64, v65
	v_ashrrev_i32_e32 v62, 31, v62
	v_xor_b32_e32 v61, s25, v61
	v_cmp_gt_i32_e64 s25, 0, v65
	v_and_b32_e32 v59, v59, v60
	;; [unrolled: 5-line block ×3, first 2 shown]
	v_not_b32_e32 v61, v63
	v_ashrrev_i32_e32 v60, 31, v60
	v_xor_b32_e32 v64, s25, v64
	v_mul_u32_u24_e32 v3, 9, v3
	v_and_b32_e32 v59, v59, v62
	v_cmp_gt_i32_e64 s25, 0, v63
	v_ashrrev_i32_e32 v62, 31, v61
	v_xor_b32_e32 v60, s24, v60
	v_add_lshl_u32 v61, v2, v3, 2
	v_and_b32_e32 v59, v59, v64
	s_delay_alu instid0(VALU_DEP_4) | instskip(NEXT) | instid1(VALU_DEP_2)
	v_xor_b32_e32 v3, s25, v62
	v_and_b32_e32 v60, v59, v60
	ds_load_b32 v59, v61 offset:32
	; wave barrier
	v_and_b32_e32 v3, v60, v3
	s_delay_alu instid0(VALU_DEP_1) | instskip(SKIP_1) | instid1(VALU_DEP_2)
	v_mbcnt_lo_u32_b32 v60, v3, 0
	v_cmp_ne_u32_e64 s25, 0, v3
	v_cmp_eq_u32_e64 s24, 0, v60
	s_delay_alu instid0(VALU_DEP_1) | instskip(NEXT) | instid1(SALU_CYCLE_1)
	s_and_b32 s25, s25, s24
	s_and_saveexec_b32 s24, s25
	s_cbranch_execz .LBB48_67
; %bb.66:
	s_waitcnt lgkmcnt(0)
	v_bcnt_u32_b32 v3, v3, v59
	ds_store_b32 v61, v3 offset:32
.LBB48_67:
	s_or_b32 exec_lo, exec_lo, s24
	v_xor_b32_e32 v58, 0xffffff80, v58
	; wave barrier
	s_delay_alu instid0(VALU_DEP_1) | instskip(NEXT) | instid1(VALU_DEP_1)
	v_and_b32_e32 v3, 0xff, v58
	v_lshrrev_b32_e32 v3, s60, v3
	s_delay_alu instid0(VALU_DEP_1) | instskip(NEXT) | instid1(VALU_DEP_1)
	v_and_b32_e32 v3, s68, v3
	v_and_b32_e32 v62, 1, v3
	v_lshlrev_b32_e32 v63, 30, v3
	v_lshlrev_b32_e32 v64, 29, v3
	;; [unrolled: 1-line block ×4, first 2 shown]
	v_add_co_u32 v62, s24, v62, -1
	s_delay_alu instid0(VALU_DEP_1)
	v_cndmask_b32_e64 v66, 0, 1, s24
	v_not_b32_e32 v70, v63
	v_cmp_gt_i32_e64 s25, 0, v63
	v_not_b32_e32 v63, v64
	v_lshlrev_b32_e32 v68, 26, v3
	v_cmp_ne_u32_e64 s24, 0, v66
	v_ashrrev_i32_e32 v70, 31, v70
	v_lshlrev_b32_e32 v69, 25, v3
	v_ashrrev_i32_e32 v63, 31, v63
	v_lshlrev_b32_e32 v66, 24, v3
	v_xor_b32_e32 v62, s24, v62
	v_cmp_gt_i32_e64 s24, 0, v64
	v_not_b32_e32 v64, v65
	v_xor_b32_e32 v70, s25, v70
	v_cmp_gt_i32_e64 s25, 0, v65
	v_and_b32_e32 v62, exec_lo, v62
	v_not_b32_e32 v65, v67
	v_ashrrev_i32_e32 v64, 31, v64
	v_xor_b32_e32 v63, s24, v63
	v_cmp_gt_i32_e64 s24, 0, v67
	v_and_b32_e32 v62, v62, v70
	v_not_b32_e32 v67, v68
	v_ashrrev_i32_e32 v65, 31, v65
	v_xor_b32_e32 v64, s25, v64
	v_cmp_gt_i32_e64 s25, 0, v68
	v_and_b32_e32 v62, v62, v63
	;; [unrolled: 5-line block ×3, first 2 shown]
	v_not_b32_e32 v64, v66
	v_ashrrev_i32_e32 v63, 31, v63
	v_xor_b32_e32 v67, s25, v67
	v_mul_u32_u24_e32 v3, 9, v3
	v_and_b32_e32 v62, v62, v65
	v_cmp_gt_i32_e64 s25, 0, v66
	v_ashrrev_i32_e32 v65, 31, v64
	v_xor_b32_e32 v63, s24, v63
	v_add_lshl_u32 v64, v2, v3, 2
	v_and_b32_e32 v62, v62, v67
	s_delay_alu instid0(VALU_DEP_4) | instskip(NEXT) | instid1(VALU_DEP_2)
	v_xor_b32_e32 v3, s25, v65
	v_and_b32_e32 v63, v62, v63
	ds_load_b32 v62, v64 offset:32
	; wave barrier
	v_and_b32_e32 v3, v63, v3
	s_delay_alu instid0(VALU_DEP_1) | instskip(SKIP_1) | instid1(VALU_DEP_2)
	v_mbcnt_lo_u32_b32 v63, v3, 0
	v_cmp_ne_u32_e64 s25, 0, v3
	v_cmp_eq_u32_e64 s24, 0, v63
	s_delay_alu instid0(VALU_DEP_1) | instskip(NEXT) | instid1(SALU_CYCLE_1)
	s_and_b32 s25, s25, s24
	s_and_saveexec_b32 s24, s25
	s_cbranch_execz .LBB48_69
; %bb.68:
	s_waitcnt lgkmcnt(0)
	v_bcnt_u32_b32 v3, v3, v62
	ds_store_b32 v64, v3 offset:32
.LBB48_69:
	s_or_b32 exec_lo, exec_lo, s24
	v_xor_b32_e32 v56, 0xffffff80, v56
	; wave barrier
	s_delay_alu instid0(VALU_DEP_1) | instskip(NEXT) | instid1(VALU_DEP_1)
	v_and_b32_e32 v3, 0xff, v56
	v_lshrrev_b32_e32 v3, s60, v3
	s_delay_alu instid0(VALU_DEP_1) | instskip(NEXT) | instid1(VALU_DEP_1)
	v_and_b32_e32 v3, s68, v3
	v_and_b32_e32 v65, 1, v3
	v_lshlrev_b32_e32 v66, 30, v3
	v_lshlrev_b32_e32 v67, 29, v3
	;; [unrolled: 1-line block ×4, first 2 shown]
	v_add_co_u32 v65, s24, v65, -1
	s_delay_alu instid0(VALU_DEP_1)
	v_cndmask_b32_e64 v69, 0, 1, s24
	v_not_b32_e32 v73, v66
	v_cmp_gt_i32_e64 s25, 0, v66
	v_not_b32_e32 v66, v67
	v_lshlrev_b32_e32 v71, 26, v3
	v_cmp_ne_u32_e64 s24, 0, v69
	v_ashrrev_i32_e32 v73, 31, v73
	v_lshlrev_b32_e32 v72, 25, v3
	v_ashrrev_i32_e32 v66, 31, v66
	v_lshlrev_b32_e32 v69, 24, v3
	v_xor_b32_e32 v65, s24, v65
	v_cmp_gt_i32_e64 s24, 0, v67
	v_not_b32_e32 v67, v68
	v_xor_b32_e32 v73, s25, v73
	v_cmp_gt_i32_e64 s25, 0, v68
	v_and_b32_e32 v65, exec_lo, v65
	v_not_b32_e32 v68, v70
	v_ashrrev_i32_e32 v67, 31, v67
	v_xor_b32_e32 v66, s24, v66
	v_cmp_gt_i32_e64 s24, 0, v70
	v_and_b32_e32 v65, v65, v73
	v_not_b32_e32 v70, v71
	v_ashrrev_i32_e32 v68, 31, v68
	v_xor_b32_e32 v67, s25, v67
	v_cmp_gt_i32_e64 s25, 0, v71
	v_and_b32_e32 v65, v65, v66
	;; [unrolled: 5-line block ×3, first 2 shown]
	v_not_b32_e32 v67, v69
	v_ashrrev_i32_e32 v66, 31, v66
	v_xor_b32_e32 v70, s25, v70
	v_mul_u32_u24_e32 v3, 9, v3
	v_and_b32_e32 v65, v65, v68
	v_cmp_gt_i32_e64 s25, 0, v69
	v_ashrrev_i32_e32 v67, 31, v67
	v_xor_b32_e32 v68, s24, v66
	v_add_lshl_u32 v66, v2, v3, 2
	v_and_b32_e32 v65, v65, v70
	s_delay_alu instid0(VALU_DEP_4) | instskip(NEXT) | instid1(VALU_DEP_2)
	v_xor_b32_e32 v3, s25, v67
	v_and_b32_e32 v67, v65, v68
	ds_load_b32 v65, v66 offset:32
	; wave barrier
	v_and_b32_e32 v3, v67, v3
	s_delay_alu instid0(VALU_DEP_1) | instskip(SKIP_1) | instid1(VALU_DEP_2)
	v_mbcnt_lo_u32_b32 v78, v3, 0
	v_cmp_ne_u32_e64 s25, 0, v3
	v_cmp_eq_u32_e64 s24, 0, v78
	s_delay_alu instid0(VALU_DEP_1) | instskip(NEXT) | instid1(SALU_CYCLE_1)
	s_and_b32 s25, s25, s24
	s_and_saveexec_b32 s24, s25
	s_cbranch_execz .LBB48_71
; %bb.70:
	s_waitcnt lgkmcnt(0)
	v_bcnt_u32_b32 v3, v3, v65
	ds_store_b32 v66, v3 offset:32
.LBB48_71:
	s_or_b32 exec_lo, exec_lo, s24
	v_xor_b32_e32 v50, 0xffffff80, v50
	; wave barrier
	s_delay_alu instid0(VALU_DEP_1) | instskip(NEXT) | instid1(VALU_DEP_1)
	v_and_b32_e32 v3, 0xff, v50
	v_lshrrev_b32_e32 v3, s60, v3
	s_delay_alu instid0(VALU_DEP_1) | instskip(NEXT) | instid1(VALU_DEP_1)
	v_and_b32_e32 v3, s68, v3
	v_and_b32_e32 v67, 1, v3
	v_lshlrev_b32_e32 v68, 30, v3
	v_lshlrev_b32_e32 v69, 29, v3
	;; [unrolled: 1-line block ×4, first 2 shown]
	v_add_co_u32 v67, s24, v67, -1
	s_delay_alu instid0(VALU_DEP_1)
	v_cndmask_b32_e64 v71, 0, 1, s24
	v_not_b32_e32 v75, v68
	v_cmp_gt_i32_e64 s25, 0, v68
	v_not_b32_e32 v68, v69
	v_lshlrev_b32_e32 v73, 26, v3
	v_cmp_ne_u32_e64 s24, 0, v71
	v_ashrrev_i32_e32 v75, 31, v75
	v_lshlrev_b32_e32 v74, 25, v3
	v_ashrrev_i32_e32 v68, 31, v68
	v_lshlrev_b32_e32 v71, 24, v3
	v_xor_b32_e32 v67, s24, v67
	v_cmp_gt_i32_e64 s24, 0, v69
	v_not_b32_e32 v69, v70
	v_xor_b32_e32 v75, s25, v75
	v_cmp_gt_i32_e64 s25, 0, v70
	v_and_b32_e32 v67, exec_lo, v67
	v_not_b32_e32 v70, v72
	v_ashrrev_i32_e32 v69, 31, v69
	v_xor_b32_e32 v68, s24, v68
	v_cmp_gt_i32_e64 s24, 0, v72
	v_and_b32_e32 v67, v67, v75
	v_not_b32_e32 v72, v73
	v_ashrrev_i32_e32 v70, 31, v70
	v_xor_b32_e32 v69, s25, v69
	v_cmp_gt_i32_e64 s25, 0, v73
	v_and_b32_e32 v67, v67, v68
	;; [unrolled: 5-line block ×3, first 2 shown]
	v_not_b32_e32 v69, v71
	v_ashrrev_i32_e32 v68, 31, v68
	v_xor_b32_e32 v72, s25, v72
	v_mul_u32_u24_e32 v3, 9, v3
	v_and_b32_e32 v67, v67, v70
	v_cmp_gt_i32_e64 s25, 0, v71
	v_ashrrev_i32_e32 v69, 31, v69
	v_xor_b32_e32 v68, s24, v68
	s_delay_alu instid0(VALU_DEP_4) | instskip(SKIP_1) | instid1(VALU_DEP_4)
	v_and_b32_e32 v70, v67, v72
	v_add_lshl_u32 v67, v2, v3, 2
	v_xor_b32_e32 v3, s25, v69
	s_delay_alu instid0(VALU_DEP_3) | instskip(SKIP_2) | instid1(VALU_DEP_1)
	v_and_b32_e32 v68, v70, v68
	ds_load_b32 v79, v67 offset:32
	; wave barrier
	v_and_b32_e32 v3, v68, v3
	v_mbcnt_lo_u32_b32 v80, v3, 0
	v_cmp_ne_u32_e64 s25, 0, v3
	s_delay_alu instid0(VALU_DEP_2) | instskip(NEXT) | instid1(VALU_DEP_1)
	v_cmp_eq_u32_e64 s24, 0, v80
	s_and_b32 s25, s25, s24
	s_delay_alu instid0(SALU_CYCLE_1)
	s_and_saveexec_b32 s24, s25
	s_cbranch_execz .LBB48_73
; %bb.72:
	s_waitcnt lgkmcnt(0)
	v_bcnt_u32_b32 v3, v3, v79
	ds_store_b32 v67, v3 offset:32
.LBB48_73:
	s_or_b32 exec_lo, exec_lo, s24
	v_xor_b32_e32 v46, 0xffffff80, v46
	; wave barrier
	s_delay_alu instid0(VALU_DEP_1) | instskip(NEXT) | instid1(VALU_DEP_1)
	v_and_b32_e32 v3, 0xff, v46
	v_lshrrev_b32_e32 v3, s60, v3
	s_delay_alu instid0(VALU_DEP_1) | instskip(NEXT) | instid1(VALU_DEP_1)
	v_and_b32_e32 v3, s68, v3
	v_and_b32_e32 v68, 1, v3
	v_lshlrev_b32_e32 v69, 30, v3
	v_lshlrev_b32_e32 v70, 29, v3
	;; [unrolled: 1-line block ×4, first 2 shown]
	v_add_co_u32 v68, s24, v68, -1
	s_delay_alu instid0(VALU_DEP_1)
	v_cndmask_b32_e64 v72, 0, 1, s24
	v_not_b32_e32 v76, v69
	v_cmp_gt_i32_e64 s25, 0, v69
	v_not_b32_e32 v69, v70
	v_lshlrev_b32_e32 v74, 26, v3
	v_cmp_ne_u32_e64 s24, 0, v72
	v_ashrrev_i32_e32 v76, 31, v76
	v_lshlrev_b32_e32 v75, 25, v3
	v_ashrrev_i32_e32 v69, 31, v69
	v_lshlrev_b32_e32 v72, 24, v3
	v_xor_b32_e32 v68, s24, v68
	v_cmp_gt_i32_e64 s24, 0, v70
	v_not_b32_e32 v70, v71
	v_xor_b32_e32 v76, s25, v76
	v_cmp_gt_i32_e64 s25, 0, v71
	v_and_b32_e32 v68, exec_lo, v68
	v_not_b32_e32 v71, v73
	v_ashrrev_i32_e32 v70, 31, v70
	v_xor_b32_e32 v69, s24, v69
	v_cmp_gt_i32_e64 s24, 0, v73
	v_and_b32_e32 v68, v68, v76
	v_not_b32_e32 v73, v74
	v_ashrrev_i32_e32 v71, 31, v71
	v_xor_b32_e32 v70, s25, v70
	v_cmp_gt_i32_e64 s25, 0, v74
	v_and_b32_e32 v68, v68, v69
	;; [unrolled: 5-line block ×3, first 2 shown]
	v_not_b32_e32 v70, v72
	v_ashrrev_i32_e32 v69, 31, v69
	v_xor_b32_e32 v73, s25, v73
	v_mul_u32_u24_e32 v3, 9, v3
	v_and_b32_e32 v68, v68, v71
	v_cmp_gt_i32_e64 s25, 0, v72
	v_ashrrev_i32_e32 v70, 31, v70
	v_xor_b32_e32 v69, s24, v69
	s_delay_alu instid0(VALU_DEP_4) | instskip(SKIP_1) | instid1(VALU_DEP_4)
	v_and_b32_e32 v71, v68, v73
	v_add_lshl_u32 v68, v2, v3, 2
	v_xor_b32_e32 v3, s25, v70
	s_delay_alu instid0(VALU_DEP_3) | instskip(SKIP_2) | instid1(VALU_DEP_1)
	v_and_b32_e32 v69, v71, v69
	ds_load_b32 v81, v68 offset:32
	; wave barrier
	v_and_b32_e32 v3, v69, v3
	v_mbcnt_lo_u32_b32 v82, v3, 0
	v_cmp_ne_u32_e64 s25, 0, v3
	s_delay_alu instid0(VALU_DEP_2) | instskip(NEXT) | instid1(VALU_DEP_1)
	v_cmp_eq_u32_e64 s24, 0, v82
	s_and_b32 s25, s25, s24
	s_delay_alu instid0(SALU_CYCLE_1)
	s_and_saveexec_b32 s24, s25
	s_cbranch_execz .LBB48_75
; %bb.74:
	s_waitcnt lgkmcnt(0)
	v_bcnt_u32_b32 v3, v3, v81
	ds_store_b32 v68, v3 offset:32
.LBB48_75:
	s_or_b32 exec_lo, exec_lo, s24
	v_xor_b32_e32 v41, 0xffffff80, v41
	; wave barrier
	s_delay_alu instid0(VALU_DEP_1) | instskip(NEXT) | instid1(VALU_DEP_1)
	v_and_b32_e32 v3, 0xff, v41
	v_lshrrev_b32_e32 v3, s60, v3
	s_delay_alu instid0(VALU_DEP_1) | instskip(NEXT) | instid1(VALU_DEP_1)
	v_and_b32_e32 v3, s68, v3
	v_and_b32_e32 v69, 1, v3
	v_lshlrev_b32_e32 v70, 30, v3
	v_lshlrev_b32_e32 v71, 29, v3
	;; [unrolled: 1-line block ×4, first 2 shown]
	v_add_co_u32 v69, s24, v69, -1
	s_delay_alu instid0(VALU_DEP_1)
	v_cndmask_b32_e64 v73, 0, 1, s24
	v_not_b32_e32 v77, v70
	v_cmp_gt_i32_e64 s25, 0, v70
	v_not_b32_e32 v70, v71
	v_lshlrev_b32_e32 v75, 26, v3
	v_cmp_ne_u32_e64 s24, 0, v73
	v_ashrrev_i32_e32 v77, 31, v77
	v_lshlrev_b32_e32 v76, 25, v3
	v_ashrrev_i32_e32 v70, 31, v70
	v_lshlrev_b32_e32 v73, 24, v3
	v_xor_b32_e32 v69, s24, v69
	v_cmp_gt_i32_e64 s24, 0, v71
	v_not_b32_e32 v71, v72
	v_xor_b32_e32 v77, s25, v77
	v_cmp_gt_i32_e64 s25, 0, v72
	v_and_b32_e32 v69, exec_lo, v69
	v_not_b32_e32 v72, v74
	v_ashrrev_i32_e32 v71, 31, v71
	v_xor_b32_e32 v70, s24, v70
	v_cmp_gt_i32_e64 s24, 0, v74
	v_and_b32_e32 v69, v69, v77
	v_not_b32_e32 v74, v75
	v_ashrrev_i32_e32 v72, 31, v72
	v_xor_b32_e32 v71, s25, v71
	v_cmp_gt_i32_e64 s25, 0, v75
	v_and_b32_e32 v69, v69, v70
	;; [unrolled: 5-line block ×3, first 2 shown]
	v_not_b32_e32 v71, v73
	v_ashrrev_i32_e32 v70, 31, v70
	v_xor_b32_e32 v74, s25, v74
	v_mul_u32_u24_e32 v3, 9, v3
	v_and_b32_e32 v69, v69, v72
	v_cmp_gt_i32_e64 s25, 0, v73
	v_ashrrev_i32_e32 v71, 31, v71
	v_xor_b32_e32 v70, s24, v70
	s_delay_alu instid0(VALU_DEP_4) | instskip(SKIP_1) | instid1(VALU_DEP_4)
	v_and_b32_e32 v72, v69, v74
	v_add_lshl_u32 v69, v2, v3, 2
	v_xor_b32_e32 v3, s25, v71
	s_delay_alu instid0(VALU_DEP_3) | instskip(SKIP_2) | instid1(VALU_DEP_1)
	v_and_b32_e32 v70, v72, v70
	ds_load_b32 v84, v69 offset:32
	; wave barrier
	v_and_b32_e32 v3, v70, v3
	v_mbcnt_lo_u32_b32 v85, v3, 0
	v_cmp_ne_u32_e64 s25, 0, v3
	s_delay_alu instid0(VALU_DEP_2) | instskip(NEXT) | instid1(VALU_DEP_1)
	v_cmp_eq_u32_e64 s24, 0, v85
	s_and_b32 s25, s25, s24
	s_delay_alu instid0(SALU_CYCLE_1)
	s_and_saveexec_b32 s24, s25
	s_cbranch_execz .LBB48_77
; %bb.76:
	s_waitcnt lgkmcnt(0)
	v_bcnt_u32_b32 v3, v3, v84
	ds_store_b32 v69, v3 offset:32
.LBB48_77:
	s_or_b32 exec_lo, exec_lo, s24
	v_xor_b32_e32 v83, 0xffffff80, v9
	; wave barrier
	s_delay_alu instid0(VALU_DEP_1) | instskip(NEXT) | instid1(VALU_DEP_1)
	v_and_b32_e32 v3, 0xff, v83
	v_lshrrev_b32_e32 v3, s60, v3
	s_delay_alu instid0(VALU_DEP_1) | instskip(NEXT) | instid1(VALU_DEP_1)
	v_and_b32_e32 v3, s68, v3
	v_and_b32_e32 v9, 1, v3
	v_lshlrev_b32_e32 v70, 30, v3
	v_lshlrev_b32_e32 v71, 29, v3
	;; [unrolled: 1-line block ×4, first 2 shown]
	v_add_co_u32 v9, s24, v9, -1
	s_delay_alu instid0(VALU_DEP_1)
	v_cndmask_b32_e64 v73, 0, 1, s24
	v_not_b32_e32 v77, v70
	v_cmp_gt_i32_e64 s25, 0, v70
	v_not_b32_e32 v70, v71
	v_lshlrev_b32_e32 v75, 26, v3
	v_cmp_ne_u32_e64 s24, 0, v73
	v_ashrrev_i32_e32 v77, 31, v77
	v_lshlrev_b32_e32 v76, 25, v3
	v_ashrrev_i32_e32 v70, 31, v70
	v_lshlrev_b32_e32 v73, 24, v3
	v_xor_b32_e32 v9, s24, v9
	v_cmp_gt_i32_e64 s24, 0, v71
	v_not_b32_e32 v71, v72
	v_xor_b32_e32 v77, s25, v77
	v_cmp_gt_i32_e64 s25, 0, v72
	v_and_b32_e32 v9, exec_lo, v9
	v_not_b32_e32 v72, v74
	v_ashrrev_i32_e32 v71, 31, v71
	v_xor_b32_e32 v70, s24, v70
	v_cmp_gt_i32_e64 s24, 0, v74
	v_and_b32_e32 v9, v9, v77
	v_not_b32_e32 v74, v75
	v_ashrrev_i32_e32 v72, 31, v72
	v_xor_b32_e32 v71, s25, v71
	v_cmp_gt_i32_e64 s25, 0, v75
	v_and_b32_e32 v9, v9, v70
	v_not_b32_e32 v70, v76
	v_ashrrev_i32_e32 v74, 31, v74
	v_xor_b32_e32 v72, s24, v72
	v_cmp_gt_i32_e64 s24, 0, v76
	v_and_b32_e32 v9, v9, v71
	v_not_b32_e32 v71, v73
	v_ashrrev_i32_e32 v70, 31, v70
	v_xor_b32_e32 v74, s25, v74
	v_mul_u32_u24_e32 v3, 9, v3
	v_and_b32_e32 v9, v9, v72
	v_cmp_gt_i32_e64 s25, 0, v73
	v_ashrrev_i32_e32 v71, 31, v71
	v_xor_b32_e32 v72, s24, v70
	v_add_lshl_u32 v70, v2, v3, 2
	v_and_b32_e32 v9, v9, v74
	s_delay_alu instid0(VALU_DEP_4) | instskip(SKIP_2) | instid1(VALU_DEP_1)
	v_xor_b32_e32 v3, s25, v71
	ds_load_b32 v87, v70 offset:32
	v_and_b32_e32 v9, v9, v72
	; wave barrier
	v_and_b32_e32 v3, v9, v3
	s_delay_alu instid0(VALU_DEP_1) | instskip(SKIP_1) | instid1(VALU_DEP_2)
	v_mbcnt_lo_u32_b32 v88, v3, 0
	v_cmp_ne_u32_e64 s25, 0, v3
	v_cmp_eq_u32_e64 s24, 0, v88
	s_delay_alu instid0(VALU_DEP_1) | instskip(NEXT) | instid1(SALU_CYCLE_1)
	s_and_b32 s25, s25, s24
	s_and_saveexec_b32 s24, s25
	s_cbranch_execz .LBB48_79
; %bb.78:
	s_waitcnt lgkmcnt(0)
	v_bcnt_u32_b32 v3, v3, v87
	ds_store_b32 v70, v3 offset:32
.LBB48_79:
	s_or_b32 exec_lo, exec_lo, s24
	v_xor_b32_e32 v86, 0xffffff80, v8
	; wave barrier
	s_delay_alu instid0(VALU_DEP_1) | instskip(NEXT) | instid1(VALU_DEP_1)
	v_and_b32_e32 v3, 0xff, v86
	v_lshrrev_b32_e32 v3, s60, v3
	s_delay_alu instid0(VALU_DEP_1) | instskip(NEXT) | instid1(VALU_DEP_1)
	v_and_b32_e32 v3, s68, v3
	v_and_b32_e32 v8, 1, v3
	v_lshlrev_b32_e32 v9, 30, v3
	v_lshlrev_b32_e32 v71, 29, v3
	;; [unrolled: 1-line block ×4, first 2 shown]
	v_add_co_u32 v8, s24, v8, -1
	s_delay_alu instid0(VALU_DEP_1)
	v_cndmask_b32_e64 v73, 0, 1, s24
	v_not_b32_e32 v77, v9
	v_cmp_gt_i32_e64 s25, 0, v9
	v_not_b32_e32 v9, v71
	v_lshlrev_b32_e32 v75, 26, v3
	v_cmp_ne_u32_e64 s24, 0, v73
	v_ashrrev_i32_e32 v77, 31, v77
	v_lshlrev_b32_e32 v76, 25, v3
	v_ashrrev_i32_e32 v9, 31, v9
	v_lshlrev_b32_e32 v73, 24, v3
	v_xor_b32_e32 v8, s24, v8
	v_cmp_gt_i32_e64 s24, 0, v71
	v_not_b32_e32 v71, v72
	v_xor_b32_e32 v77, s25, v77
	v_cmp_gt_i32_e64 s25, 0, v72
	v_and_b32_e32 v8, exec_lo, v8
	v_not_b32_e32 v72, v74
	v_ashrrev_i32_e32 v71, 31, v71
	v_xor_b32_e32 v9, s24, v9
	v_cmp_gt_i32_e64 s24, 0, v74
	v_and_b32_e32 v8, v8, v77
	v_not_b32_e32 v74, v75
	v_ashrrev_i32_e32 v72, 31, v72
	v_xor_b32_e32 v71, s25, v71
	v_cmp_gt_i32_e64 s25, 0, v75
	v_and_b32_e32 v8, v8, v9
	;; [unrolled: 5-line block ×3, first 2 shown]
	v_not_b32_e32 v71, v73
	v_ashrrev_i32_e32 v9, 31, v9
	v_xor_b32_e32 v74, s25, v74
	v_mul_u32_u24_e32 v3, 9, v3
	v_and_b32_e32 v8, v8, v72
	v_cmp_gt_i32_e64 s25, 0, v73
	v_ashrrev_i32_e32 v72, 31, v71
	v_xor_b32_e32 v9, s24, v9
	v_add_lshl_u32 v71, v2, v3, 2
	v_and_b32_e32 v8, v8, v74
	s_delay_alu instid0(VALU_DEP_4) | instskip(SKIP_2) | instid1(VALU_DEP_1)
	v_xor_b32_e32 v3, s25, v72
	ds_load_b32 v90, v71 offset:32
	v_and_b32_e32 v8, v8, v9
	; wave barrier
	v_and_b32_e32 v3, v8, v3
	s_delay_alu instid0(VALU_DEP_1) | instskip(SKIP_1) | instid1(VALU_DEP_2)
	v_mbcnt_lo_u32_b32 v91, v3, 0
	v_cmp_ne_u32_e64 s25, 0, v3
	v_cmp_eq_u32_e64 s24, 0, v91
	s_delay_alu instid0(VALU_DEP_1) | instskip(NEXT) | instid1(SALU_CYCLE_1)
	s_and_b32 s25, s25, s24
	s_and_saveexec_b32 s24, s25
	s_cbranch_execz .LBB48_81
; %bb.80:
	s_waitcnt lgkmcnt(0)
	v_bcnt_u32_b32 v3, v3, v90
	ds_store_b32 v71, v3 offset:32
.LBB48_81:
	s_or_b32 exec_lo, exec_lo, s24
	v_xor_b32_e32 v89, 0xffffff80, v7
	; wave barrier
	s_delay_alu instid0(VALU_DEP_1) | instskip(NEXT) | instid1(VALU_DEP_1)
	v_and_b32_e32 v3, 0xff, v89
	v_lshrrev_b32_e32 v3, s60, v3
	s_delay_alu instid0(VALU_DEP_1) | instskip(NEXT) | instid1(VALU_DEP_1)
	v_and_b32_e32 v3, s68, v3
	v_and_b32_e32 v7, 1, v3
	v_lshlrev_b32_e32 v8, 30, v3
	v_lshlrev_b32_e32 v9, 29, v3
	;; [unrolled: 1-line block ×4, first 2 shown]
	v_add_co_u32 v7, s24, v7, -1
	s_delay_alu instid0(VALU_DEP_1)
	v_cndmask_b32_e64 v73, 0, 1, s24
	v_not_b32_e32 v77, v8
	v_cmp_gt_i32_e64 s25, 0, v8
	v_not_b32_e32 v8, v9
	v_lshlrev_b32_e32 v75, 26, v3
	v_cmp_ne_u32_e64 s24, 0, v73
	v_ashrrev_i32_e32 v77, 31, v77
	v_lshlrev_b32_e32 v76, 25, v3
	v_ashrrev_i32_e32 v8, 31, v8
	v_lshlrev_b32_e32 v73, 24, v3
	v_xor_b32_e32 v7, s24, v7
	v_cmp_gt_i32_e64 s24, 0, v9
	v_not_b32_e32 v9, v72
	v_xor_b32_e32 v77, s25, v77
	v_cmp_gt_i32_e64 s25, 0, v72
	v_and_b32_e32 v7, exec_lo, v7
	v_not_b32_e32 v72, v74
	v_ashrrev_i32_e32 v9, 31, v9
	v_xor_b32_e32 v8, s24, v8
	v_cmp_gt_i32_e64 s24, 0, v74
	v_and_b32_e32 v7, v7, v77
	v_not_b32_e32 v74, v75
	v_ashrrev_i32_e32 v72, 31, v72
	v_xor_b32_e32 v9, s25, v9
	v_cmp_gt_i32_e64 s25, 0, v75
	v_and_b32_e32 v7, v7, v8
	;; [unrolled: 5-line block ×3, first 2 shown]
	v_not_b32_e32 v9, v73
	v_ashrrev_i32_e32 v8, 31, v8
	v_xor_b32_e32 v74, s25, v74
	v_mul_u32_u24_e32 v3, 9, v3
	v_and_b32_e32 v7, v7, v72
	v_cmp_gt_i32_e64 s25, 0, v73
	v_ashrrev_i32_e32 v9, 31, v9
	v_xor_b32_e32 v8, s24, v8
	v_add_lshl_u32 v72, v2, v3, 2
	v_and_b32_e32 v7, v7, v74
	s_delay_alu instid0(VALU_DEP_4) | instskip(SKIP_2) | instid1(VALU_DEP_1)
	v_xor_b32_e32 v3, s25, v9
	ds_load_b32 v93, v72 offset:32
	v_and_b32_e32 v7, v7, v8
	; wave barrier
	v_and_b32_e32 v3, v7, v3
	s_delay_alu instid0(VALU_DEP_1) | instskip(SKIP_1) | instid1(VALU_DEP_2)
	v_mbcnt_lo_u32_b32 v94, v3, 0
	v_cmp_ne_u32_e64 s25, 0, v3
	v_cmp_eq_u32_e64 s24, 0, v94
	s_delay_alu instid0(VALU_DEP_1) | instskip(NEXT) | instid1(SALU_CYCLE_1)
	s_and_b32 s25, s25, s24
	s_and_saveexec_b32 s24, s25
	s_cbranch_execz .LBB48_83
; %bb.82:
	s_waitcnt lgkmcnt(0)
	v_bcnt_u32_b32 v3, v3, v93
	ds_store_b32 v72, v3 offset:32
.LBB48_83:
	s_or_b32 exec_lo, exec_lo, s24
	v_xor_b32_e32 v92, 0xffffff80, v6
	; wave barrier
	s_delay_alu instid0(VALU_DEP_1) | instskip(NEXT) | instid1(VALU_DEP_1)
	v_and_b32_e32 v3, 0xff, v92
	v_lshrrev_b32_e32 v3, s60, v3
	s_delay_alu instid0(VALU_DEP_1) | instskip(NEXT) | instid1(VALU_DEP_1)
	v_and_b32_e32 v3, s68, v3
	v_and_b32_e32 v6, 1, v3
	v_lshlrev_b32_e32 v7, 30, v3
	v_lshlrev_b32_e32 v8, 29, v3
	;; [unrolled: 1-line block ×4, first 2 shown]
	v_add_co_u32 v6, s24, v6, -1
	s_delay_alu instid0(VALU_DEP_1)
	v_cndmask_b32_e64 v73, 0, 1, s24
	v_not_b32_e32 v77, v7
	v_cmp_gt_i32_e64 s25, 0, v7
	v_not_b32_e32 v7, v8
	v_lshlrev_b32_e32 v75, 26, v3
	v_cmp_ne_u32_e64 s24, 0, v73
	v_ashrrev_i32_e32 v77, 31, v77
	v_lshlrev_b32_e32 v76, 25, v3
	v_ashrrev_i32_e32 v7, 31, v7
	v_lshlrev_b32_e32 v73, 24, v3
	v_xor_b32_e32 v6, s24, v6
	v_cmp_gt_i32_e64 s24, 0, v8
	v_not_b32_e32 v8, v9
	v_xor_b32_e32 v77, s25, v77
	v_cmp_gt_i32_e64 s25, 0, v9
	v_and_b32_e32 v6, exec_lo, v6
	v_not_b32_e32 v9, v74
	v_ashrrev_i32_e32 v8, 31, v8
	v_xor_b32_e32 v7, s24, v7
	v_cmp_gt_i32_e64 s24, 0, v74
	v_and_b32_e32 v6, v6, v77
	v_not_b32_e32 v74, v75
	v_ashrrev_i32_e32 v9, 31, v9
	v_xor_b32_e32 v8, s25, v8
	v_cmp_gt_i32_e64 s25, 0, v75
	v_and_b32_e32 v6, v6, v7
	v_not_b32_e32 v7, v76
	v_ashrrev_i32_e32 v74, 31, v74
	v_xor_b32_e32 v9, s24, v9
	v_cmp_gt_i32_e64 s24, 0, v76
	v_and_b32_e32 v6, v6, v8
	v_not_b32_e32 v8, v73
	v_ashrrev_i32_e32 v7, 31, v7
	v_xor_b32_e32 v74, s25, v74
	v_mul_u32_u24_e32 v3, 9, v3
	v_and_b32_e32 v6, v6, v9
	v_cmp_gt_i32_e64 s25, 0, v73
	v_ashrrev_i32_e32 v8, 31, v8
	v_xor_b32_e32 v7, s24, v7
	v_add_lshl_u32 v73, v2, v3, 2
	v_and_b32_e32 v6, v6, v74
	s_delay_alu instid0(VALU_DEP_4) | instskip(SKIP_2) | instid1(VALU_DEP_1)
	v_xor_b32_e32 v3, s25, v8
	ds_load_b32 v96, v73 offset:32
	v_and_b32_e32 v6, v6, v7
	; wave barrier
	v_and_b32_e32 v3, v6, v3
	s_delay_alu instid0(VALU_DEP_1) | instskip(SKIP_1) | instid1(VALU_DEP_2)
	v_mbcnt_lo_u32_b32 v97, v3, 0
	v_cmp_ne_u32_e64 s25, 0, v3
	v_cmp_eq_u32_e64 s24, 0, v97
	s_delay_alu instid0(VALU_DEP_1) | instskip(NEXT) | instid1(SALU_CYCLE_1)
	s_and_b32 s25, s25, s24
	s_and_saveexec_b32 s24, s25
	s_cbranch_execz .LBB48_85
; %bb.84:
	s_waitcnt lgkmcnt(0)
	v_bcnt_u32_b32 v3, v3, v96
	ds_store_b32 v73, v3 offset:32
.LBB48_85:
	s_or_b32 exec_lo, exec_lo, s24
	v_xor_b32_e32 v95, 0xffffff80, v5
	; wave barrier
	s_delay_alu instid0(VALU_DEP_1) | instskip(NEXT) | instid1(VALU_DEP_1)
	v_and_b32_e32 v3, 0xff, v95
	v_lshrrev_b32_e32 v3, s60, v3
	s_delay_alu instid0(VALU_DEP_1) | instskip(NEXT) | instid1(VALU_DEP_1)
	v_and_b32_e32 v3, s68, v3
	v_and_b32_e32 v5, 1, v3
	v_lshlrev_b32_e32 v6, 30, v3
	v_lshlrev_b32_e32 v7, 29, v3
	v_lshlrev_b32_e32 v8, 28, v3
	v_lshlrev_b32_e32 v74, 27, v3
	v_add_co_u32 v5, s24, v5, -1
	s_delay_alu instid0(VALU_DEP_1)
	v_cndmask_b32_e64 v9, 0, 1, s24
	v_not_b32_e32 v77, v6
	v_cmp_gt_i32_e64 s25, 0, v6
	v_not_b32_e32 v6, v7
	v_lshlrev_b32_e32 v75, 26, v3
	v_cmp_ne_u32_e64 s24, 0, v9
	v_ashrrev_i32_e32 v77, 31, v77
	v_lshlrev_b32_e32 v76, 25, v3
	v_ashrrev_i32_e32 v6, 31, v6
	v_lshlrev_b32_e32 v9, 24, v3
	v_xor_b32_e32 v5, s24, v5
	v_cmp_gt_i32_e64 s24, 0, v7
	v_not_b32_e32 v7, v8
	v_xor_b32_e32 v77, s25, v77
	v_cmp_gt_i32_e64 s25, 0, v8
	v_and_b32_e32 v5, exec_lo, v5
	v_not_b32_e32 v8, v74
	v_ashrrev_i32_e32 v7, 31, v7
	v_xor_b32_e32 v6, s24, v6
	v_cmp_gt_i32_e64 s24, 0, v74
	v_and_b32_e32 v5, v5, v77
	v_not_b32_e32 v74, v75
	v_ashrrev_i32_e32 v8, 31, v8
	v_xor_b32_e32 v7, s25, v7
	v_cmp_gt_i32_e64 s25, 0, v75
	v_and_b32_e32 v5, v5, v6
	;; [unrolled: 5-line block ×3, first 2 shown]
	v_not_b32_e32 v7, v9
	v_ashrrev_i32_e32 v6, 31, v6
	v_xor_b32_e32 v74, s25, v74
	v_mul_u32_u24_e32 v3, 9, v3
	v_and_b32_e32 v5, v5, v8
	v_cmp_gt_i32_e64 s25, 0, v9
	v_ashrrev_i32_e32 v7, 31, v7
	v_xor_b32_e32 v6, s24, v6
	s_delay_alu instid0(VALU_DEP_4) | instskip(SKIP_1) | instid1(VALU_DEP_4)
	v_and_b32_e32 v5, v5, v74
	v_add_lshl_u32 v74, v2, v3, 2
	v_xor_b32_e32 v3, s25, v7
	s_delay_alu instid0(VALU_DEP_3) | instskip(SKIP_2) | instid1(VALU_DEP_1)
	v_and_b32_e32 v5, v5, v6
	ds_load_b32 v99, v74 offset:32
	; wave barrier
	v_and_b32_e32 v3, v5, v3
	v_mbcnt_lo_u32_b32 v100, v3, 0
	v_cmp_ne_u32_e64 s25, 0, v3
	s_delay_alu instid0(VALU_DEP_2) | instskip(NEXT) | instid1(VALU_DEP_1)
	v_cmp_eq_u32_e64 s24, 0, v100
	s_and_b32 s25, s25, s24
	s_delay_alu instid0(SALU_CYCLE_1)
	s_and_saveexec_b32 s24, s25
	s_cbranch_execz .LBB48_87
; %bb.86:
	s_waitcnt lgkmcnt(0)
	v_bcnt_u32_b32 v3, v3, v99
	ds_store_b32 v74, v3 offset:32
.LBB48_87:
	s_or_b32 exec_lo, exec_lo, s24
	v_xor_b32_e32 v98, 0xffffff80, v4
	; wave barrier
	s_delay_alu instid0(VALU_DEP_1) | instskip(NEXT) | instid1(VALU_DEP_1)
	v_and_b32_e32 v3, 0xff, v98
	v_lshrrev_b32_e32 v3, s60, v3
	s_delay_alu instid0(VALU_DEP_1) | instskip(NEXT) | instid1(VALU_DEP_1)
	v_and_b32_e32 v3, s68, v3
	v_and_b32_e32 v4, 1, v3
	v_lshlrev_b32_e32 v5, 30, v3
	v_lshlrev_b32_e32 v6, 29, v3
	;; [unrolled: 1-line block ×4, first 2 shown]
	v_add_co_u32 v4, s24, v4, -1
	s_delay_alu instid0(VALU_DEP_1)
	v_cndmask_b32_e64 v8, 0, 1, s24
	v_not_b32_e32 v77, v5
	v_cmp_gt_i32_e64 s25, 0, v5
	v_not_b32_e32 v5, v6
	v_lshlrev_b32_e32 v75, 26, v3
	v_cmp_ne_u32_e64 s24, 0, v8
	v_ashrrev_i32_e32 v77, 31, v77
	v_lshlrev_b32_e32 v76, 25, v3
	v_ashrrev_i32_e32 v5, 31, v5
	v_lshlrev_b32_e32 v8, 24, v3
	v_xor_b32_e32 v4, s24, v4
	v_cmp_gt_i32_e64 s24, 0, v6
	v_not_b32_e32 v6, v7
	v_xor_b32_e32 v77, s25, v77
	v_cmp_gt_i32_e64 s25, 0, v7
	v_and_b32_e32 v4, exec_lo, v4
	v_not_b32_e32 v7, v9
	v_ashrrev_i32_e32 v6, 31, v6
	v_xor_b32_e32 v5, s24, v5
	v_cmp_gt_i32_e64 s24, 0, v9
	v_and_b32_e32 v4, v4, v77
	v_not_b32_e32 v9, v75
	v_ashrrev_i32_e32 v7, 31, v7
	v_xor_b32_e32 v6, s25, v6
	v_cmp_gt_i32_e64 s25, 0, v75
	v_and_b32_e32 v4, v4, v5
	;; [unrolled: 5-line block ×3, first 2 shown]
	v_not_b32_e32 v6, v8
	v_ashrrev_i32_e32 v5, 31, v5
	v_xor_b32_e32 v9, s25, v9
	v_mul_u32_u24_e32 v3, 9, v3
	v_and_b32_e32 v4, v4, v7
	v_cmp_gt_i32_e64 s25, 0, v8
	v_ashrrev_i32_e32 v6, 31, v6
	v_xor_b32_e32 v5, s24, v5
	v_add_lshl_u32 v75, v2, v3, 2
	v_and_b32_e32 v4, v4, v9
	v_add_nc_u32_e32 v76, 32, v15
	v_xor_b32_e32 v2, s25, v6
	ds_load_b32 v101, v75 offset:32
	v_and_b32_e32 v3, v4, v5
	; wave barrier
	s_delay_alu instid0(VALU_DEP_1) | instskip(NEXT) | instid1(VALU_DEP_1)
	v_and_b32_e32 v2, v3, v2
	v_mbcnt_lo_u32_b32 v102, v2, 0
	v_cmp_ne_u32_e64 s25, 0, v2
	s_delay_alu instid0(VALU_DEP_2) | instskip(NEXT) | instid1(VALU_DEP_1)
	v_cmp_eq_u32_e64 s24, 0, v102
	s_and_b32 s25, s25, s24
	s_delay_alu instid0(SALU_CYCLE_1)
	s_and_saveexec_b32 s24, s25
	s_cbranch_execz .LBB48_89
; %bb.88:
	s_waitcnt lgkmcnt(0)
	v_bcnt_u32_b32 v2, v2, v101
	ds_store_b32 v75, v2 offset:32
.LBB48_89:
	s_or_b32 exec_lo, exec_lo, s24
	; wave barrier
	s_waitcnt lgkmcnt(0)
	s_barrier
	buffer_gl0_inv
	ds_load_2addr_b32 v[8:9], v15 offset0:8 offset1:9
	ds_load_2addr_b32 v[6:7], v76 offset0:2 offset1:3
	;; [unrolled: 1-line block ×4, first 2 shown]
	ds_load_b32 v77, v76 offset:32
	v_min_u32_e32 v11, 0xe0, v11
	s_mov_b32 s25, exec_lo
	s_delay_alu instid0(VALU_DEP_1) | instskip(SKIP_3) | instid1(VALU_DEP_1)
	v_or_b32_e32 v105, 31, v11
	s_waitcnt lgkmcnt(3)
	v_add3_u32 v103, v9, v8, v6
	s_waitcnt lgkmcnt(2)
	v_add3_u32 v103, v103, v7, v4
	s_waitcnt lgkmcnt(1)
	s_delay_alu instid0(VALU_DEP_1) | instskip(SKIP_1) | instid1(VALU_DEP_1)
	v_add3_u32 v103, v103, v5, v2
	s_waitcnt lgkmcnt(0)
	v_add3_u32 v77, v103, v3, v77
	v_and_b32_e32 v103, 15, v51
	s_delay_alu instid0(VALU_DEP_2) | instskip(NEXT) | instid1(VALU_DEP_2)
	v_mov_b32_dpp v104, v77 row_shr:1 row_mask:0xf bank_mask:0xf
	v_cmp_ne_u32_e64 s24, 0, v103
	s_delay_alu instid0(VALU_DEP_1) | instskip(SKIP_1) | instid1(VALU_DEP_2)
	v_cndmask_b32_e64 v104, 0, v104, s24
	v_cmp_lt_u32_e64 s24, 1, v103
	v_add_nc_u32_e32 v77, v104, v77
	s_delay_alu instid0(VALU_DEP_1) | instskip(NEXT) | instid1(VALU_DEP_1)
	v_mov_b32_dpp v104, v77 row_shr:2 row_mask:0xf bank_mask:0xf
	v_cndmask_b32_e64 v104, 0, v104, s24
	v_cmp_lt_u32_e64 s24, 3, v103
	s_delay_alu instid0(VALU_DEP_2) | instskip(NEXT) | instid1(VALU_DEP_1)
	v_add_nc_u32_e32 v77, v77, v104
	v_mov_b32_dpp v104, v77 row_shr:4 row_mask:0xf bank_mask:0xf
	s_delay_alu instid0(VALU_DEP_1) | instskip(SKIP_1) | instid1(VALU_DEP_2)
	v_cndmask_b32_e64 v104, 0, v104, s24
	v_cmp_lt_u32_e64 s24, 7, v103
	v_add_nc_u32_e32 v77, v77, v104
	s_delay_alu instid0(VALU_DEP_1) | instskip(NEXT) | instid1(VALU_DEP_1)
	v_mov_b32_dpp v104, v77 row_shr:8 row_mask:0xf bank_mask:0xf
	v_cndmask_b32_e64 v103, 0, v104, s24
	v_bfe_i32 v104, v51, 4, 1
	s_delay_alu instid0(VALU_DEP_2) | instskip(SKIP_4) | instid1(VALU_DEP_2)
	v_add_nc_u32_e32 v103, v77, v103
	ds_swizzle_b32 v77, v103 offset:swizzle(BROADCAST,32,15)
	s_waitcnt lgkmcnt(0)
	v_and_b32_e32 v104, v104, v77
	v_lshrrev_b32_e32 v77, 5, v1
	v_add_nc_u32_e32 v11, v103, v104
	v_cmpx_eq_u32_e64 v105, v1
	s_cbranch_execz .LBB48_91
; %bb.90:
	s_delay_alu instid0(VALU_DEP_3)
	v_lshlrev_b32_e32 v103, 2, v77
	ds_store_b32 v103, v11
.LBB48_91:
	s_or_b32 exec_lo, exec_lo, s25
	s_delay_alu instid0(SALU_CYCLE_1)
	s_mov_b32 s25, exec_lo
	s_waitcnt lgkmcnt(0)
	s_barrier
	buffer_gl0_inv
	v_cmpx_gt_u32_e32 8, v1
	s_cbranch_execz .LBB48_93
; %bb.92:
	v_lshlrev_b32_e32 v103, 2, v1
	v_and_b32_e32 v105, 7, v51
	ds_load_b32 v104, v103
	v_cmp_ne_u32_e64 s24, 0, v105
	s_waitcnt lgkmcnt(0)
	v_mov_b32_dpp v106, v104 row_shr:1 row_mask:0xf bank_mask:0xf
	s_delay_alu instid0(VALU_DEP_1) | instskip(SKIP_1) | instid1(VALU_DEP_2)
	v_cndmask_b32_e64 v106, 0, v106, s24
	v_cmp_lt_u32_e64 s24, 1, v105
	v_add_nc_u32_e32 v104, v106, v104
	s_delay_alu instid0(VALU_DEP_1) | instskip(NEXT) | instid1(VALU_DEP_1)
	v_mov_b32_dpp v106, v104 row_shr:2 row_mask:0xf bank_mask:0xf
	v_cndmask_b32_e64 v106, 0, v106, s24
	v_cmp_lt_u32_e64 s24, 3, v105
	s_delay_alu instid0(VALU_DEP_2) | instskip(NEXT) | instid1(VALU_DEP_1)
	v_add_nc_u32_e32 v104, v104, v106
	v_mov_b32_dpp v106, v104 row_shr:4 row_mask:0xf bank_mask:0xf
	s_delay_alu instid0(VALU_DEP_1) | instskip(NEXT) | instid1(VALU_DEP_1)
	v_cndmask_b32_e64 v105, 0, v106, s24
	v_add_nc_u32_e32 v104, v104, v105
	ds_store_b32 v103, v104
.LBB48_93:
	s_or_b32 exec_lo, exec_lo, s25
	v_mov_b32_e32 v103, 0
	s_mov_b32 s25, exec_lo
	s_waitcnt lgkmcnt(0)
	s_barrier
	buffer_gl0_inv
	v_cmpx_lt_u32_e32 31, v1
	s_cbranch_execz .LBB48_95
; %bb.94:
	v_lshl_add_u32 v77, v77, 2, -4
	ds_load_b32 v103, v77
.LBB48_95:
	s_or_b32 exec_lo, exec_lo, s25
	v_add_nc_u32_e32 v77, -1, v51
	s_waitcnt lgkmcnt(0)
	v_add_nc_u32_e32 v11, v103, v11
	s_mov_b32 s25, 0
	s_mov_b32 s26, exec_lo
	v_cmp_gt_i32_e64 s24, 0, v77
	s_delay_alu instid0(VALU_DEP_1) | instskip(SKIP_1) | instid1(VALU_DEP_2)
	v_cndmask_b32_e64 v77, v77, v51, s24
	v_cmp_eq_u32_e64 s24, 0, v51
	v_lshlrev_b32_e32 v77, 2, v77
	ds_bpermute_b32 v11, v77, v11
	s_waitcnt lgkmcnt(0)
	v_cndmask_b32_e64 v11, v11, v103, s24
	v_cmp_ne_u32_e64 s24, 0, v1
	s_delay_alu instid0(VALU_DEP_1) | instskip(NEXT) | instid1(VALU_DEP_1)
	v_cndmask_b32_e64 v11, 0, v11, s24
	v_add_nc_u32_e32 v8, v11, v8
	s_delay_alu instid0(VALU_DEP_1) | instskip(NEXT) | instid1(VALU_DEP_1)
	v_add_nc_u32_e32 v9, v8, v9
	v_add_nc_u32_e32 v6, v9, v6
	s_delay_alu instid0(VALU_DEP_1) | instskip(NEXT) | instid1(VALU_DEP_1)
	v_add_nc_u32_e32 v7, v6, v7
	;; [unrolled: 3-line block ×3, first 2 shown]
	v_add_nc_u32_e32 v2, v5, v2
	s_delay_alu instid0(VALU_DEP_1)
	v_add_nc_u32_e32 v3, v2, v3
	ds_store_2addr_b32 v15, v11, v8 offset0:8 offset1:9
	ds_store_2addr_b32 v76, v9, v6 offset0:2 offset1:3
	;; [unrolled: 1-line block ×4, first 2 shown]
	ds_store_b32 v76, v3 offset:32
	v_mov_b32_e32 v2, 0x1600
	s_waitcnt lgkmcnt(0)
	s_barrier
	buffer_gl0_inv
	ds_load_b32 v4, v20 offset:32
	ds_load_b32 v5, v24 offset:32
	;; [unrolled: 1-line block ×23, first 2 shown]
	v_add_nc_u32_e32 v15, 1, v1
	s_delay_alu instid0(VALU_DEP_1)
	v_cmpx_ne_u32_e32 0x100, v15
	s_cbranch_execz .LBB48_97
; %bb.96:
	v_mul_u32_u24_e32 v2, 9, v15
	s_delay_alu instid0(VALU_DEP_1)
	v_lshlrev_b32_e32 v2, 2, v2
	ds_load_b32 v2, v2 offset:32
.LBB48_97:
	s_or_b32 exec_lo, exec_lo, s26
	s_waitcnt lgkmcnt(22)
	v_add3_u32 v76, v19, v18, v4
	s_waitcnt lgkmcnt(21)
	v_add3_u32 v75, v23, v22, v5
	v_lshl_add_u32 v4, s15, 8, v1
	v_mov_b32_e32 v5, 0
	s_waitcnt lgkmcnt(20)
	v_add3_u32 v74, v27, v26, v6
	s_waitcnt lgkmcnt(19)
	v_add3_u32 v73, v31, v30, v7
	;; [unrolled: 2-line block ×4, first 2 shown]
	v_lshlrev_b64 v[6:7], 2, v[4:5]
	s_waitcnt lgkmcnt(0)
	v_sub_nc_u32_e32 v52, v2, v3
	v_dual_mov_b32 v2, 0 :: v_dual_add_nc_u32 v77, v16, v14
	v_add3_u32 v72, v35, v34, v8
	v_add3_u32 v71, v39, v38, v9
	v_add_co_u32 v6, s24, s66, v6
	v_add3_u32 v70, v44, v43, v11
	v_add3_u32 v69, v49, v48, v20
	v_add3_u32 v68, v55, v54, v24
	v_add3_u32 v67, v60, v59, v28
	v_add3_u32 v65, v78, v65, v36
	v_add3_u32 v64, v80, v79, v40
	v_add3_u32 v63, v82, v81, v45
	v_add3_u32 v61, v88, v87, v57
	v_add3_u32 v60, v91, v90, v103
	v_add3_u32 v59, v94, v93, v104
	v_add3_u32 v57, v97, v96, v105
	v_add3_u32 v55, v100, v99, v106
	v_add3_u32 v54, v102, v101, v107
	v_add_co_ci_u32_e64 v7, s24, s67, v7, s24
	v_or_b32_e32 v4, 2.0, v52
	s_mov_b32 s26, s63
	s_barrier
	buffer_gl0_inv
	ds_store_b8 v77, v12 offset:2048
	ds_store_b8 v76, v13 offset:2048
	ds_store_b8 v75, v17 offset:2048
	ds_store_b8 v74, v21 offset:2048
	ds_store_b8 v73, v25 offset:2048
	ds_store_b8 v72, v29 offset:2048
	ds_store_b8 v71, v33 offset:2048
	ds_store_b8 v70, v37 offset:2048
	ds_store_b8 v69, v42 offset:2048
	ds_store_b8 v68, v47 offset:2048
	ds_store_b8 v67, v53 offset:2048
	ds_store_b8 v66, v58 offset:2048
	ds_store_b8 v65, v56 offset:2048
	ds_store_b8 v64, v50 offset:2048
	ds_store_b8 v63, v46 offset:2048
	ds_store_b8 v62, v41 offset:2048
	ds_store_b8 v61, v83 offset:2048
	ds_store_b8 v60, v86 offset:2048
	ds_store_b8 v59, v89 offset:2048
	ds_store_b8 v57, v92 offset:2048
	ds_store_b8 v55, v95 offset:2048
	ds_store_b8 v54, v98 offset:2048
	s_waitcnt lgkmcnt(0)
	s_barrier
	buffer_gl0_inv
	global_store_b32 v[6:7], v4, off
                                        ; implicit-def: $sgpr24
	s_branch .LBB48_99
	.p2align	6
.LBB48_98:                              ;   in Loop: Header=BB48_99 Depth=1
	s_or_b32 exec_lo, exec_lo, s27
	v_and_b32_e32 v8, 0x3fffffff, v11
	v_cmp_eq_u32_e64 s24, 0x80000000, v4
	s_delay_alu instid0(VALU_DEP_2) | instskip(NEXT) | instid1(VALU_DEP_2)
	v_add_nc_u32_e32 v2, v8, v2
	s_and_b32 s27, exec_lo, s24
	s_delay_alu instid0(SALU_CYCLE_1) | instskip(NEXT) | instid1(SALU_CYCLE_1)
	s_or_b32 s25, s27, s25
	s_and_not1_b32 exec_lo, exec_lo, s25
	s_cbranch_execz .LBB48_105
.LBB48_99:                              ; =>This Loop Header: Depth=1
                                        ;     Child Loop BB48_102 Depth 2
	s_or_b32 s24, s24, exec_lo
	s_cmp_eq_u32 s26, 0
	s_cbranch_scc1 .LBB48_104
; %bb.100:                              ;   in Loop: Header=BB48_99 Depth=1
	s_add_i32 s26, s26, -1
	s_mov_b32 s27, exec_lo
	v_lshl_add_u32 v4, s26, 8, v1
	s_delay_alu instid0(VALU_DEP_1) | instskip(NEXT) | instid1(VALU_DEP_1)
	v_lshlrev_b64 v[8:9], 2, v[4:5]
	v_add_co_u32 v8, s24, s66, v8
	s_delay_alu instid0(VALU_DEP_1) | instskip(SKIP_3) | instid1(VALU_DEP_1)
	v_add_co_ci_u32_e64 v9, s24, s67, v9, s24
	global_load_b32 v11, v[8:9], off glc
	s_waitcnt vmcnt(0)
	v_and_b32_e32 v4, -2.0, v11
	v_cmpx_eq_u32_e32 0, v4
	s_cbranch_execz .LBB48_98
; %bb.101:                              ;   in Loop: Header=BB48_99 Depth=1
	s_mov_b32 s28, 0
.LBB48_102:                             ;   Parent Loop BB48_99 Depth=1
                                        ; =>  This Inner Loop Header: Depth=2
	global_load_b32 v11, v[8:9], off glc
	s_waitcnt vmcnt(0)
	v_and_b32_e32 v4, -2.0, v11
	s_delay_alu instid0(VALU_DEP_1) | instskip(NEXT) | instid1(VALU_DEP_1)
	v_cmp_ne_u32_e64 s24, 0, v4
	s_or_b32 s28, s24, s28
	s_delay_alu instid0(SALU_CYCLE_1)
	s_and_not1_b32 exec_lo, exec_lo, s28
	s_cbranch_execnz .LBB48_102
; %bb.103:                              ;   in Loop: Header=BB48_99 Depth=1
	s_or_b32 exec_lo, exec_lo, s28
	s_branch .LBB48_98
.LBB48_104:                             ;   in Loop: Header=BB48_99 Depth=1
                                        ; implicit-def: $sgpr26
	s_and_b32 s27, exec_lo, s24
	s_delay_alu instid0(SALU_CYCLE_1) | instskip(NEXT) | instid1(SALU_CYCLE_1)
	s_or_b32 s25, s27, s25
	s_and_not1_b32 exec_lo, exec_lo, s25
	s_cbranch_execnz .LBB48_99
.LBB48_105:
	s_or_b32 exec_lo, exec_lo, s25
	v_add_nc_u32_e32 v4, v2, v52
	v_lshlrev_b32_e32 v53, 3, v1
	s_delay_alu instid0(VALU_DEP_2)
	v_or_b32_e32 v4, 0x80000000, v4
	global_store_b32 v[6:7], v4, off
	v_sub_co_u32 v6, s24, v2, v3
	v_mov_b32_e32 v2, 0
	global_load_b64 v[4:5], v53, s[56:57]
	v_sub_co_ci_u32_e64 v7, null, 0, 0, s24
	s_waitcnt vmcnt(0)
	v_add_co_u32 v6, s24, v6, v4
	s_delay_alu instid0(VALU_DEP_1)
	v_add_co_ci_u32_e64 v7, s24, v7, v5, s24
	v_cmp_gt_u32_e64 s24, s47, v1
	v_mov_b32_e32 v4, v2
	ds_store_b64 v53, v[6:7]
	s_waitcnt lgkmcnt(0)
	s_waitcnt_vscnt null, 0x0
	s_barrier
	buffer_gl0_inv
	s_and_saveexec_b32 s26, s24
	s_cbranch_execz .LBB48_107
; %bb.106:
	ds_load_u8 v7, v1 offset:2048
	s_waitcnt lgkmcnt(0)
	v_and_b32_e32 v5, 0xff, v7
	v_xor_b32_e32 v7, 0x80, v7
	s_delay_alu instid0(VALU_DEP_2) | instskip(NEXT) | instid1(VALU_DEP_1)
	v_lshrrev_b32_e32 v5, s60, v5
	v_and_b32_e32 v5, s68, v5
	s_delay_alu instid0(VALU_DEP_1) | instskip(SKIP_3) | instid1(VALU_DEP_1)
	v_lshlrev_b32_e32 v5, 3, v5
	ds_load_b64 v[5:6], v5
	s_waitcnt lgkmcnt(0)
	v_add_co_u32 v5, s25, s50, v5
	v_add_co_ci_u32_e64 v6, s25, s51, v6, s25
	s_delay_alu instid0(VALU_DEP_2) | instskip(NEXT) | instid1(VALU_DEP_1)
	v_add_co_u32 v5, s25, v5, v1
	v_add_co_ci_u32_e64 v6, s25, 0, v6, s25
	global_store_b8 v[5:6], v7, off
.LBB48_107:
	s_or_b32 exec_lo, exec_lo, s26
	v_add_nc_u32_e32 v5, 0x100, v1
	s_delay_alu instid0(VALU_DEP_1) | instskip(NEXT) | instid1(VALU_DEP_1)
	v_cmp_gt_u32_e64 s25, s47, v5
	s_and_saveexec_b32 s27, s25
	s_cbranch_execz .LBB48_109
; %bb.108:
	ds_load_u8 v7, v1 offset:2304
	s_waitcnt lgkmcnt(0)
	v_and_b32_e32 v5, 0xff, v7
	v_xor_b32_e32 v7, 0x80, v7
	s_delay_alu instid0(VALU_DEP_2) | instskip(NEXT) | instid1(VALU_DEP_1)
	v_lshrrev_b32_e32 v5, s60, v5
	v_and_b32_e32 v5, s68, v5
	s_delay_alu instid0(VALU_DEP_1) | instskip(SKIP_3) | instid1(VALU_DEP_1)
	v_lshlrev_b32_e32 v5, 3, v5
	ds_load_b64 v[5:6], v5
	s_waitcnt lgkmcnt(0)
	v_add_co_u32 v5, s26, s50, v5
	v_add_co_ci_u32_e64 v6, s26, s51, v6, s26
	s_delay_alu instid0(VALU_DEP_2) | instskip(NEXT) | instid1(VALU_DEP_1)
	v_add_co_u32 v5, s26, v5, v1
	v_add_co_ci_u32_e64 v6, s26, 0, v6, s26
	global_store_b8 v[5:6], v7, off offset:256
.LBB48_109:
	s_or_b32 exec_lo, exec_lo, s27
	v_add_nc_u32_e32 v56, 0x200, v1
	s_delay_alu instid0(VALU_DEP_1) | instskip(NEXT) | instid1(VALU_DEP_1)
	v_cmp_gt_u32_e64 s26, s47, v56
	s_and_saveexec_b32 s28, s26
	s_cbranch_execz .LBB48_111
; %bb.110:
	ds_load_u8 v7, v1 offset:2560
	s_waitcnt lgkmcnt(0)
	v_and_b32_e32 v5, 0xff, v7
	v_xor_b32_e32 v7, 0x80, v7
	s_delay_alu instid0(VALU_DEP_2) | instskip(NEXT) | instid1(VALU_DEP_1)
	v_lshrrev_b32_e32 v5, s60, v5
	v_and_b32_e32 v5, s68, v5
	s_delay_alu instid0(VALU_DEP_1) | instskip(SKIP_3) | instid1(VALU_DEP_1)
	v_lshlrev_b32_e32 v5, 3, v5
	ds_load_b64 v[5:6], v5
	s_waitcnt lgkmcnt(0)
	v_add_co_u32 v5, s27, s50, v5
	v_add_co_ci_u32_e64 v6, s27, s51, v6, s27
	s_delay_alu instid0(VALU_DEP_2) | instskip(NEXT) | instid1(VALU_DEP_1)
	v_add_co_u32 v5, s27, v5, v1
	v_add_co_ci_u32_e64 v6, s27, 0, v6, s27
	global_store_b8 v[5:6], v7, off offset:512
.LBB48_111:
	;; [unrolled: 25-line block ×3, first 2 shown]
	s_or_b32 exec_lo, exec_lo, s29
	v_or_b32_e32 v78, 0x400, v1
	s_delay_alu instid0(VALU_DEP_1) | instskip(NEXT) | instid1(VALU_DEP_1)
	v_cmp_gt_u32_e64 s28, s47, v78
	s_and_saveexec_b32 s30, s28
	s_cbranch_execz .LBB48_115
; %bb.114:
	ds_load_u8 v7, v1 offset:3072
	s_waitcnt lgkmcnt(0)
	v_and_b32_e32 v5, 0xff, v7
	v_xor_b32_e32 v7, 0x80, v7
	s_delay_alu instid0(VALU_DEP_2) | instskip(NEXT) | instid1(VALU_DEP_1)
	v_lshrrev_b32_e32 v5, s60, v5
	v_and_b32_e32 v5, s68, v5
	s_delay_alu instid0(VALU_DEP_1) | instskip(SKIP_3) | instid1(VALU_DEP_1)
	v_lshlrev_b32_e32 v5, 3, v5
	ds_load_b64 v[5:6], v5
	s_waitcnt lgkmcnt(0)
	v_add_co_u32 v5, s29, s50, v5
	v_add_co_ci_u32_e64 v6, s29, s51, v6, s29
	s_delay_alu instid0(VALU_DEP_2) | instskip(NEXT) | instid1(VALU_DEP_1)
	v_add_co_u32 v5, s29, v5, v1
	v_add_co_ci_u32_e64 v6, s29, 0, v6, s29
	global_store_b8 v[5:6], v7, off offset:1024
.LBB48_115:
	s_or_b32 exec_lo, exec_lo, s30
	v_add_nc_u32_e32 v79, 0x500, v1
	s_delay_alu instid0(VALU_DEP_1) | instskip(NEXT) | instid1(VALU_DEP_1)
	v_cmp_gt_u32_e64 s29, s47, v79
	s_and_saveexec_b32 s31, s29
	s_cbranch_execz .LBB48_117
; %bb.116:
	ds_load_u8 v7, v1 offset:3328
	s_waitcnt lgkmcnt(0)
	v_and_b32_e32 v5, 0xff, v7
	v_xor_b32_e32 v7, 0x80, v7
	s_delay_alu instid0(VALU_DEP_2) | instskip(NEXT) | instid1(VALU_DEP_1)
	v_lshrrev_b32_e32 v5, s60, v5
	v_and_b32_e32 v5, s68, v5
	s_delay_alu instid0(VALU_DEP_1) | instskip(SKIP_3) | instid1(VALU_DEP_1)
	v_lshlrev_b32_e32 v5, 3, v5
	ds_load_b64 v[5:6], v5
	s_waitcnt lgkmcnt(0)
	v_add_co_u32 v5, s30, s50, v5
	v_add_co_ci_u32_e64 v6, s30, s51, v6, s30
	s_delay_alu instid0(VALU_DEP_2) | instskip(NEXT) | instid1(VALU_DEP_1)
	v_add_co_u32 v5, s30, v5, v1
	v_add_co_ci_u32_e64 v6, s30, 0, v6, s30
	global_store_b8 v[5:6], v7, off offset:1280
.LBB48_117:
	s_or_b32 exec_lo, exec_lo, s31
	v_add_nc_u32_e32 v80, 0x600, v1
	;; [unrolled: 25-line block ×3, first 2 shown]
	s_delay_alu instid0(VALU_DEP_1) | instskip(NEXT) | instid1(VALU_DEP_1)
	v_cmp_gt_u32_e64 s31, s47, v81
	s_and_saveexec_b32 s34, s31
	s_cbranch_execz .LBB48_121
; %bb.120:
	ds_load_u8 v7, v1 offset:3840
	s_waitcnt lgkmcnt(0)
	v_and_b32_e32 v5, 0xff, v7
	v_xor_b32_e32 v7, 0x80, v7
	s_delay_alu instid0(VALU_DEP_2) | instskip(NEXT) | instid1(VALU_DEP_1)
	v_lshrrev_b32_e32 v5, s60, v5
	v_and_b32_e32 v5, s68, v5
	s_delay_alu instid0(VALU_DEP_1) | instskip(SKIP_3) | instid1(VALU_DEP_1)
	v_lshlrev_b32_e32 v5, 3, v5
	ds_load_b64 v[5:6], v5
	s_waitcnt lgkmcnt(0)
	v_add_co_u32 v5, s33, s50, v5
	v_add_co_ci_u32_e64 v6, s33, s51, v6, s33
	s_delay_alu instid0(VALU_DEP_2) | instskip(NEXT) | instid1(VALU_DEP_1)
	v_add_co_u32 v5, s33, v5, v1
	v_add_co_ci_u32_e64 v6, s33, 0, v6, s33
	global_store_b8 v[5:6], v7, off offset:1792
.LBB48_121:
	s_or_b32 exec_lo, exec_lo, s34
	v_or_b32_e32 v82, 0x800, v1
	s_delay_alu instid0(VALU_DEP_1) | instskip(NEXT) | instid1(VALU_DEP_1)
	v_cmp_gt_u32_e64 s33, s47, v82
	s_and_saveexec_b32 s35, s33
	s_cbranch_execz .LBB48_123
; %bb.122:
	ds_load_u8 v7, v1 offset:4096
	s_waitcnt lgkmcnt(0)
	v_and_b32_e32 v5, 0xff, v7
	v_xor_b32_e32 v7, 0x80, v7
	s_delay_alu instid0(VALU_DEP_2) | instskip(NEXT) | instid1(VALU_DEP_1)
	v_lshrrev_b32_e32 v5, s60, v5
	v_and_b32_e32 v5, s68, v5
	s_delay_alu instid0(VALU_DEP_1) | instskip(SKIP_3) | instid1(VALU_DEP_1)
	v_lshlrev_b32_e32 v5, 3, v5
	ds_load_b64 v[5:6], v5
	s_waitcnt lgkmcnt(0)
	v_add_co_u32 v5, s34, s50, v5
	v_add_co_ci_u32_e64 v6, s34, s51, v6, s34
	s_delay_alu instid0(VALU_DEP_2) | instskip(NEXT) | instid1(VALU_DEP_1)
	v_add_co_u32 v5, s34, v5, v1
	v_add_co_ci_u32_e64 v6, s34, 0, v6, s34
	global_store_b8 v[5:6], v7, off offset:2048
.LBB48_123:
	s_or_b32 exec_lo, exec_lo, s35
	v_add_nc_u32_e32 v83, 0x900, v1
	s_delay_alu instid0(VALU_DEP_1) | instskip(NEXT) | instid1(VALU_DEP_1)
	v_cmp_gt_u32_e64 s34, s47, v83
	s_and_saveexec_b32 s36, s34
	s_cbranch_execz .LBB48_125
; %bb.124:
	ds_load_u8 v7, v1 offset:4352
	s_waitcnt lgkmcnt(0)
	v_and_b32_e32 v5, 0xff, v7
	v_xor_b32_e32 v7, 0x80, v7
	s_delay_alu instid0(VALU_DEP_2) | instskip(NEXT) | instid1(VALU_DEP_1)
	v_lshrrev_b32_e32 v5, s60, v5
	v_and_b32_e32 v5, s68, v5
	s_delay_alu instid0(VALU_DEP_1) | instskip(SKIP_3) | instid1(VALU_DEP_1)
	v_lshlrev_b32_e32 v5, 3, v5
	ds_load_b64 v[5:6], v5
	s_waitcnt lgkmcnt(0)
	v_add_co_u32 v5, s35, s50, v5
	v_add_co_ci_u32_e64 v6, s35, s51, v6, s35
	s_delay_alu instid0(VALU_DEP_2) | instskip(NEXT) | instid1(VALU_DEP_1)
	v_add_co_u32 v5, s35, v5, v1
	v_add_co_ci_u32_e64 v6, s35, 0, v6, s35
	global_store_b8 v[5:6], v7, off offset:2304
.LBB48_125:
	s_or_b32 exec_lo, exec_lo, s36
	v_add_nc_u32_e32 v84, 0xa00, v1
	;; [unrolled: 25-line block ×3, first 2 shown]
	s_delay_alu instid0(VALU_DEP_1) | instskip(NEXT) | instid1(VALU_DEP_1)
	v_cmp_gt_u32_e64 s36, s47, v85
	s_and_saveexec_b32 s38, s36
	s_cbranch_execz .LBB48_129
; %bb.128:
	ds_load_u8 v7, v1 offset:4864
	s_waitcnt lgkmcnt(0)
	v_and_b32_e32 v5, 0xff, v7
	v_xor_b32_e32 v7, 0x80, v7
	s_delay_alu instid0(VALU_DEP_2) | instskip(NEXT) | instid1(VALU_DEP_1)
	v_lshrrev_b32_e32 v5, s60, v5
	v_and_b32_e32 v5, s68, v5
	s_delay_alu instid0(VALU_DEP_1) | instskip(SKIP_3) | instid1(VALU_DEP_1)
	v_lshlrev_b32_e32 v5, 3, v5
	ds_load_b64 v[5:6], v5
	s_waitcnt lgkmcnt(0)
	v_add_co_u32 v5, s37, s50, v5
	v_add_co_ci_u32_e64 v6, s37, s51, v6, s37
	s_delay_alu instid0(VALU_DEP_2) | instskip(NEXT) | instid1(VALU_DEP_1)
	v_add_co_u32 v5, s37, v5, v1
	v_add_co_ci_u32_e64 v6, s37, 0, v6, s37
	global_store_b8 v[5:6], v7, off offset:2816
.LBB48_129:
	s_or_b32 exec_lo, exec_lo, s38
	v_or_b32_e32 v86, 0xc00, v1
	s_delay_alu instid0(VALU_DEP_1) | instskip(NEXT) | instid1(VALU_DEP_1)
	v_cmp_gt_u32_e64 s37, s47, v86
	s_and_saveexec_b32 s39, s37
	s_cbranch_execz .LBB48_131
; %bb.130:
	ds_load_u8 v7, v1 offset:5120
	s_waitcnt lgkmcnt(0)
	v_and_b32_e32 v5, 0xff, v7
	v_xor_b32_e32 v7, 0x80, v7
	s_delay_alu instid0(VALU_DEP_2) | instskip(NEXT) | instid1(VALU_DEP_1)
	v_lshrrev_b32_e32 v5, s60, v5
	v_and_b32_e32 v5, s68, v5
	s_delay_alu instid0(VALU_DEP_1) | instskip(SKIP_3) | instid1(VALU_DEP_1)
	v_lshlrev_b32_e32 v5, 3, v5
	ds_load_b64 v[5:6], v5
	s_waitcnt lgkmcnt(0)
	v_add_co_u32 v5, s38, s50, v5
	v_add_co_ci_u32_e64 v6, s38, s51, v6, s38
	s_delay_alu instid0(VALU_DEP_2) | instskip(NEXT) | instid1(VALU_DEP_1)
	v_add_co_u32 v5, s38, v5, v1
	v_add_co_ci_u32_e64 v6, s38, 0, v6, s38
	global_store_b8 v[5:6], v7, off offset:3072
.LBB48_131:
	s_or_b32 exec_lo, exec_lo, s39
	v_add_nc_u32_e32 v87, 0xd00, v1
	s_delay_alu instid0(VALU_DEP_1) | instskip(NEXT) | instid1(VALU_DEP_1)
	v_cmp_gt_u32_e64 s38, s47, v87
	s_and_saveexec_b32 s40, s38
	s_cbranch_execz .LBB48_133
; %bb.132:
	ds_load_u8 v7, v1 offset:5376
	s_waitcnt lgkmcnt(0)
	v_and_b32_e32 v5, 0xff, v7
	v_xor_b32_e32 v7, 0x80, v7
	s_delay_alu instid0(VALU_DEP_2) | instskip(NEXT) | instid1(VALU_DEP_1)
	v_lshrrev_b32_e32 v5, s60, v5
	v_and_b32_e32 v5, s68, v5
	s_delay_alu instid0(VALU_DEP_1) | instskip(SKIP_3) | instid1(VALU_DEP_1)
	v_lshlrev_b32_e32 v5, 3, v5
	ds_load_b64 v[5:6], v5
	s_waitcnt lgkmcnt(0)
	v_add_co_u32 v5, s39, s50, v5
	v_add_co_ci_u32_e64 v6, s39, s51, v6, s39
	s_delay_alu instid0(VALU_DEP_2) | instskip(NEXT) | instid1(VALU_DEP_1)
	v_add_co_u32 v5, s39, v5, v1
	v_add_co_ci_u32_e64 v6, s39, 0, v6, s39
	global_store_b8 v[5:6], v7, off offset:3328
.LBB48_133:
	s_or_b32 exec_lo, exec_lo, s40
	v_add_nc_u32_e32 v88, 0xe00, v1
	;; [unrolled: 25-line block ×3, first 2 shown]
	s_delay_alu instid0(VALU_DEP_1) | instskip(NEXT) | instid1(VALU_DEP_1)
	v_cmp_gt_u32_e64 s40, s47, v89
	s_and_saveexec_b32 s42, s40
	s_cbranch_execz .LBB48_137
; %bb.136:
	ds_load_u8 v7, v1 offset:5888
	s_waitcnt lgkmcnt(0)
	v_and_b32_e32 v5, 0xff, v7
	v_xor_b32_e32 v7, 0x80, v7
	s_delay_alu instid0(VALU_DEP_2) | instskip(NEXT) | instid1(VALU_DEP_1)
	v_lshrrev_b32_e32 v5, s60, v5
	v_and_b32_e32 v5, s68, v5
	s_delay_alu instid0(VALU_DEP_1) | instskip(SKIP_3) | instid1(VALU_DEP_1)
	v_lshlrev_b32_e32 v5, 3, v5
	ds_load_b64 v[5:6], v5
	s_waitcnt lgkmcnt(0)
	v_add_co_u32 v5, s41, s50, v5
	v_add_co_ci_u32_e64 v6, s41, s51, v6, s41
	s_delay_alu instid0(VALU_DEP_2) | instskip(NEXT) | instid1(VALU_DEP_1)
	v_add_co_u32 v5, s41, v5, v1
	v_add_co_ci_u32_e64 v6, s41, 0, v6, s41
	global_store_b8 v[5:6], v7, off offset:3840
.LBB48_137:
	s_or_b32 exec_lo, exec_lo, s42
	v_or_b32_e32 v90, 0x1000, v1
	s_delay_alu instid0(VALU_DEP_1) | instskip(NEXT) | instid1(VALU_DEP_1)
	v_cmp_gt_u32_e64 s41, s47, v90
	s_and_saveexec_b32 s43, s41
	s_cbranch_execz .LBB48_139
; %bb.138:
	ds_load_u8 v7, v1 offset:6144
	s_waitcnt lgkmcnt(0)
	v_and_b32_e32 v5, 0xff, v7
	v_xor_b32_e32 v7, 0x80, v7
	s_delay_alu instid0(VALU_DEP_2) | instskip(NEXT) | instid1(VALU_DEP_1)
	v_lshrrev_b32_e32 v5, s60, v5
	v_and_b32_e32 v5, s68, v5
	s_delay_alu instid0(VALU_DEP_1) | instskip(SKIP_3) | instid1(VALU_DEP_1)
	v_lshlrev_b32_e32 v5, 3, v5
	ds_load_b64 v[5:6], v5
	s_waitcnt lgkmcnt(0)
	v_add_co_u32 v5, s42, s50, v5
	v_add_co_ci_u32_e64 v6, s42, s51, v6, s42
	s_delay_alu instid0(VALU_DEP_2) | instskip(NEXT) | instid1(VALU_DEP_1)
	v_add_co_u32 v5, s42, v5, v90
	v_add_co_ci_u32_e64 v6, s42, 0, v6, s42
	global_store_b8 v[5:6], v7, off
.LBB48_139:
	s_or_b32 exec_lo, exec_lo, s43
	v_add_nc_u32_e32 v91, 0x1100, v1
	s_delay_alu instid0(VALU_DEP_1) | instskip(NEXT) | instid1(VALU_DEP_1)
	v_cmp_gt_u32_e64 s42, s47, v91
	s_and_saveexec_b32 s44, s42
	s_cbranch_execz .LBB48_141
; %bb.140:
	ds_load_u8 v7, v1 offset:6400
	s_waitcnt lgkmcnt(0)
	v_and_b32_e32 v5, 0xff, v7
	v_xor_b32_e32 v7, 0x80, v7
	s_delay_alu instid0(VALU_DEP_2) | instskip(NEXT) | instid1(VALU_DEP_1)
	v_lshrrev_b32_e32 v5, s60, v5
	v_and_b32_e32 v5, s68, v5
	s_delay_alu instid0(VALU_DEP_1) | instskip(SKIP_3) | instid1(VALU_DEP_1)
	v_lshlrev_b32_e32 v5, 3, v5
	ds_load_b64 v[5:6], v5
	s_waitcnt lgkmcnt(0)
	v_add_co_u32 v5, s43, s50, v5
	v_add_co_ci_u32_e64 v6, s43, s51, v6, s43
	s_delay_alu instid0(VALU_DEP_2) | instskip(NEXT) | instid1(VALU_DEP_1)
	v_add_co_u32 v5, s43, v5, v91
	v_add_co_ci_u32_e64 v6, s43, 0, v6, s43
	global_store_b8 v[5:6], v7, off
.LBB48_141:
	s_or_b32 exec_lo, exec_lo, s44
	v_add_nc_u32_e32 v92, 0x1200, v1
	;; [unrolled: 25-line block ×3, first 2 shown]
	s_delay_alu instid0(VALU_DEP_1) | instskip(NEXT) | instid1(VALU_DEP_1)
	v_cmp_gt_u32_e64 s44, s47, v93
	s_and_saveexec_b32 s46, s44
	s_cbranch_execz .LBB48_145
; %bb.144:
	ds_load_u8 v7, v1 offset:6912
	s_waitcnt lgkmcnt(0)
	v_and_b32_e32 v5, 0xff, v7
	v_xor_b32_e32 v7, 0x80, v7
	s_delay_alu instid0(VALU_DEP_2) | instskip(NEXT) | instid1(VALU_DEP_1)
	v_lshrrev_b32_e32 v5, s60, v5
	v_and_b32_e32 v5, s68, v5
	s_delay_alu instid0(VALU_DEP_1) | instskip(SKIP_3) | instid1(VALU_DEP_1)
	v_lshlrev_b32_e32 v5, 3, v5
	ds_load_b64 v[5:6], v5
	s_waitcnt lgkmcnt(0)
	v_add_co_u32 v5, s45, s50, v5
	v_add_co_ci_u32_e64 v6, s45, s51, v6, s45
	s_delay_alu instid0(VALU_DEP_2) | instskip(NEXT) | instid1(VALU_DEP_1)
	v_add_co_u32 v5, s45, v5, v93
	v_add_co_ci_u32_e64 v6, s45, 0, v6, s45
	global_store_b8 v[5:6], v7, off
.LBB48_145:
	s_or_b32 exec_lo, exec_lo, s46
	v_or_b32_e32 v94, 0x1400, v1
	s_delay_alu instid0(VALU_DEP_1) | instskip(NEXT) | instid1(VALU_DEP_1)
	v_cmp_gt_u32_e64 s45, s47, v94
	s_and_saveexec_b32 s69, s45
	s_cbranch_execz .LBB48_147
; %bb.146:
	ds_load_u8 v7, v1 offset:7168
	s_waitcnt lgkmcnt(0)
	v_and_b32_e32 v5, 0xff, v7
	v_xor_b32_e32 v7, 0x80, v7
	s_delay_alu instid0(VALU_DEP_2) | instskip(NEXT) | instid1(VALU_DEP_1)
	v_lshrrev_b32_e32 v5, s60, v5
	v_and_b32_e32 v5, s68, v5
	s_delay_alu instid0(VALU_DEP_1) | instskip(SKIP_3) | instid1(VALU_DEP_1)
	v_lshlrev_b32_e32 v5, 3, v5
	ds_load_b64 v[5:6], v5
	s_waitcnt lgkmcnt(0)
	v_add_co_u32 v5, s46, s50, v5
	v_add_co_ci_u32_e64 v6, s46, s51, v6, s46
	s_delay_alu instid0(VALU_DEP_2) | instskip(NEXT) | instid1(VALU_DEP_1)
	v_add_co_u32 v5, s46, v5, v94
	v_add_co_ci_u32_e64 v6, s46, 0, v6, s46
	global_store_b8 v[5:6], v7, off
.LBB48_147:
	s_or_b32 exec_lo, exec_lo, s69
	v_add_nc_u32_e32 v95, 0x1500, v1
	s_delay_alu instid0(VALU_DEP_1) | instskip(NEXT) | instid1(VALU_DEP_1)
	v_cmp_gt_u32_e64 s46, s47, v95
	s_and_saveexec_b32 s69, s46
	s_cbranch_execz .LBB48_149
; %bb.148:
	ds_load_u8 v7, v1 offset:7424
	s_waitcnt lgkmcnt(0)
	v_and_b32_e32 v5, 0xff, v7
	v_xor_b32_e32 v7, 0x80, v7
	s_delay_alu instid0(VALU_DEP_2) | instskip(NEXT) | instid1(VALU_DEP_1)
	v_lshrrev_b32_e32 v5, s60, v5
	v_and_b32_e32 v5, s68, v5
	s_delay_alu instid0(VALU_DEP_1) | instskip(SKIP_3) | instid1(VALU_DEP_1)
	v_lshlrev_b32_e32 v5, 3, v5
	ds_load_b64 v[5:6], v5
	s_waitcnt lgkmcnt(0)
	v_add_co_u32 v5, s47, s50, v5
	v_add_co_ci_u32_e64 v6, s47, s51, v6, s47
	s_delay_alu instid0(VALU_DEP_2) | instskip(NEXT) | instid1(VALU_DEP_1)
	v_add_co_u32 v5, s47, v5, v95
	v_add_co_ci_u32_e64 v6, s47, 0, v6, s47
	global_store_b8 v[5:6], v7, off
.LBB48_149:
	s_or_b32 exec_lo, exec_lo, s69
	v_lshlrev_b32_e32 v5, 3, v51
	s_lshl_b64 s[70:71], s[64:65], 3
	v_lshlrev_b32_e32 v6, 3, v10
	s_add_u32 s47, s52, s70
	s_addc_u32 s65, s53, s71
	v_add_co_u32 v5, s47, s47, v5
	s_delay_alu instid0(VALU_DEP_1) | instskip(NEXT) | instid1(VALU_DEP_2)
	v_add_co_ci_u32_e64 v7, null, s65, 0, s47
	v_add_co_u32 v49, s47, v5, v6
	s_delay_alu instid0(VALU_DEP_1) | instskip(SKIP_1) | instid1(SALU_CYCLE_1)
	v_add_co_ci_u32_e64 v50, s47, 0, v7, s47
                                        ; implicit-def: $vgpr5_vgpr6
	s_and_saveexec_b32 s47, vcc_lo
	s_xor_b32 s47, exec_lo, s47
	s_cbranch_execnz .LBB48_283
; %bb.150:
	s_or_b32 exec_lo, exec_lo, s47
                                        ; implicit-def: $vgpr7_vgpr8
	s_and_saveexec_b32 s47, s2
	s_cbranch_execnz .LBB48_284
.LBB48_151:
	s_or_b32 exec_lo, exec_lo, s47
                                        ; implicit-def: $vgpr9_vgpr10
	s_and_saveexec_b32 s2, s3
	s_cbranch_execnz .LBB48_285
.LBB48_152:
	s_or_b32 exec_lo, exec_lo, s2
                                        ; implicit-def: $vgpr11_vgpr12
	s_and_saveexec_b32 s2, s4
	s_cbranch_execnz .LBB48_286
.LBB48_153:
	s_or_b32 exec_lo, exec_lo, s2
                                        ; implicit-def: $vgpr13_vgpr14
	s_and_saveexec_b32 s2, s5
	s_cbranch_execnz .LBB48_287
.LBB48_154:
	s_or_b32 exec_lo, exec_lo, s2
                                        ; implicit-def: $vgpr15_vgpr16
	s_and_saveexec_b32 s2, s6
	s_cbranch_execnz .LBB48_288
.LBB48_155:
	s_or_b32 exec_lo, exec_lo, s2
                                        ; implicit-def: $vgpr17_vgpr18
	s_and_saveexec_b32 s2, s7
	s_cbranch_execnz .LBB48_289
.LBB48_156:
	s_or_b32 exec_lo, exec_lo, s2
                                        ; implicit-def: $vgpr19_vgpr20
	s_and_saveexec_b32 s2, s8
	s_cbranch_execnz .LBB48_290
.LBB48_157:
	s_or_b32 exec_lo, exec_lo, s2
                                        ; implicit-def: $vgpr21_vgpr22
	s_and_saveexec_b32 s2, s9
	s_cbranch_execnz .LBB48_291
.LBB48_158:
	s_or_b32 exec_lo, exec_lo, s2
                                        ; implicit-def: $vgpr23_vgpr24
	s_and_saveexec_b32 s2, s10
	s_cbranch_execnz .LBB48_292
.LBB48_159:
	s_or_b32 exec_lo, exec_lo, s2
                                        ; implicit-def: $vgpr25_vgpr26
	s_and_saveexec_b32 s2, s11
	s_cbranch_execnz .LBB48_293
.LBB48_160:
	s_or_b32 exec_lo, exec_lo, s2
                                        ; implicit-def: $vgpr27_vgpr28
	s_and_saveexec_b32 s2, s12
	s_cbranch_execnz .LBB48_294
.LBB48_161:
	s_or_b32 exec_lo, exec_lo, s2
                                        ; implicit-def: $vgpr29_vgpr30
	s_and_saveexec_b32 s2, s13
	s_cbranch_execnz .LBB48_295
.LBB48_162:
	s_or_b32 exec_lo, exec_lo, s2
                                        ; implicit-def: $vgpr31_vgpr32
	s_and_saveexec_b32 s2, s14
	s_cbranch_execnz .LBB48_296
.LBB48_163:
	s_or_b32 exec_lo, exec_lo, s2
                                        ; implicit-def: $vgpr33_vgpr34
	s_and_saveexec_b32 s2, s16
	s_cbranch_execnz .LBB48_297
.LBB48_164:
	s_or_b32 exec_lo, exec_lo, s2
                                        ; implicit-def: $vgpr35_vgpr36
	s_and_saveexec_b32 s2, s18
	s_cbranch_execnz .LBB48_298
.LBB48_165:
	s_or_b32 exec_lo, exec_lo, s2
                                        ; implicit-def: $vgpr37_vgpr38
	s_and_saveexec_b32 s2, s23
	s_cbranch_execnz .LBB48_299
.LBB48_166:
	s_or_b32 exec_lo, exec_lo, s2
                                        ; implicit-def: $vgpr39_vgpr40
	s_and_saveexec_b32 s2, s21
	s_cbranch_execnz .LBB48_300
.LBB48_167:
	s_or_b32 exec_lo, exec_lo, s2
                                        ; implicit-def: $vgpr41_vgpr42
	s_and_saveexec_b32 s2, s22
	s_cbranch_execnz .LBB48_301
.LBB48_168:
	s_or_b32 exec_lo, exec_lo, s2
                                        ; implicit-def: $vgpr43_vgpr44
	s_and_saveexec_b32 s2, s19
	s_cbranch_execnz .LBB48_302
.LBB48_169:
	s_or_b32 exec_lo, exec_lo, s2
                                        ; implicit-def: $vgpr45_vgpr46
	s_and_saveexec_b32 s2, s20
	s_cbranch_execnz .LBB48_303
.LBB48_170:
	s_or_b32 exec_lo, exec_lo, s2
                                        ; implicit-def: $vgpr47_vgpr48
	s_and_saveexec_b32 s2, s17
	s_cbranch_execnz .LBB48_304
.LBB48_171:
	s_or_b32 exec_lo, exec_lo, s2
                                        ; implicit-def: $vgpr115
	s_and_saveexec_b32 s2, s24
	s_cbranch_execnz .LBB48_305
.LBB48_172:
	s_or_b32 exec_lo, exec_lo, s2
                                        ; implicit-def: $vgpr114
	s_and_saveexec_b32 s2, s25
	s_cbranch_execnz .LBB48_306
.LBB48_173:
	s_or_b32 exec_lo, exec_lo, s2
                                        ; implicit-def: $vgpr113
	s_and_saveexec_b32 s2, s26
	s_cbranch_execnz .LBB48_307
.LBB48_174:
	s_or_b32 exec_lo, exec_lo, s2
                                        ; implicit-def: $vgpr112
	s_and_saveexec_b32 s2, s27
	s_cbranch_execnz .LBB48_308
.LBB48_175:
	s_or_b32 exec_lo, exec_lo, s2
                                        ; implicit-def: $vgpr111
	s_and_saveexec_b32 s2, s28
	s_cbranch_execnz .LBB48_309
.LBB48_176:
	s_or_b32 exec_lo, exec_lo, s2
                                        ; implicit-def: $vgpr110
	s_and_saveexec_b32 s2, s29
	s_cbranch_execnz .LBB48_310
.LBB48_177:
	s_or_b32 exec_lo, exec_lo, s2
                                        ; implicit-def: $vgpr109
	s_and_saveexec_b32 s2, s30
	s_cbranch_execnz .LBB48_311
.LBB48_178:
	s_or_b32 exec_lo, exec_lo, s2
                                        ; implicit-def: $vgpr108
	s_and_saveexec_b32 s2, s31
	s_cbranch_execnz .LBB48_312
.LBB48_179:
	s_or_b32 exec_lo, exec_lo, s2
                                        ; implicit-def: $vgpr107
	s_and_saveexec_b32 s2, s33
	s_cbranch_execnz .LBB48_313
.LBB48_180:
	s_or_b32 exec_lo, exec_lo, s2
                                        ; implicit-def: $vgpr106
	s_and_saveexec_b32 s2, s34
	s_cbranch_execnz .LBB48_314
.LBB48_181:
	s_or_b32 exec_lo, exec_lo, s2
                                        ; implicit-def: $vgpr105
	s_and_saveexec_b32 s2, s35
	s_cbranch_execnz .LBB48_315
.LBB48_182:
	s_or_b32 exec_lo, exec_lo, s2
                                        ; implicit-def: $vgpr104
	s_and_saveexec_b32 s2, s36
	s_cbranch_execnz .LBB48_316
.LBB48_183:
	s_or_b32 exec_lo, exec_lo, s2
                                        ; implicit-def: $vgpr103
	s_and_saveexec_b32 s2, s37
	s_cbranch_execnz .LBB48_317
.LBB48_184:
	s_or_b32 exec_lo, exec_lo, s2
                                        ; implicit-def: $vgpr102
	s_and_saveexec_b32 s2, s38
	s_cbranch_execnz .LBB48_318
.LBB48_185:
	s_or_b32 exec_lo, exec_lo, s2
                                        ; implicit-def: $vgpr101
	s_and_saveexec_b32 s2, s39
	s_cbranch_execnz .LBB48_319
.LBB48_186:
	s_or_b32 exec_lo, exec_lo, s2
                                        ; implicit-def: $vgpr100
	s_and_saveexec_b32 s2, s40
	s_cbranch_execnz .LBB48_320
.LBB48_187:
	s_or_b32 exec_lo, exec_lo, s2
                                        ; implicit-def: $vgpr99
	s_and_saveexec_b32 s2, s41
	s_cbranch_execnz .LBB48_321
.LBB48_188:
	s_or_b32 exec_lo, exec_lo, s2
                                        ; implicit-def: $vgpr98
	s_and_saveexec_b32 s2, s42
	s_cbranch_execnz .LBB48_322
.LBB48_189:
	s_or_b32 exec_lo, exec_lo, s2
                                        ; implicit-def: $vgpr97
	s_and_saveexec_b32 s2, s43
	s_cbranch_execnz .LBB48_323
.LBB48_190:
	s_or_b32 exec_lo, exec_lo, s2
                                        ; implicit-def: $vgpr96
	s_and_saveexec_b32 s2, s44
	s_cbranch_execnz .LBB48_324
.LBB48_191:
	s_or_b32 exec_lo, exec_lo, s2
                                        ; implicit-def: $vgpr50
	s_and_saveexec_b32 s2, s45
	s_cbranch_execnz .LBB48_325
.LBB48_192:
	s_or_b32 exec_lo, exec_lo, s2
                                        ; implicit-def: $vgpr49
	s_and_saveexec_b32 s2, s46
	s_cbranch_execz .LBB48_194
.LBB48_193:
	ds_load_u8 v49, v1 offset:7424
	s_waitcnt lgkmcnt(0)
	v_lshrrev_b32_e32 v49, s60, v49
	s_delay_alu instid0(VALU_DEP_1)
	v_and_b32_e32 v49, s68, v49
.LBB48_194:
	s_or_b32 exec_lo, exec_lo, s2
	v_lshlrev_b32_e32 v77, 3, v77
	v_lshlrev_b32_e32 v76, 3, v76
	s_waitcnt vmcnt(0)
	s_waitcnt_vscnt null, 0x0
	s_barrier
	buffer_gl0_inv
	ds_store_b64 v77, v[5:6] offset:2048
	ds_store_b64 v76, v[7:8] offset:2048
	v_lshlrev_b32_e32 v5, 3, v75
	v_lshlrev_b32_e32 v6, 3, v74
	v_lshlrev_b32_e32 v7, 3, v73
	v_lshlrev_b32_e32 v8, 3, v72
	v_lshlrev_b32_e32 v71, 3, v71
	ds_store_b64 v5, v[9:10] offset:2048
	ds_store_b64 v6, v[11:12] offset:2048
	ds_store_b64 v7, v[13:14] offset:2048
	ds_store_b64 v8, v[15:16] offset:2048
	ds_store_b64 v71, v[17:18] offset:2048
	v_lshlrev_b32_e32 v5, 3, v70
	v_lshlrev_b32_e32 v6, 3, v69
	v_lshlrev_b32_e32 v7, 3, v68
	v_lshlrev_b32_e32 v8, 3, v67
	v_lshlrev_b32_e32 v9, 3, v66
	ds_store_b64 v5, v[19:20] offset:2048
	ds_store_b64 v6, v[21:22] offset:2048
	ds_store_b64 v7, v[23:24] offset:2048
	;; [unrolled: 10-line block ×4, first 2 shown]
	ds_store_b64 v8, v[45:46] offset:2048
	ds_store_b64 v9, v[47:48] offset:2048
	s_waitcnt lgkmcnt(0)
	s_barrier
	buffer_gl0_inv
	s_and_saveexec_b32 s2, s24
	s_cbranch_execnz .LBB48_326
; %bb.195:
	s_or_b32 exec_lo, exec_lo, s2
	s_and_saveexec_b32 s2, s25
	s_cbranch_execnz .LBB48_327
.LBB48_196:
	s_or_b32 exec_lo, exec_lo, s2
	s_and_saveexec_b32 s2, s26
	s_cbranch_execnz .LBB48_328
.LBB48_197:
	s_or_b32 exec_lo, exec_lo, s2
	s_and_saveexec_b32 s2, s27
	s_cbranch_execnz .LBB48_329
.LBB48_198:
	s_or_b32 exec_lo, exec_lo, s2
	s_and_saveexec_b32 s2, s28
	s_cbranch_execnz .LBB48_330
.LBB48_199:
	s_or_b32 exec_lo, exec_lo, s2
	s_and_saveexec_b32 s2, s29
	s_cbranch_execnz .LBB48_331
.LBB48_200:
	s_or_b32 exec_lo, exec_lo, s2
	s_and_saveexec_b32 s2, s30
	s_cbranch_execnz .LBB48_332
.LBB48_201:
	s_or_b32 exec_lo, exec_lo, s2
	s_and_saveexec_b32 s2, s31
	s_cbranch_execnz .LBB48_333
.LBB48_202:
	s_or_b32 exec_lo, exec_lo, s2
	s_and_saveexec_b32 s2, s33
	s_cbranch_execnz .LBB48_334
.LBB48_203:
	s_or_b32 exec_lo, exec_lo, s2
	s_and_saveexec_b32 s2, s34
	s_cbranch_execnz .LBB48_335
.LBB48_204:
	s_or_b32 exec_lo, exec_lo, s2
	s_and_saveexec_b32 s2, s35
	s_cbranch_execnz .LBB48_336
.LBB48_205:
	s_or_b32 exec_lo, exec_lo, s2
	s_and_saveexec_b32 s2, s36
	s_cbranch_execnz .LBB48_337
.LBB48_206:
	s_or_b32 exec_lo, exec_lo, s2
	s_and_saveexec_b32 s2, s37
	s_cbranch_execnz .LBB48_338
.LBB48_207:
	s_or_b32 exec_lo, exec_lo, s2
	s_and_saveexec_b32 s2, s38
	s_cbranch_execnz .LBB48_339
.LBB48_208:
	s_or_b32 exec_lo, exec_lo, s2
	s_and_saveexec_b32 s2, s39
	s_cbranch_execnz .LBB48_340
.LBB48_209:
	s_or_b32 exec_lo, exec_lo, s2
	s_and_saveexec_b32 s2, s40
	s_cbranch_execnz .LBB48_341
.LBB48_210:
	s_or_b32 exec_lo, exec_lo, s2
	s_and_saveexec_b32 s2, s41
	s_cbranch_execnz .LBB48_342
.LBB48_211:
	s_or_b32 exec_lo, exec_lo, s2
	s_and_saveexec_b32 s2, s42
	s_cbranch_execnz .LBB48_343
.LBB48_212:
	s_or_b32 exec_lo, exec_lo, s2
	s_and_saveexec_b32 s2, s43
	s_cbranch_execnz .LBB48_344
.LBB48_213:
	s_or_b32 exec_lo, exec_lo, s2
	s_and_saveexec_b32 s2, s44
	s_cbranch_execnz .LBB48_345
.LBB48_214:
	s_or_b32 exec_lo, exec_lo, s2
	s_and_saveexec_b32 s2, s45
	s_cbranch_execnz .LBB48_346
.LBB48_215:
	s_or_b32 exec_lo, exec_lo, s2
	s_and_saveexec_b32 s2, s46
	s_cbranch_execz .LBB48_217
.LBB48_216:
	v_lshlrev_b32_e32 v5, 3, v49
	v_lshlrev_b32_e32 v7, 3, v1
	;; [unrolled: 1-line block ×3, first 2 shown]
	ds_load_b64 v[5:6], v5
	ds_load_b64 v[7:8], v7 offset:45056
	s_waitcnt lgkmcnt(1)
	v_lshlrev_b64 v[5:6], 3, v[5:6]
	s_delay_alu instid0(VALU_DEP_1) | instskip(NEXT) | instid1(VALU_DEP_2)
	v_add_co_u32 v5, vcc_lo, s54, v5
	v_add_co_ci_u32_e32 v6, vcc_lo, s55, v6, vcc_lo
	s_delay_alu instid0(VALU_DEP_2) | instskip(NEXT) | instid1(VALU_DEP_2)
	v_add_co_u32 v5, vcc_lo, v5, v9
	v_add_co_ci_u32_e32 v6, vcc_lo, 0, v6, vcc_lo
	s_waitcnt lgkmcnt(0)
	global_store_b64 v[5:6], v[7:8], off
.LBB48_217:
	s_or_b32 exec_lo, exec_lo, s2
	s_add_i32 s62, s62, -1
	s_delay_alu instid0(SALU_CYCLE_1)
	s_cmp_eq_u32 s15, s62
	s_cselect_b32 s2, -1, 0
	s_branch .LBB48_280
.LBB48_218:
	s_mov_b32 s2, 0
                                        ; implicit-def: $vgpr53
                                        ; implicit-def: $vgpr3_vgpr4
                                        ; implicit-def: $vgpr52
	s_cbranch_execz .LBB48_280
; %bb.219:
	v_dual_mov_b32 v15, 0 :: v_dual_and_b32 v12, 0xe0, v1
	s_add_u32 s2, s48, s64
	s_addc_u32 s3, s49, 0
	v_add_co_u32 v2, s2, s2, v51
	s_delay_alu instid0(VALU_DEP_2) | instskip(SKIP_3) | instid1(VALU_DEP_4)
	v_mul_u32_u24_e32 v10, 22, v12
	v_add_co_ci_u32_e64 v3, null, s3, 0, s2
	v_bfe_u32 v14, v0, 10, 10
	v_bfe_u32 v0, v0, 20, 10
	v_add_co_u32 v2, vcc_lo, v2, v10
	s_delay_alu instid0(VALU_DEP_4)
	v_add_co_ci_u32_e32 v3, vcc_lo, 0, v3, vcc_lo
	s_mov_b32 s65, 0
	global_load_u8 v11, v[2:3], off
	s_clause 0x1
	s_load_b32 s3, s[0:1], 0x5c
	s_load_b32 s2, s[0:1], 0x50
	s_add_u32 s0, s0, 0x50
	s_addc_u32 s1, s1, 0
	s_waitcnt lgkmcnt(0)
	s_lshr_b32 s3, s3, 16
	s_cmp_lt_u32 s15, s2
	v_mad_u32_u24 v0, v0, s3, v14
	s_cselect_b32 s4, 12, 18
	s_delay_alu instid0(SALU_CYCLE_1)
	s_add_u32 s0, s0, s4
	s_addc_u32 s1, s1, 0
	global_load_u16 v13, v15, s[0:1]
	s_clause 0x14
	global_load_u8 v17, v[2:3], off offset:32
	global_load_u8 v16, v[2:3], off offset:64
	;; [unrolled: 1-line block ×21, first 2 shown]
	s_lshl_b32 s0, -1, s61
	s_delay_alu instid0(SALU_CYCLE_1) | instskip(SKIP_2) | instid1(VALU_DEP_1)
	s_not_b32 s1, s0
	s_waitcnt vmcnt(22)
	v_xor_b32_e32 v11, 0x80, v11
	v_lshrrev_b32_e32 v3, s60, v11
	s_delay_alu instid0(VALU_DEP_1) | instskip(NEXT) | instid1(VALU_DEP_1)
	v_and_b32_e32 v3, s1, v3
	v_and_b32_e32 v18, 1, v3
	v_lshlrev_b32_e32 v19, 30, v3
	v_lshlrev_b32_e32 v21, 29, v3
	;; [unrolled: 1-line block ×4, first 2 shown]
	v_add_co_u32 v18, s0, v18, -1
	s_delay_alu instid0(VALU_DEP_1)
	v_cndmask_b32_e64 v23, 0, 1, s0
	v_not_b32_e32 v29, v19
	v_cmp_gt_i32_e64 s0, 0, v19
	v_not_b32_e32 v19, v21
	v_lshlrev_b32_e32 v26, 26, v3
	v_cmp_ne_u32_e32 vcc_lo, 0, v23
	v_ashrrev_i32_e32 v29, 31, v29
	v_lshlrev_b32_e32 v27, 25, v3
	v_ashrrev_i32_e32 v19, 31, v19
	v_lshlrev_b32_e32 v23, 24, v3
	v_xor_b32_e32 v18, vcc_lo, v18
	v_cmp_gt_i32_e32 vcc_lo, 0, v21
	v_not_b32_e32 v21, v22
	v_xor_b32_e32 v29, s0, v29
	v_cmp_gt_i32_e64 s0, 0, v22
	v_and_b32_e32 v18, exec_lo, v18
	v_not_b32_e32 v22, v25
	v_ashrrev_i32_e32 v21, 31, v21
	v_xor_b32_e32 v19, vcc_lo, v19
	v_cmp_gt_i32_e32 vcc_lo, 0, v25
	v_and_b32_e32 v18, v18, v29
	v_not_b32_e32 v25, v26
	v_ashrrev_i32_e32 v22, 31, v22
	v_xor_b32_e32 v21, s0, v21
	v_cmp_gt_i32_e64 s0, 0, v26
	v_and_b32_e32 v18, v18, v19
	v_not_b32_e32 v19, v27
	v_ashrrev_i32_e32 v25, 31, v25
	v_xor_b32_e32 v22, vcc_lo, v22
	v_cmp_gt_i32_e32 vcc_lo, 0, v27
	v_and_b32_e32 v18, v18, v21
	v_not_b32_e32 v21, v23
	v_ashrrev_i32_e32 v19, 31, v19
	v_xor_b32_e32 v25, s0, v25
	v_cmp_gt_i32_e64 s0, 0, v23
	v_and_b32_e32 v18, v18, v22
	v_ashrrev_i32_e32 v21, 31, v21
	v_xor_b32_e32 v19, vcc_lo, v19
	v_mul_u32_u24_e32 v22, 9, v1
	s_delay_alu instid0(VALU_DEP_4) | instskip(NEXT) | instid1(VALU_DEP_4)
	v_and_b32_e32 v18, v18, v25
	v_xor_b32_e32 v21, s0, v21
	s_delay_alu instid0(VALU_DEP_3)
	v_lshlrev_b32_e32 v14, 2, v22
	ds_store_2addr_b32 v14, v15, v15 offset0:8 offset1:9
	ds_store_2addr_b32 v14, v15, v15 offset0:10 offset1:11
	;; [unrolled: 1-line block ×4, first 2 shown]
	v_and_b32_e32 v23, v18, v19
	s_waitcnt vmcnt(0)
	v_mad_u64_u32 v[18:19], null, v0, v13, v[1:2]
	ds_store_b32 v14, v15 offset:64
	v_mul_u32_u24_e32 v15, 9, v3
	v_and_b32_e32 v0, v23, v21
	s_waitcnt lgkmcnt(0)
	s_waitcnt_vscnt null, 0x0
	s_barrier
	buffer_gl0_inv
	v_lshrrev_b32_e32 v3, 5, v18
	v_mbcnt_lo_u32_b32 v13, v0, 0
	v_cmp_ne_u32_e64 s0, 0, v0
	; wave barrier
	s_delay_alu instid0(VALU_DEP_3) | instskip(NEXT) | instid1(VALU_DEP_3)
	v_add_lshl_u32 v15, v3, v15, 2
	v_cmp_eq_u32_e32 vcc_lo, 0, v13
	s_delay_alu instid0(VALU_DEP_3) | instskip(NEXT) | instid1(SALU_CYCLE_1)
	s_and_b32 s3, s0, vcc_lo
	s_and_saveexec_b32 s0, s3
	s_cbranch_execz .LBB48_221
; %bb.220:
	v_bcnt_u32_b32 v0, v0, 0
	ds_store_b32 v15, v0 offset:32
.LBB48_221:
	s_or_b32 exec_lo, exec_lo, s0
	v_xor_b32_e32 v0, 0xffffff80, v17
	; wave barrier
	s_delay_alu instid0(VALU_DEP_1) | instskip(NEXT) | instid1(VALU_DEP_1)
	v_and_b32_e32 v17, 0xff, v0
	v_lshrrev_b32_e32 v17, s60, v17
	s_delay_alu instid0(VALU_DEP_1) | instskip(NEXT) | instid1(VALU_DEP_1)
	v_and_b32_e32 v17, s1, v17
	v_and_b32_e32 v18, 1, v17
	v_lshlrev_b32_e32 v19, 30, v17
	v_lshlrev_b32_e32 v21, 29, v17
	;; [unrolled: 1-line block ×4, first 2 shown]
	v_add_co_u32 v18, s0, v18, -1
	s_delay_alu instid0(VALU_DEP_1)
	v_cndmask_b32_e64 v23, 0, 1, s0
	v_not_b32_e32 v29, v19
	v_cmp_gt_i32_e64 s0, 0, v19
	v_not_b32_e32 v19, v21
	v_lshlrev_b32_e32 v26, 26, v17
	v_cmp_ne_u32_e32 vcc_lo, 0, v23
	v_ashrrev_i32_e32 v29, 31, v29
	v_lshlrev_b32_e32 v27, 25, v17
	v_ashrrev_i32_e32 v19, 31, v19
	v_lshlrev_b32_e32 v23, 24, v17
	v_xor_b32_e32 v18, vcc_lo, v18
	v_cmp_gt_i32_e32 vcc_lo, 0, v21
	v_not_b32_e32 v21, v22
	v_xor_b32_e32 v29, s0, v29
	v_cmp_gt_i32_e64 s0, 0, v22
	v_and_b32_e32 v18, exec_lo, v18
	v_not_b32_e32 v22, v25
	v_ashrrev_i32_e32 v21, 31, v21
	v_xor_b32_e32 v19, vcc_lo, v19
	v_cmp_gt_i32_e32 vcc_lo, 0, v25
	v_and_b32_e32 v18, v18, v29
	v_not_b32_e32 v25, v26
	v_ashrrev_i32_e32 v22, 31, v22
	v_xor_b32_e32 v21, s0, v21
	v_cmp_gt_i32_e64 s0, 0, v26
	v_and_b32_e32 v18, v18, v19
	v_not_b32_e32 v19, v27
	v_ashrrev_i32_e32 v25, 31, v25
	v_xor_b32_e32 v22, vcc_lo, v22
	v_cmp_gt_i32_e32 vcc_lo, 0, v27
	v_and_b32_e32 v18, v18, v21
	v_not_b32_e32 v21, v23
	v_ashrrev_i32_e32 v19, 31, v19
	v_xor_b32_e32 v25, s0, v25
	v_mul_u32_u24_e32 v17, 9, v17
	v_and_b32_e32 v18, v18, v22
	v_cmp_gt_i32_e64 s0, 0, v23
	v_ashrrev_i32_e32 v21, 31, v21
	v_xor_b32_e32 v22, vcc_lo, v19
	v_add_lshl_u32 v19, v3, v17, 2
	v_and_b32_e32 v18, v18, v25
	s_delay_alu instid0(VALU_DEP_4) | instskip(SKIP_2) | instid1(VALU_DEP_1)
	v_xor_b32_e32 v21, s0, v21
	ds_load_b32 v17, v19 offset:32
	v_and_b32_e32 v18, v18, v22
	; wave barrier
	v_and_b32_e32 v21, v18, v21
	s_delay_alu instid0(VALU_DEP_1) | instskip(SKIP_1) | instid1(VALU_DEP_2)
	v_mbcnt_lo_u32_b32 v18, v21, 0
	v_cmp_ne_u32_e64 s0, 0, v21
	v_cmp_eq_u32_e32 vcc_lo, 0, v18
	s_delay_alu instid0(VALU_DEP_2) | instskip(NEXT) | instid1(SALU_CYCLE_1)
	s_and_b32 s3, s0, vcc_lo
	s_and_saveexec_b32 s0, s3
	s_cbranch_execz .LBB48_223
; %bb.222:
	s_waitcnt lgkmcnt(0)
	v_bcnt_u32_b32 v21, v21, v17
	ds_store_b32 v19, v21 offset:32
.LBB48_223:
	s_or_b32 exec_lo, exec_lo, s0
	v_xor_b32_e32 v16, 0xffffff80, v16
	; wave barrier
	s_delay_alu instid0(VALU_DEP_1) | instskip(NEXT) | instid1(VALU_DEP_1)
	v_and_b32_e32 v21, 0xff, v16
	v_lshrrev_b32_e32 v21, s60, v21
	s_delay_alu instid0(VALU_DEP_1) | instskip(NEXT) | instid1(VALU_DEP_1)
	v_and_b32_e32 v21, s1, v21
	v_and_b32_e32 v22, 1, v21
	v_lshlrev_b32_e32 v23, 30, v21
	v_lshlrev_b32_e32 v25, 29, v21
	;; [unrolled: 1-line block ×4, first 2 shown]
	v_add_co_u32 v22, s0, v22, -1
	s_delay_alu instid0(VALU_DEP_1)
	v_cndmask_b32_e64 v27, 0, 1, s0
	v_not_b32_e32 v33, v23
	v_cmp_gt_i32_e64 s0, 0, v23
	v_not_b32_e32 v23, v25
	v_lshlrev_b32_e32 v30, 26, v21
	v_cmp_ne_u32_e32 vcc_lo, 0, v27
	v_ashrrev_i32_e32 v33, 31, v33
	v_lshlrev_b32_e32 v31, 25, v21
	v_ashrrev_i32_e32 v23, 31, v23
	v_lshlrev_b32_e32 v27, 24, v21
	v_xor_b32_e32 v22, vcc_lo, v22
	v_cmp_gt_i32_e32 vcc_lo, 0, v25
	v_not_b32_e32 v25, v26
	v_xor_b32_e32 v33, s0, v33
	v_cmp_gt_i32_e64 s0, 0, v26
	v_and_b32_e32 v22, exec_lo, v22
	v_not_b32_e32 v26, v29
	v_ashrrev_i32_e32 v25, 31, v25
	v_xor_b32_e32 v23, vcc_lo, v23
	v_cmp_gt_i32_e32 vcc_lo, 0, v29
	v_and_b32_e32 v22, v22, v33
	v_not_b32_e32 v29, v30
	v_ashrrev_i32_e32 v26, 31, v26
	v_xor_b32_e32 v25, s0, v25
	v_cmp_gt_i32_e64 s0, 0, v30
	v_and_b32_e32 v22, v22, v23
	v_not_b32_e32 v23, v31
	v_ashrrev_i32_e32 v29, 31, v29
	v_xor_b32_e32 v26, vcc_lo, v26
	v_cmp_gt_i32_e32 vcc_lo, 0, v31
	v_and_b32_e32 v22, v22, v25
	v_not_b32_e32 v25, v27
	v_ashrrev_i32_e32 v23, 31, v23
	v_xor_b32_e32 v29, s0, v29
	v_mul_u32_u24_e32 v21, 9, v21
	v_and_b32_e32 v22, v22, v26
	v_cmp_gt_i32_e64 s0, 0, v27
	v_ashrrev_i32_e32 v25, 31, v25
	v_xor_b32_e32 v26, vcc_lo, v23
	v_add_lshl_u32 v23, v3, v21, 2
	v_and_b32_e32 v22, v22, v29
	s_delay_alu instid0(VALU_DEP_4) | instskip(SKIP_2) | instid1(VALU_DEP_1)
	v_xor_b32_e32 v25, s0, v25
	ds_load_b32 v21, v23 offset:32
	v_and_b32_e32 v22, v22, v26
	; wave barrier
	v_and_b32_e32 v25, v22, v25
	s_delay_alu instid0(VALU_DEP_1) | instskip(SKIP_1) | instid1(VALU_DEP_2)
	v_mbcnt_lo_u32_b32 v22, v25, 0
	v_cmp_ne_u32_e64 s0, 0, v25
	v_cmp_eq_u32_e32 vcc_lo, 0, v22
	s_delay_alu instid0(VALU_DEP_2) | instskip(NEXT) | instid1(SALU_CYCLE_1)
	s_and_b32 s3, s0, vcc_lo
	s_and_saveexec_b32 s0, s3
	s_cbranch_execz .LBB48_225
; %bb.224:
	s_waitcnt lgkmcnt(0)
	v_bcnt_u32_b32 v25, v25, v21
	ds_store_b32 v23, v25 offset:32
.LBB48_225:
	s_or_b32 exec_lo, exec_lo, s0
	v_xor_b32_e32 v20, 0xffffff80, v20
	; wave barrier
	s_delay_alu instid0(VALU_DEP_1) | instskip(NEXT) | instid1(VALU_DEP_1)
	v_and_b32_e32 v25, 0xff, v20
	v_lshrrev_b32_e32 v25, s60, v25
	s_delay_alu instid0(VALU_DEP_1) | instskip(NEXT) | instid1(VALU_DEP_1)
	v_and_b32_e32 v25, s1, v25
	v_and_b32_e32 v26, 1, v25
	v_lshlrev_b32_e32 v27, 30, v25
	v_lshlrev_b32_e32 v29, 29, v25
	;; [unrolled: 1-line block ×4, first 2 shown]
	v_add_co_u32 v26, s0, v26, -1
	s_delay_alu instid0(VALU_DEP_1)
	v_cndmask_b32_e64 v31, 0, 1, s0
	v_not_b32_e32 v37, v27
	v_cmp_gt_i32_e64 s0, 0, v27
	v_not_b32_e32 v27, v29
	v_lshlrev_b32_e32 v34, 26, v25
	v_cmp_ne_u32_e32 vcc_lo, 0, v31
	v_ashrrev_i32_e32 v37, 31, v37
	v_lshlrev_b32_e32 v35, 25, v25
	v_ashrrev_i32_e32 v27, 31, v27
	v_lshlrev_b32_e32 v31, 24, v25
	v_xor_b32_e32 v26, vcc_lo, v26
	v_cmp_gt_i32_e32 vcc_lo, 0, v29
	v_not_b32_e32 v29, v30
	v_xor_b32_e32 v37, s0, v37
	v_cmp_gt_i32_e64 s0, 0, v30
	v_and_b32_e32 v26, exec_lo, v26
	v_not_b32_e32 v30, v33
	v_ashrrev_i32_e32 v29, 31, v29
	v_xor_b32_e32 v27, vcc_lo, v27
	v_cmp_gt_i32_e32 vcc_lo, 0, v33
	v_and_b32_e32 v26, v26, v37
	v_not_b32_e32 v33, v34
	v_ashrrev_i32_e32 v30, 31, v30
	v_xor_b32_e32 v29, s0, v29
	v_cmp_gt_i32_e64 s0, 0, v34
	v_and_b32_e32 v26, v26, v27
	v_not_b32_e32 v27, v35
	v_ashrrev_i32_e32 v33, 31, v33
	v_xor_b32_e32 v30, vcc_lo, v30
	v_cmp_gt_i32_e32 vcc_lo, 0, v35
	v_and_b32_e32 v26, v26, v29
	v_not_b32_e32 v29, v31
	v_ashrrev_i32_e32 v27, 31, v27
	v_xor_b32_e32 v33, s0, v33
	v_mul_u32_u24_e32 v25, 9, v25
	v_and_b32_e32 v26, v26, v30
	v_cmp_gt_i32_e64 s0, 0, v31
	v_ashrrev_i32_e32 v29, 31, v29
	v_xor_b32_e32 v30, vcc_lo, v27
	v_add_lshl_u32 v27, v3, v25, 2
	v_and_b32_e32 v26, v26, v33
	s_delay_alu instid0(VALU_DEP_4) | instskip(SKIP_2) | instid1(VALU_DEP_1)
	v_xor_b32_e32 v29, s0, v29
	ds_load_b32 v25, v27 offset:32
	v_and_b32_e32 v26, v26, v30
	; wave barrier
	v_and_b32_e32 v29, v26, v29
	s_delay_alu instid0(VALU_DEP_1) | instskip(SKIP_1) | instid1(VALU_DEP_2)
	v_mbcnt_lo_u32_b32 v26, v29, 0
	v_cmp_ne_u32_e64 s0, 0, v29
	v_cmp_eq_u32_e32 vcc_lo, 0, v26
	s_delay_alu instid0(VALU_DEP_2) | instskip(NEXT) | instid1(SALU_CYCLE_1)
	s_and_b32 s3, s0, vcc_lo
	s_and_saveexec_b32 s0, s3
	s_cbranch_execz .LBB48_227
; %bb.226:
	s_waitcnt lgkmcnt(0)
	v_bcnt_u32_b32 v29, v29, v25
	ds_store_b32 v27, v29 offset:32
.LBB48_227:
	s_or_b32 exec_lo, exec_lo, s0
	v_xor_b32_e32 v24, 0xffffff80, v24
	; wave barrier
	s_delay_alu instid0(VALU_DEP_1) | instskip(NEXT) | instid1(VALU_DEP_1)
	v_and_b32_e32 v29, 0xff, v24
	v_lshrrev_b32_e32 v29, s60, v29
	s_delay_alu instid0(VALU_DEP_1) | instskip(NEXT) | instid1(VALU_DEP_1)
	v_and_b32_e32 v29, s1, v29
	v_and_b32_e32 v30, 1, v29
	v_lshlrev_b32_e32 v31, 30, v29
	v_lshlrev_b32_e32 v33, 29, v29
	;; [unrolled: 1-line block ×4, first 2 shown]
	v_add_co_u32 v30, s0, v30, -1
	s_delay_alu instid0(VALU_DEP_1)
	v_cndmask_b32_e64 v35, 0, 1, s0
	v_not_b32_e32 v41, v31
	v_cmp_gt_i32_e64 s0, 0, v31
	v_not_b32_e32 v31, v33
	v_lshlrev_b32_e32 v38, 26, v29
	v_cmp_ne_u32_e32 vcc_lo, 0, v35
	v_ashrrev_i32_e32 v41, 31, v41
	v_lshlrev_b32_e32 v39, 25, v29
	v_ashrrev_i32_e32 v31, 31, v31
	v_lshlrev_b32_e32 v35, 24, v29
	v_xor_b32_e32 v30, vcc_lo, v30
	v_cmp_gt_i32_e32 vcc_lo, 0, v33
	v_not_b32_e32 v33, v34
	v_xor_b32_e32 v41, s0, v41
	v_cmp_gt_i32_e64 s0, 0, v34
	v_and_b32_e32 v30, exec_lo, v30
	v_not_b32_e32 v34, v37
	v_ashrrev_i32_e32 v33, 31, v33
	v_xor_b32_e32 v31, vcc_lo, v31
	v_cmp_gt_i32_e32 vcc_lo, 0, v37
	v_and_b32_e32 v30, v30, v41
	v_not_b32_e32 v37, v38
	v_ashrrev_i32_e32 v34, 31, v34
	v_xor_b32_e32 v33, s0, v33
	v_cmp_gt_i32_e64 s0, 0, v38
	v_and_b32_e32 v30, v30, v31
	v_not_b32_e32 v31, v39
	v_ashrrev_i32_e32 v37, 31, v37
	v_xor_b32_e32 v34, vcc_lo, v34
	v_cmp_gt_i32_e32 vcc_lo, 0, v39
	v_and_b32_e32 v30, v30, v33
	v_not_b32_e32 v33, v35
	v_ashrrev_i32_e32 v31, 31, v31
	v_xor_b32_e32 v37, s0, v37
	v_mul_u32_u24_e32 v29, 9, v29
	v_and_b32_e32 v30, v30, v34
	v_cmp_gt_i32_e64 s0, 0, v35
	v_ashrrev_i32_e32 v33, 31, v33
	v_xor_b32_e32 v34, vcc_lo, v31
	v_add_lshl_u32 v31, v3, v29, 2
	v_and_b32_e32 v30, v30, v37
	s_delay_alu instid0(VALU_DEP_4) | instskip(SKIP_2) | instid1(VALU_DEP_1)
	v_xor_b32_e32 v33, s0, v33
	ds_load_b32 v29, v31 offset:32
	v_and_b32_e32 v30, v30, v34
	; wave barrier
	v_and_b32_e32 v33, v30, v33
	s_delay_alu instid0(VALU_DEP_1) | instskip(SKIP_1) | instid1(VALU_DEP_2)
	v_mbcnt_lo_u32_b32 v30, v33, 0
	v_cmp_ne_u32_e64 s0, 0, v33
	v_cmp_eq_u32_e32 vcc_lo, 0, v30
	s_delay_alu instid0(VALU_DEP_2) | instskip(NEXT) | instid1(SALU_CYCLE_1)
	s_and_b32 s3, s0, vcc_lo
	s_and_saveexec_b32 s0, s3
	s_cbranch_execz .LBB48_229
; %bb.228:
	s_waitcnt lgkmcnt(0)
	v_bcnt_u32_b32 v33, v33, v29
	ds_store_b32 v31, v33 offset:32
.LBB48_229:
	s_or_b32 exec_lo, exec_lo, s0
	v_xor_b32_e32 v28, 0xffffff80, v28
	; wave barrier
	s_delay_alu instid0(VALU_DEP_1) | instskip(NEXT) | instid1(VALU_DEP_1)
	v_and_b32_e32 v33, 0xff, v28
	v_lshrrev_b32_e32 v33, s60, v33
	s_delay_alu instid0(VALU_DEP_1) | instskip(NEXT) | instid1(VALU_DEP_1)
	v_and_b32_e32 v33, s1, v33
	v_and_b32_e32 v34, 1, v33
	v_lshlrev_b32_e32 v35, 30, v33
	v_lshlrev_b32_e32 v37, 29, v33
	;; [unrolled: 1-line block ×4, first 2 shown]
	v_add_co_u32 v34, s0, v34, -1
	s_delay_alu instid0(VALU_DEP_1)
	v_cndmask_b32_e64 v39, 0, 1, s0
	v_not_b32_e32 v45, v35
	v_cmp_gt_i32_e64 s0, 0, v35
	v_not_b32_e32 v35, v37
	v_lshlrev_b32_e32 v42, 26, v33
	v_cmp_ne_u32_e32 vcc_lo, 0, v39
	v_ashrrev_i32_e32 v45, 31, v45
	v_lshlrev_b32_e32 v43, 25, v33
	v_ashrrev_i32_e32 v35, 31, v35
	v_lshlrev_b32_e32 v39, 24, v33
	v_xor_b32_e32 v34, vcc_lo, v34
	v_cmp_gt_i32_e32 vcc_lo, 0, v37
	v_not_b32_e32 v37, v38
	v_xor_b32_e32 v45, s0, v45
	v_cmp_gt_i32_e64 s0, 0, v38
	v_and_b32_e32 v34, exec_lo, v34
	v_not_b32_e32 v38, v41
	v_ashrrev_i32_e32 v37, 31, v37
	v_xor_b32_e32 v35, vcc_lo, v35
	v_cmp_gt_i32_e32 vcc_lo, 0, v41
	v_and_b32_e32 v34, v34, v45
	v_not_b32_e32 v41, v42
	v_ashrrev_i32_e32 v38, 31, v38
	v_xor_b32_e32 v37, s0, v37
	v_cmp_gt_i32_e64 s0, 0, v42
	v_and_b32_e32 v34, v34, v35
	v_not_b32_e32 v35, v43
	v_ashrrev_i32_e32 v41, 31, v41
	v_xor_b32_e32 v38, vcc_lo, v38
	v_cmp_gt_i32_e32 vcc_lo, 0, v43
	v_and_b32_e32 v34, v34, v37
	v_not_b32_e32 v37, v39
	v_ashrrev_i32_e32 v35, 31, v35
	v_xor_b32_e32 v41, s0, v41
	v_mul_u32_u24_e32 v33, 9, v33
	v_and_b32_e32 v34, v34, v38
	v_cmp_gt_i32_e64 s0, 0, v39
	v_ashrrev_i32_e32 v37, 31, v37
	v_xor_b32_e32 v38, vcc_lo, v35
	v_add_lshl_u32 v35, v3, v33, 2
	v_and_b32_e32 v34, v34, v41
	s_delay_alu instid0(VALU_DEP_4) | instskip(SKIP_2) | instid1(VALU_DEP_1)
	v_xor_b32_e32 v37, s0, v37
	ds_load_b32 v33, v35 offset:32
	v_and_b32_e32 v34, v34, v38
	; wave barrier
	v_and_b32_e32 v37, v34, v37
	s_delay_alu instid0(VALU_DEP_1) | instskip(SKIP_1) | instid1(VALU_DEP_2)
	v_mbcnt_lo_u32_b32 v34, v37, 0
	v_cmp_ne_u32_e64 s0, 0, v37
	v_cmp_eq_u32_e32 vcc_lo, 0, v34
	s_delay_alu instid0(VALU_DEP_2) | instskip(NEXT) | instid1(SALU_CYCLE_1)
	s_and_b32 s3, s0, vcc_lo
	s_and_saveexec_b32 s0, s3
	s_cbranch_execz .LBB48_231
; %bb.230:
	s_waitcnt lgkmcnt(0)
	v_bcnt_u32_b32 v37, v37, v33
	ds_store_b32 v35, v37 offset:32
.LBB48_231:
	s_or_b32 exec_lo, exec_lo, s0
	v_xor_b32_e32 v32, 0xffffff80, v32
	; wave barrier
	s_delay_alu instid0(VALU_DEP_1) | instskip(NEXT) | instid1(VALU_DEP_1)
	v_and_b32_e32 v37, 0xff, v32
	v_lshrrev_b32_e32 v37, s60, v37
	s_delay_alu instid0(VALU_DEP_1) | instskip(NEXT) | instid1(VALU_DEP_1)
	v_and_b32_e32 v37, s1, v37
	v_and_b32_e32 v38, 1, v37
	v_lshlrev_b32_e32 v39, 30, v37
	v_lshlrev_b32_e32 v41, 29, v37
	;; [unrolled: 1-line block ×4, first 2 shown]
	v_add_co_u32 v38, s0, v38, -1
	s_delay_alu instid0(VALU_DEP_1)
	v_cndmask_b32_e64 v43, 0, 1, s0
	v_not_b32_e32 v50, v39
	v_cmp_gt_i32_e64 s0, 0, v39
	v_not_b32_e32 v39, v41
	v_lshlrev_b32_e32 v46, 26, v37
	v_cmp_ne_u32_e32 vcc_lo, 0, v43
	v_ashrrev_i32_e32 v50, 31, v50
	v_lshlrev_b32_e32 v47, 25, v37
	v_ashrrev_i32_e32 v39, 31, v39
	v_lshlrev_b32_e32 v43, 24, v37
	v_xor_b32_e32 v38, vcc_lo, v38
	v_cmp_gt_i32_e32 vcc_lo, 0, v41
	v_not_b32_e32 v41, v42
	v_xor_b32_e32 v50, s0, v50
	v_cmp_gt_i32_e64 s0, 0, v42
	v_and_b32_e32 v38, exec_lo, v38
	v_not_b32_e32 v42, v45
	v_ashrrev_i32_e32 v41, 31, v41
	v_xor_b32_e32 v39, vcc_lo, v39
	v_cmp_gt_i32_e32 vcc_lo, 0, v45
	v_and_b32_e32 v38, v38, v50
	v_not_b32_e32 v45, v46
	v_ashrrev_i32_e32 v42, 31, v42
	v_xor_b32_e32 v41, s0, v41
	v_cmp_gt_i32_e64 s0, 0, v46
	v_and_b32_e32 v38, v38, v39
	v_not_b32_e32 v39, v47
	v_ashrrev_i32_e32 v45, 31, v45
	v_xor_b32_e32 v42, vcc_lo, v42
	v_cmp_gt_i32_e32 vcc_lo, 0, v47
	v_and_b32_e32 v38, v38, v41
	v_not_b32_e32 v41, v43
	v_ashrrev_i32_e32 v39, 31, v39
	v_xor_b32_e32 v45, s0, v45
	v_mul_u32_u24_e32 v37, 9, v37
	v_and_b32_e32 v38, v38, v42
	v_cmp_gt_i32_e64 s0, 0, v43
	v_ashrrev_i32_e32 v41, 31, v41
	v_xor_b32_e32 v42, vcc_lo, v39
	v_add_lshl_u32 v39, v3, v37, 2
	v_and_b32_e32 v38, v38, v45
	s_delay_alu instid0(VALU_DEP_4) | instskip(SKIP_2) | instid1(VALU_DEP_1)
	v_xor_b32_e32 v41, s0, v41
	ds_load_b32 v37, v39 offset:32
	v_and_b32_e32 v38, v38, v42
	; wave barrier
	v_and_b32_e32 v41, v38, v41
	s_delay_alu instid0(VALU_DEP_1) | instskip(SKIP_1) | instid1(VALU_DEP_2)
	v_mbcnt_lo_u32_b32 v38, v41, 0
	v_cmp_ne_u32_e64 s0, 0, v41
	v_cmp_eq_u32_e32 vcc_lo, 0, v38
	s_delay_alu instid0(VALU_DEP_2) | instskip(NEXT) | instid1(SALU_CYCLE_1)
	s_and_b32 s3, s0, vcc_lo
	s_and_saveexec_b32 s0, s3
	s_cbranch_execz .LBB48_233
; %bb.232:
	s_waitcnt lgkmcnt(0)
	v_bcnt_u32_b32 v41, v41, v37
	ds_store_b32 v39, v41 offset:32
.LBB48_233:
	s_or_b32 exec_lo, exec_lo, s0
	v_xor_b32_e32 v36, 0xffffff80, v36
	; wave barrier
	s_delay_alu instid0(VALU_DEP_1) | instskip(NEXT) | instid1(VALU_DEP_1)
	v_and_b32_e32 v41, 0xff, v36
	v_lshrrev_b32_e32 v41, s60, v41
	s_delay_alu instid0(VALU_DEP_1) | instskip(NEXT) | instid1(VALU_DEP_1)
	v_and_b32_e32 v41, s1, v41
	v_and_b32_e32 v42, 1, v41
	v_lshlrev_b32_e32 v43, 30, v41
	v_lshlrev_b32_e32 v45, 29, v41
	;; [unrolled: 1-line block ×4, first 2 shown]
	v_add_co_u32 v42, s0, v42, -1
	s_delay_alu instid0(VALU_DEP_1)
	v_cndmask_b32_e64 v47, 0, 1, s0
	v_not_b32_e32 v56, v43
	v_cmp_gt_i32_e64 s0, 0, v43
	v_not_b32_e32 v43, v45
	v_lshlrev_b32_e32 v52, 26, v41
	v_cmp_ne_u32_e32 vcc_lo, 0, v47
	v_ashrrev_i32_e32 v56, 31, v56
	v_lshlrev_b32_e32 v53, 25, v41
	v_ashrrev_i32_e32 v43, 31, v43
	v_lshlrev_b32_e32 v47, 24, v41
	v_xor_b32_e32 v42, vcc_lo, v42
	v_cmp_gt_i32_e32 vcc_lo, 0, v45
	v_not_b32_e32 v45, v46
	v_xor_b32_e32 v56, s0, v56
	v_cmp_gt_i32_e64 s0, 0, v46
	v_and_b32_e32 v42, exec_lo, v42
	v_not_b32_e32 v46, v50
	v_ashrrev_i32_e32 v45, 31, v45
	v_xor_b32_e32 v43, vcc_lo, v43
	v_cmp_gt_i32_e32 vcc_lo, 0, v50
	v_and_b32_e32 v42, v42, v56
	v_not_b32_e32 v50, v52
	v_ashrrev_i32_e32 v46, 31, v46
	v_xor_b32_e32 v45, s0, v45
	v_cmp_gt_i32_e64 s0, 0, v52
	v_and_b32_e32 v42, v42, v43
	v_not_b32_e32 v43, v53
	v_ashrrev_i32_e32 v50, 31, v50
	v_xor_b32_e32 v46, vcc_lo, v46
	v_cmp_gt_i32_e32 vcc_lo, 0, v53
	v_and_b32_e32 v42, v42, v45
	v_not_b32_e32 v45, v47
	v_ashrrev_i32_e32 v43, 31, v43
	v_xor_b32_e32 v50, s0, v50
	v_mul_u32_u24_e32 v41, 9, v41
	v_and_b32_e32 v42, v42, v46
	v_cmp_gt_i32_e64 s0, 0, v47
	v_ashrrev_i32_e32 v45, 31, v45
	v_xor_b32_e32 v46, vcc_lo, v43
	v_add_lshl_u32 v43, v3, v41, 2
	v_and_b32_e32 v42, v42, v50
	s_delay_alu instid0(VALU_DEP_4) | instskip(SKIP_2) | instid1(VALU_DEP_1)
	v_xor_b32_e32 v45, s0, v45
	ds_load_b32 v41, v43 offset:32
	v_and_b32_e32 v42, v42, v46
	; wave barrier
	v_and_b32_e32 v45, v42, v45
	s_delay_alu instid0(VALU_DEP_1) | instskip(SKIP_1) | instid1(VALU_DEP_2)
	v_mbcnt_lo_u32_b32 v42, v45, 0
	v_cmp_ne_u32_e64 s0, 0, v45
	v_cmp_eq_u32_e32 vcc_lo, 0, v42
	s_delay_alu instid0(VALU_DEP_2) | instskip(NEXT) | instid1(SALU_CYCLE_1)
	s_and_b32 s3, s0, vcc_lo
	s_and_saveexec_b32 s0, s3
	s_cbranch_execz .LBB48_235
; %bb.234:
	s_waitcnt lgkmcnt(0)
	v_bcnt_u32_b32 v45, v45, v41
	ds_store_b32 v43, v45 offset:32
.LBB48_235:
	s_or_b32 exec_lo, exec_lo, s0
	v_xor_b32_e32 v40, 0xffffff80, v40
	; wave barrier
	s_delay_alu instid0(VALU_DEP_1) | instskip(NEXT) | instid1(VALU_DEP_1)
	v_and_b32_e32 v45, 0xff, v40
	v_lshrrev_b32_e32 v45, s60, v45
	s_delay_alu instid0(VALU_DEP_1) | instskip(NEXT) | instid1(VALU_DEP_1)
	v_and_b32_e32 v45, s1, v45
	v_and_b32_e32 v46, 1, v45
	v_lshlrev_b32_e32 v47, 30, v45
	v_lshlrev_b32_e32 v50, 29, v45
	;; [unrolled: 1-line block ×4, first 2 shown]
	v_add_co_u32 v46, s0, v46, -1
	s_delay_alu instid0(VALU_DEP_1)
	v_cndmask_b32_e64 v53, 0, 1, s0
	v_not_b32_e32 v60, v47
	v_cmp_gt_i32_e64 s0, 0, v47
	v_not_b32_e32 v47, v50
	v_lshlrev_b32_e32 v57, 26, v45
	v_cmp_ne_u32_e32 vcc_lo, 0, v53
	v_ashrrev_i32_e32 v60, 31, v60
	v_lshlrev_b32_e32 v58, 25, v45
	v_ashrrev_i32_e32 v47, 31, v47
	v_lshlrev_b32_e32 v53, 24, v45
	v_xor_b32_e32 v46, vcc_lo, v46
	v_cmp_gt_i32_e32 vcc_lo, 0, v50
	v_not_b32_e32 v50, v52
	v_xor_b32_e32 v60, s0, v60
	v_cmp_gt_i32_e64 s0, 0, v52
	v_and_b32_e32 v46, exec_lo, v46
	v_not_b32_e32 v52, v56
	v_ashrrev_i32_e32 v50, 31, v50
	v_xor_b32_e32 v47, vcc_lo, v47
	v_cmp_gt_i32_e32 vcc_lo, 0, v56
	v_and_b32_e32 v46, v46, v60
	v_not_b32_e32 v56, v57
	v_ashrrev_i32_e32 v52, 31, v52
	v_xor_b32_e32 v50, s0, v50
	v_cmp_gt_i32_e64 s0, 0, v57
	v_and_b32_e32 v46, v46, v47
	v_not_b32_e32 v47, v58
	v_ashrrev_i32_e32 v56, 31, v56
	v_xor_b32_e32 v52, vcc_lo, v52
	v_cmp_gt_i32_e32 vcc_lo, 0, v58
	v_and_b32_e32 v46, v46, v50
	v_not_b32_e32 v50, v53
	v_ashrrev_i32_e32 v47, 31, v47
	v_xor_b32_e32 v56, s0, v56
	v_mul_u32_u24_e32 v45, 9, v45
	v_and_b32_e32 v46, v46, v52
	v_cmp_gt_i32_e64 s0, 0, v53
	v_ashrrev_i32_e32 v50, 31, v50
	v_xor_b32_e32 v52, vcc_lo, v47
	v_add_lshl_u32 v47, v3, v45, 2
	v_and_b32_e32 v46, v46, v56
	s_delay_alu instid0(VALU_DEP_4) | instskip(SKIP_2) | instid1(VALU_DEP_1)
	v_xor_b32_e32 v50, s0, v50
	ds_load_b32 v45, v47 offset:32
	v_and_b32_e32 v46, v46, v52
	; wave barrier
	v_and_b32_e32 v50, v46, v50
	s_delay_alu instid0(VALU_DEP_1) | instskip(SKIP_1) | instid1(VALU_DEP_2)
	v_mbcnt_lo_u32_b32 v46, v50, 0
	v_cmp_ne_u32_e64 s0, 0, v50
	v_cmp_eq_u32_e32 vcc_lo, 0, v46
	s_delay_alu instid0(VALU_DEP_2) | instskip(NEXT) | instid1(SALU_CYCLE_1)
	s_and_b32 s3, s0, vcc_lo
	s_and_saveexec_b32 s0, s3
	s_cbranch_execz .LBB48_237
; %bb.236:
	s_waitcnt lgkmcnt(0)
	v_bcnt_u32_b32 v50, v50, v45
	ds_store_b32 v47, v50 offset:32
.LBB48_237:
	s_or_b32 exec_lo, exec_lo, s0
	v_xor_b32_e32 v44, 0xffffff80, v44
	; wave barrier
	s_delay_alu instid0(VALU_DEP_1) | instskip(NEXT) | instid1(VALU_DEP_1)
	v_and_b32_e32 v50, 0xff, v44
	v_lshrrev_b32_e32 v50, s60, v50
	s_delay_alu instid0(VALU_DEP_1) | instskip(NEXT) | instid1(VALU_DEP_1)
	v_and_b32_e32 v50, s1, v50
	v_and_b32_e32 v52, 1, v50
	v_lshlrev_b32_e32 v53, 30, v50
	v_lshlrev_b32_e32 v56, 29, v50
	;; [unrolled: 1-line block ×4, first 2 shown]
	v_add_co_u32 v52, s0, v52, -1
	s_delay_alu instid0(VALU_DEP_1)
	v_cndmask_b32_e64 v58, 0, 1, s0
	v_not_b32_e32 v63, v53
	v_cmp_gt_i32_e64 s0, 0, v53
	v_not_b32_e32 v53, v56
	v_lshlrev_b32_e32 v61, 26, v50
	v_cmp_ne_u32_e32 vcc_lo, 0, v58
	v_ashrrev_i32_e32 v63, 31, v63
	v_lshlrev_b32_e32 v62, 25, v50
	v_ashrrev_i32_e32 v53, 31, v53
	v_lshlrev_b32_e32 v58, 24, v50
	v_xor_b32_e32 v52, vcc_lo, v52
	v_cmp_gt_i32_e32 vcc_lo, 0, v56
	v_not_b32_e32 v56, v57
	v_xor_b32_e32 v63, s0, v63
	v_cmp_gt_i32_e64 s0, 0, v57
	v_and_b32_e32 v52, exec_lo, v52
	v_not_b32_e32 v57, v60
	v_ashrrev_i32_e32 v56, 31, v56
	v_xor_b32_e32 v53, vcc_lo, v53
	v_cmp_gt_i32_e32 vcc_lo, 0, v60
	v_and_b32_e32 v52, v52, v63
	v_not_b32_e32 v60, v61
	v_ashrrev_i32_e32 v57, 31, v57
	v_xor_b32_e32 v56, s0, v56
	v_cmp_gt_i32_e64 s0, 0, v61
	v_and_b32_e32 v52, v52, v53
	v_not_b32_e32 v53, v62
	v_ashrrev_i32_e32 v60, 31, v60
	v_xor_b32_e32 v57, vcc_lo, v57
	v_cmp_gt_i32_e32 vcc_lo, 0, v62
	v_and_b32_e32 v52, v52, v56
	v_not_b32_e32 v56, v58
	v_ashrrev_i32_e32 v53, 31, v53
	v_xor_b32_e32 v60, s0, v60
	v_mul_u32_u24_e32 v50, 9, v50
	v_and_b32_e32 v52, v52, v57
	v_cmp_gt_i32_e64 s0, 0, v58
	v_ashrrev_i32_e32 v56, 31, v56
	v_xor_b32_e32 v57, vcc_lo, v53
	v_add_lshl_u32 v53, v3, v50, 2
	v_and_b32_e32 v52, v52, v60
	s_delay_alu instid0(VALU_DEP_4) | instskip(SKIP_2) | instid1(VALU_DEP_1)
	v_xor_b32_e32 v56, s0, v56
	ds_load_b32 v50, v53 offset:32
	v_and_b32_e32 v52, v52, v57
	; wave barrier
	v_and_b32_e32 v56, v52, v56
	s_delay_alu instid0(VALU_DEP_1) | instskip(SKIP_1) | instid1(VALU_DEP_2)
	v_mbcnt_lo_u32_b32 v52, v56, 0
	v_cmp_ne_u32_e64 s0, 0, v56
	v_cmp_eq_u32_e32 vcc_lo, 0, v52
	s_delay_alu instid0(VALU_DEP_2) | instskip(NEXT) | instid1(SALU_CYCLE_1)
	s_and_b32 s3, s0, vcc_lo
	s_and_saveexec_b32 s0, s3
	s_cbranch_execz .LBB48_239
; %bb.238:
	s_waitcnt lgkmcnt(0)
	v_bcnt_u32_b32 v56, v56, v50
	ds_store_b32 v53, v56 offset:32
.LBB48_239:
	s_or_b32 exec_lo, exec_lo, s0
	v_xor_b32_e32 v49, 0xffffff80, v49
	; wave barrier
	s_delay_alu instid0(VALU_DEP_1) | instskip(NEXT) | instid1(VALU_DEP_1)
	v_and_b32_e32 v56, 0xff, v49
	v_lshrrev_b32_e32 v56, s60, v56
	s_delay_alu instid0(VALU_DEP_1) | instskip(NEXT) | instid1(VALU_DEP_1)
	v_and_b32_e32 v56, s1, v56
	v_and_b32_e32 v57, 1, v56
	v_lshlrev_b32_e32 v58, 30, v56
	v_lshlrev_b32_e32 v60, 29, v56
	;; [unrolled: 1-line block ×4, first 2 shown]
	v_add_co_u32 v57, s0, v57, -1
	s_delay_alu instid0(VALU_DEP_1)
	v_cndmask_b32_e64 v62, 0, 1, s0
	v_not_b32_e32 v66, v58
	v_cmp_gt_i32_e64 s0, 0, v58
	v_not_b32_e32 v58, v60
	v_lshlrev_b32_e32 v64, 26, v56
	v_cmp_ne_u32_e32 vcc_lo, 0, v62
	v_ashrrev_i32_e32 v66, 31, v66
	v_lshlrev_b32_e32 v65, 25, v56
	v_ashrrev_i32_e32 v58, 31, v58
	v_lshlrev_b32_e32 v62, 24, v56
	v_xor_b32_e32 v57, vcc_lo, v57
	v_cmp_gt_i32_e32 vcc_lo, 0, v60
	v_not_b32_e32 v60, v61
	v_xor_b32_e32 v66, s0, v66
	v_cmp_gt_i32_e64 s0, 0, v61
	v_and_b32_e32 v57, exec_lo, v57
	v_not_b32_e32 v61, v63
	v_ashrrev_i32_e32 v60, 31, v60
	v_xor_b32_e32 v58, vcc_lo, v58
	v_cmp_gt_i32_e32 vcc_lo, 0, v63
	v_and_b32_e32 v57, v57, v66
	v_not_b32_e32 v63, v64
	v_ashrrev_i32_e32 v61, 31, v61
	v_xor_b32_e32 v60, s0, v60
	v_cmp_gt_i32_e64 s0, 0, v64
	v_and_b32_e32 v57, v57, v58
	v_not_b32_e32 v58, v65
	v_ashrrev_i32_e32 v63, 31, v63
	v_xor_b32_e32 v61, vcc_lo, v61
	v_cmp_gt_i32_e32 vcc_lo, 0, v65
	v_and_b32_e32 v57, v57, v60
	v_not_b32_e32 v60, v62
	v_ashrrev_i32_e32 v58, 31, v58
	v_xor_b32_e32 v63, s0, v63
	v_mul_u32_u24_e32 v56, 9, v56
	v_and_b32_e32 v57, v57, v61
	v_cmp_gt_i32_e64 s0, 0, v62
	v_ashrrev_i32_e32 v60, 31, v60
	v_xor_b32_e32 v61, vcc_lo, v58
	v_add_lshl_u32 v58, v3, v56, 2
	v_and_b32_e32 v57, v57, v63
	s_delay_alu instid0(VALU_DEP_4) | instskip(SKIP_2) | instid1(VALU_DEP_1)
	v_xor_b32_e32 v60, s0, v60
	ds_load_b32 v56, v58 offset:32
	v_and_b32_e32 v57, v57, v61
	; wave barrier
	v_and_b32_e32 v60, v57, v60
	s_delay_alu instid0(VALU_DEP_1) | instskip(SKIP_1) | instid1(VALU_DEP_2)
	v_mbcnt_lo_u32_b32 v57, v60, 0
	v_cmp_ne_u32_e64 s0, 0, v60
	v_cmp_eq_u32_e32 vcc_lo, 0, v57
	s_delay_alu instid0(VALU_DEP_2) | instskip(NEXT) | instid1(SALU_CYCLE_1)
	s_and_b32 s3, s0, vcc_lo
	s_and_saveexec_b32 s0, s3
	s_cbranch_execz .LBB48_241
; %bb.240:
	s_waitcnt lgkmcnt(0)
	v_bcnt_u32_b32 v60, v60, v56
	ds_store_b32 v58, v60 offset:32
.LBB48_241:
	s_or_b32 exec_lo, exec_lo, s0
	v_xor_b32_e32 v55, 0xffffff80, v55
	; wave barrier
	s_delay_alu instid0(VALU_DEP_1) | instskip(NEXT) | instid1(VALU_DEP_1)
	v_and_b32_e32 v60, 0xff, v55
	v_lshrrev_b32_e32 v60, s60, v60
	s_delay_alu instid0(VALU_DEP_1) | instskip(NEXT) | instid1(VALU_DEP_1)
	v_and_b32_e32 v60, s1, v60
	v_and_b32_e32 v61, 1, v60
	v_lshlrev_b32_e32 v62, 30, v60
	v_lshlrev_b32_e32 v63, 29, v60
	;; [unrolled: 1-line block ×4, first 2 shown]
	v_add_co_u32 v61, s0, v61, -1
	s_delay_alu instid0(VALU_DEP_1)
	v_cndmask_b32_e64 v65, 0, 1, s0
	v_not_b32_e32 v69, v62
	v_cmp_gt_i32_e64 s0, 0, v62
	v_not_b32_e32 v62, v63
	v_lshlrev_b32_e32 v67, 26, v60
	v_cmp_ne_u32_e32 vcc_lo, 0, v65
	v_ashrrev_i32_e32 v69, 31, v69
	v_lshlrev_b32_e32 v68, 25, v60
	v_ashrrev_i32_e32 v62, 31, v62
	v_lshlrev_b32_e32 v65, 24, v60
	v_xor_b32_e32 v61, vcc_lo, v61
	v_cmp_gt_i32_e32 vcc_lo, 0, v63
	v_not_b32_e32 v63, v64
	v_xor_b32_e32 v69, s0, v69
	v_cmp_gt_i32_e64 s0, 0, v64
	v_and_b32_e32 v61, exec_lo, v61
	v_not_b32_e32 v64, v66
	v_ashrrev_i32_e32 v63, 31, v63
	v_xor_b32_e32 v62, vcc_lo, v62
	v_cmp_gt_i32_e32 vcc_lo, 0, v66
	v_and_b32_e32 v61, v61, v69
	v_not_b32_e32 v66, v67
	v_ashrrev_i32_e32 v64, 31, v64
	v_xor_b32_e32 v63, s0, v63
	v_cmp_gt_i32_e64 s0, 0, v67
	v_and_b32_e32 v61, v61, v62
	v_not_b32_e32 v62, v68
	v_ashrrev_i32_e32 v66, 31, v66
	v_xor_b32_e32 v64, vcc_lo, v64
	v_cmp_gt_i32_e32 vcc_lo, 0, v68
	v_and_b32_e32 v61, v61, v63
	v_not_b32_e32 v63, v65
	v_ashrrev_i32_e32 v62, 31, v62
	v_xor_b32_e32 v66, s0, v66
	v_mul_u32_u24_e32 v60, 9, v60
	v_and_b32_e32 v61, v61, v64
	v_cmp_gt_i32_e64 s0, 0, v65
	v_ashrrev_i32_e32 v63, 31, v63
	v_xor_b32_e32 v64, vcc_lo, v62
	v_add_lshl_u32 v62, v3, v60, 2
	v_and_b32_e32 v61, v61, v66
	s_delay_alu instid0(VALU_DEP_4) | instskip(SKIP_2) | instid1(VALU_DEP_1)
	v_xor_b32_e32 v63, s0, v63
	ds_load_b32 v60, v62 offset:32
	v_and_b32_e32 v61, v61, v64
	; wave barrier
	v_and_b32_e32 v63, v61, v63
	s_delay_alu instid0(VALU_DEP_1) | instskip(SKIP_1) | instid1(VALU_DEP_2)
	v_mbcnt_lo_u32_b32 v61, v63, 0
	v_cmp_ne_u32_e64 s0, 0, v63
	v_cmp_eq_u32_e32 vcc_lo, 0, v61
	s_delay_alu instid0(VALU_DEP_2) | instskip(NEXT) | instid1(SALU_CYCLE_1)
	s_and_b32 s3, s0, vcc_lo
	s_and_saveexec_b32 s0, s3
	s_cbranch_execz .LBB48_243
; %bb.242:
	s_waitcnt lgkmcnt(0)
	v_bcnt_u32_b32 v63, v63, v60
	ds_store_b32 v62, v63 offset:32
.LBB48_243:
	s_or_b32 exec_lo, exec_lo, s0
	v_xor_b32_e32 v59, 0xffffff80, v59
	; wave barrier
	s_delay_alu instid0(VALU_DEP_1) | instskip(NEXT) | instid1(VALU_DEP_1)
	v_and_b32_e32 v63, 0xff, v59
	v_lshrrev_b32_e32 v63, s60, v63
	s_delay_alu instid0(VALU_DEP_1) | instskip(NEXT) | instid1(VALU_DEP_1)
	v_and_b32_e32 v63, s1, v63
	v_and_b32_e32 v64, 1, v63
	v_lshlrev_b32_e32 v65, 30, v63
	v_lshlrev_b32_e32 v66, 29, v63
	v_lshlrev_b32_e32 v67, 28, v63
	v_lshlrev_b32_e32 v69, 27, v63
	v_add_co_u32 v64, s0, v64, -1
	s_delay_alu instid0(VALU_DEP_1)
	v_cndmask_b32_e64 v68, 0, 1, s0
	v_not_b32_e32 v72, v65
	v_cmp_gt_i32_e64 s0, 0, v65
	v_not_b32_e32 v65, v66
	v_lshlrev_b32_e32 v70, 26, v63
	v_cmp_ne_u32_e32 vcc_lo, 0, v68
	v_ashrrev_i32_e32 v72, 31, v72
	v_lshlrev_b32_e32 v71, 25, v63
	v_ashrrev_i32_e32 v65, 31, v65
	v_lshlrev_b32_e32 v68, 24, v63
	v_xor_b32_e32 v64, vcc_lo, v64
	v_cmp_gt_i32_e32 vcc_lo, 0, v66
	v_not_b32_e32 v66, v67
	v_xor_b32_e32 v72, s0, v72
	v_cmp_gt_i32_e64 s0, 0, v67
	v_and_b32_e32 v64, exec_lo, v64
	v_not_b32_e32 v67, v69
	v_ashrrev_i32_e32 v66, 31, v66
	v_xor_b32_e32 v65, vcc_lo, v65
	v_cmp_gt_i32_e32 vcc_lo, 0, v69
	v_and_b32_e32 v64, v64, v72
	v_not_b32_e32 v69, v70
	v_ashrrev_i32_e32 v67, 31, v67
	v_xor_b32_e32 v66, s0, v66
	v_cmp_gt_i32_e64 s0, 0, v70
	v_and_b32_e32 v64, v64, v65
	v_not_b32_e32 v65, v71
	v_ashrrev_i32_e32 v69, 31, v69
	v_xor_b32_e32 v67, vcc_lo, v67
	v_cmp_gt_i32_e32 vcc_lo, 0, v71
	v_and_b32_e32 v64, v64, v66
	v_not_b32_e32 v66, v68
	v_ashrrev_i32_e32 v65, 31, v65
	v_xor_b32_e32 v69, s0, v69
	v_mul_u32_u24_e32 v63, 9, v63
	v_and_b32_e32 v64, v64, v67
	v_cmp_gt_i32_e64 s0, 0, v68
	v_ashrrev_i32_e32 v66, 31, v66
	v_xor_b32_e32 v67, vcc_lo, v65
	v_add_lshl_u32 v65, v3, v63, 2
	v_and_b32_e32 v64, v64, v69
	s_delay_alu instid0(VALU_DEP_4) | instskip(SKIP_2) | instid1(VALU_DEP_1)
	v_xor_b32_e32 v66, s0, v66
	ds_load_b32 v63, v65 offset:32
	v_and_b32_e32 v64, v64, v67
	; wave barrier
	v_and_b32_e32 v66, v64, v66
	s_delay_alu instid0(VALU_DEP_1) | instskip(SKIP_1) | instid1(VALU_DEP_2)
	v_mbcnt_lo_u32_b32 v64, v66, 0
	v_cmp_ne_u32_e64 s0, 0, v66
	v_cmp_eq_u32_e32 vcc_lo, 0, v64
	s_delay_alu instid0(VALU_DEP_2) | instskip(NEXT) | instid1(SALU_CYCLE_1)
	s_and_b32 s3, s0, vcc_lo
	s_and_saveexec_b32 s0, s3
	s_cbranch_execz .LBB48_245
; %bb.244:
	s_waitcnt lgkmcnt(0)
	v_bcnt_u32_b32 v66, v66, v63
	ds_store_b32 v65, v66 offset:32
.LBB48_245:
	s_or_b32 exec_lo, exec_lo, s0
	v_xor_b32_e32 v54, 0xffffff80, v54
	; wave barrier
	s_delay_alu instid0(VALU_DEP_1) | instskip(NEXT) | instid1(VALU_DEP_1)
	v_and_b32_e32 v66, 0xff, v54
	v_lshrrev_b32_e32 v66, s60, v66
	s_delay_alu instid0(VALU_DEP_1) | instskip(NEXT) | instid1(VALU_DEP_1)
	v_and_b32_e32 v66, s1, v66
	v_and_b32_e32 v67, 1, v66
	v_lshlrev_b32_e32 v68, 30, v66
	v_lshlrev_b32_e32 v69, 29, v66
	;; [unrolled: 1-line block ×4, first 2 shown]
	v_add_co_u32 v67, s0, v67, -1
	s_delay_alu instid0(VALU_DEP_1)
	v_cndmask_b32_e64 v71, 0, 1, s0
	v_not_b32_e32 v75, v68
	v_cmp_gt_i32_e64 s0, 0, v68
	v_not_b32_e32 v68, v69
	v_lshlrev_b32_e32 v73, 26, v66
	v_cmp_ne_u32_e32 vcc_lo, 0, v71
	v_ashrrev_i32_e32 v75, 31, v75
	v_lshlrev_b32_e32 v74, 25, v66
	v_ashrrev_i32_e32 v68, 31, v68
	v_lshlrev_b32_e32 v71, 24, v66
	v_xor_b32_e32 v67, vcc_lo, v67
	v_cmp_gt_i32_e32 vcc_lo, 0, v69
	v_not_b32_e32 v69, v70
	v_xor_b32_e32 v75, s0, v75
	v_cmp_gt_i32_e64 s0, 0, v70
	v_and_b32_e32 v67, exec_lo, v67
	v_not_b32_e32 v70, v72
	v_ashrrev_i32_e32 v69, 31, v69
	v_xor_b32_e32 v68, vcc_lo, v68
	v_cmp_gt_i32_e32 vcc_lo, 0, v72
	v_and_b32_e32 v67, v67, v75
	v_not_b32_e32 v72, v73
	v_ashrrev_i32_e32 v70, 31, v70
	v_xor_b32_e32 v69, s0, v69
	v_cmp_gt_i32_e64 s0, 0, v73
	v_and_b32_e32 v67, v67, v68
	v_not_b32_e32 v68, v74
	v_ashrrev_i32_e32 v72, 31, v72
	v_xor_b32_e32 v70, vcc_lo, v70
	v_cmp_gt_i32_e32 vcc_lo, 0, v74
	v_and_b32_e32 v67, v67, v69
	v_not_b32_e32 v69, v71
	v_ashrrev_i32_e32 v68, 31, v68
	v_xor_b32_e32 v72, s0, v72
	v_mul_u32_u24_e32 v66, 9, v66
	v_and_b32_e32 v67, v67, v70
	v_cmp_gt_i32_e64 s0, 0, v71
	v_ashrrev_i32_e32 v69, 31, v69
	v_xor_b32_e32 v70, vcc_lo, v68
	v_add_lshl_u32 v68, v3, v66, 2
	v_and_b32_e32 v67, v67, v72
	s_delay_alu instid0(VALU_DEP_4) | instskip(SKIP_2) | instid1(VALU_DEP_1)
	v_xor_b32_e32 v69, s0, v69
	ds_load_b32 v66, v68 offset:32
	v_and_b32_e32 v67, v67, v70
	; wave barrier
	v_and_b32_e32 v69, v67, v69
	s_delay_alu instid0(VALU_DEP_1) | instskip(SKIP_1) | instid1(VALU_DEP_2)
	v_mbcnt_lo_u32_b32 v67, v69, 0
	v_cmp_ne_u32_e64 s0, 0, v69
	v_cmp_eq_u32_e32 vcc_lo, 0, v67
	s_delay_alu instid0(VALU_DEP_2) | instskip(NEXT) | instid1(SALU_CYCLE_1)
	s_and_b32 s3, s0, vcc_lo
	s_and_saveexec_b32 s0, s3
	s_cbranch_execz .LBB48_247
; %bb.246:
	s_waitcnt lgkmcnt(0)
	v_bcnt_u32_b32 v69, v69, v66
	ds_store_b32 v68, v69 offset:32
.LBB48_247:
	s_or_b32 exec_lo, exec_lo, s0
	v_xor_b32_e32 v48, 0xffffff80, v48
	; wave barrier
	s_delay_alu instid0(VALU_DEP_1) | instskip(NEXT) | instid1(VALU_DEP_1)
	v_and_b32_e32 v69, 0xff, v48
	v_lshrrev_b32_e32 v69, s60, v69
	s_delay_alu instid0(VALU_DEP_1) | instskip(NEXT) | instid1(VALU_DEP_1)
	v_and_b32_e32 v69, s1, v69
	v_and_b32_e32 v70, 1, v69
	v_lshlrev_b32_e32 v71, 30, v69
	v_lshlrev_b32_e32 v72, 29, v69
	;; [unrolled: 1-line block ×4, first 2 shown]
	v_add_co_u32 v70, s0, v70, -1
	s_delay_alu instid0(VALU_DEP_1)
	v_cndmask_b32_e64 v74, 0, 1, s0
	v_not_b32_e32 v78, v71
	v_cmp_gt_i32_e64 s0, 0, v71
	v_not_b32_e32 v71, v72
	v_lshlrev_b32_e32 v76, 26, v69
	v_cmp_ne_u32_e32 vcc_lo, 0, v74
	v_ashrrev_i32_e32 v78, 31, v78
	v_lshlrev_b32_e32 v77, 25, v69
	v_ashrrev_i32_e32 v71, 31, v71
	v_lshlrev_b32_e32 v74, 24, v69
	v_xor_b32_e32 v70, vcc_lo, v70
	v_cmp_gt_i32_e32 vcc_lo, 0, v72
	v_not_b32_e32 v72, v73
	v_xor_b32_e32 v78, s0, v78
	v_cmp_gt_i32_e64 s0, 0, v73
	v_and_b32_e32 v70, exec_lo, v70
	v_not_b32_e32 v73, v75
	v_ashrrev_i32_e32 v72, 31, v72
	v_xor_b32_e32 v71, vcc_lo, v71
	v_cmp_gt_i32_e32 vcc_lo, 0, v75
	v_and_b32_e32 v70, v70, v78
	v_not_b32_e32 v75, v76
	v_ashrrev_i32_e32 v73, 31, v73
	v_xor_b32_e32 v72, s0, v72
	v_cmp_gt_i32_e64 s0, 0, v76
	v_and_b32_e32 v70, v70, v71
	v_not_b32_e32 v71, v77
	v_ashrrev_i32_e32 v75, 31, v75
	v_xor_b32_e32 v73, vcc_lo, v73
	v_cmp_gt_i32_e32 vcc_lo, 0, v77
	v_and_b32_e32 v70, v70, v72
	v_not_b32_e32 v72, v74
	v_ashrrev_i32_e32 v71, 31, v71
	v_xor_b32_e32 v75, s0, v75
	v_mul_u32_u24_e32 v69, 9, v69
	v_and_b32_e32 v70, v70, v73
	v_cmp_gt_i32_e64 s0, 0, v74
	v_ashrrev_i32_e32 v73, 31, v72
	v_xor_b32_e32 v71, vcc_lo, v71
	v_add_lshl_u32 v72, v3, v69, 2
	v_and_b32_e32 v70, v70, v75
	s_delay_alu instid0(VALU_DEP_4) | instskip(NEXT) | instid1(VALU_DEP_2)
	v_xor_b32_e32 v69, s0, v73
	v_and_b32_e32 v71, v70, v71
	ds_load_b32 v70, v72 offset:32
	; wave barrier
	v_and_b32_e32 v69, v71, v69
	s_delay_alu instid0(VALU_DEP_1) | instskip(SKIP_1) | instid1(VALU_DEP_2)
	v_mbcnt_lo_u32_b32 v71, v69, 0
	v_cmp_ne_u32_e64 s0, 0, v69
	v_cmp_eq_u32_e32 vcc_lo, 0, v71
	s_delay_alu instid0(VALU_DEP_2) | instskip(NEXT) | instid1(SALU_CYCLE_1)
	s_and_b32 s3, s0, vcc_lo
	s_and_saveexec_b32 s0, s3
	s_cbranch_execz .LBB48_249
; %bb.248:
	s_waitcnt lgkmcnt(0)
	v_bcnt_u32_b32 v69, v69, v70
	ds_store_b32 v72, v69 offset:32
.LBB48_249:
	s_or_b32 exec_lo, exec_lo, s0
	v_xor_b32_e32 v69, 0xffffff80, v9
	; wave barrier
	s_delay_alu instid0(VALU_DEP_1) | instskip(NEXT) | instid1(VALU_DEP_1)
	v_and_b32_e32 v9, 0xff, v69
	v_lshrrev_b32_e32 v9, s60, v9
	s_delay_alu instid0(VALU_DEP_1) | instskip(NEXT) | instid1(VALU_DEP_1)
	v_and_b32_e32 v9, s1, v9
	v_and_b32_e32 v73, 1, v9
	v_lshlrev_b32_e32 v74, 30, v9
	v_lshlrev_b32_e32 v75, 29, v9
	;; [unrolled: 1-line block ×4, first 2 shown]
	v_add_co_u32 v73, s0, v73, -1
	s_delay_alu instid0(VALU_DEP_1)
	v_cndmask_b32_e64 v77, 0, 1, s0
	v_not_b32_e32 v81, v74
	v_cmp_gt_i32_e64 s0, 0, v74
	v_not_b32_e32 v74, v75
	v_lshlrev_b32_e32 v79, 26, v9
	v_cmp_ne_u32_e32 vcc_lo, 0, v77
	v_ashrrev_i32_e32 v81, 31, v81
	v_lshlrev_b32_e32 v80, 25, v9
	v_ashrrev_i32_e32 v74, 31, v74
	v_lshlrev_b32_e32 v77, 24, v9
	v_xor_b32_e32 v73, vcc_lo, v73
	v_cmp_gt_i32_e32 vcc_lo, 0, v75
	v_not_b32_e32 v75, v76
	v_xor_b32_e32 v81, s0, v81
	v_cmp_gt_i32_e64 s0, 0, v76
	v_and_b32_e32 v73, exec_lo, v73
	v_not_b32_e32 v76, v78
	v_ashrrev_i32_e32 v75, 31, v75
	v_xor_b32_e32 v74, vcc_lo, v74
	v_cmp_gt_i32_e32 vcc_lo, 0, v78
	v_and_b32_e32 v73, v73, v81
	v_not_b32_e32 v78, v79
	v_ashrrev_i32_e32 v76, 31, v76
	v_xor_b32_e32 v75, s0, v75
	v_cmp_gt_i32_e64 s0, 0, v79
	v_and_b32_e32 v73, v73, v74
	v_not_b32_e32 v74, v80
	v_ashrrev_i32_e32 v78, 31, v78
	v_xor_b32_e32 v76, vcc_lo, v76
	v_cmp_gt_i32_e32 vcc_lo, 0, v80
	v_and_b32_e32 v73, v73, v75
	v_not_b32_e32 v75, v77
	v_ashrrev_i32_e32 v74, 31, v74
	v_xor_b32_e32 v78, s0, v78
	v_mul_u32_u24_e32 v9, 9, v9
	v_and_b32_e32 v73, v73, v76
	v_cmp_gt_i32_e64 s0, 0, v77
	v_ashrrev_i32_e32 v75, 31, v75
	v_xor_b32_e32 v74, vcc_lo, v74
	v_add_lshl_u32 v76, v3, v9, 2
	v_and_b32_e32 v73, v73, v78
	s_delay_alu instid0(VALU_DEP_4) | instskip(NEXT) | instid1(VALU_DEP_2)
	v_xor_b32_e32 v9, s0, v75
	v_and_b32_e32 v73, v73, v74
	ds_load_b32 v74, v76 offset:32
	; wave barrier
	v_and_b32_e32 v9, v73, v9
	s_delay_alu instid0(VALU_DEP_1) | instskip(SKIP_1) | instid1(VALU_DEP_2)
	v_mbcnt_lo_u32_b32 v75, v9, 0
	v_cmp_ne_u32_e64 s0, 0, v9
	v_cmp_eq_u32_e32 vcc_lo, 0, v75
	s_delay_alu instid0(VALU_DEP_2) | instskip(NEXT) | instid1(SALU_CYCLE_1)
	s_and_b32 s3, s0, vcc_lo
	s_and_saveexec_b32 s0, s3
	s_cbranch_execz .LBB48_251
; %bb.250:
	s_waitcnt lgkmcnt(0)
	v_bcnt_u32_b32 v9, v9, v74
	ds_store_b32 v76, v9 offset:32
.LBB48_251:
	s_or_b32 exec_lo, exec_lo, s0
	v_xor_b32_e32 v73, 0xffffff80, v8
	; wave barrier
	s_delay_alu instid0(VALU_DEP_1) | instskip(NEXT) | instid1(VALU_DEP_1)
	v_and_b32_e32 v8, 0xff, v73
	v_lshrrev_b32_e32 v8, s60, v8
	s_delay_alu instid0(VALU_DEP_1) | instskip(NEXT) | instid1(VALU_DEP_1)
	v_and_b32_e32 v8, s1, v8
	v_and_b32_e32 v9, 1, v8
	v_lshlrev_b32_e32 v77, 30, v8
	v_lshlrev_b32_e32 v78, 29, v8
	;; [unrolled: 1-line block ×4, first 2 shown]
	v_add_co_u32 v9, s0, v9, -1
	s_delay_alu instid0(VALU_DEP_1)
	v_cndmask_b32_e64 v80, 0, 1, s0
	v_not_b32_e32 v84, v77
	v_cmp_gt_i32_e64 s0, 0, v77
	v_not_b32_e32 v77, v78
	v_lshlrev_b32_e32 v82, 26, v8
	v_cmp_ne_u32_e32 vcc_lo, 0, v80
	v_ashrrev_i32_e32 v84, 31, v84
	v_lshlrev_b32_e32 v83, 25, v8
	v_ashrrev_i32_e32 v77, 31, v77
	v_lshlrev_b32_e32 v80, 24, v8
	v_xor_b32_e32 v9, vcc_lo, v9
	v_cmp_gt_i32_e32 vcc_lo, 0, v78
	v_not_b32_e32 v78, v79
	v_xor_b32_e32 v84, s0, v84
	v_cmp_gt_i32_e64 s0, 0, v79
	v_and_b32_e32 v9, exec_lo, v9
	v_not_b32_e32 v79, v81
	v_ashrrev_i32_e32 v78, 31, v78
	v_xor_b32_e32 v77, vcc_lo, v77
	v_cmp_gt_i32_e32 vcc_lo, 0, v81
	v_and_b32_e32 v9, v9, v84
	v_not_b32_e32 v81, v82
	v_ashrrev_i32_e32 v79, 31, v79
	v_xor_b32_e32 v78, s0, v78
	v_cmp_gt_i32_e64 s0, 0, v82
	v_and_b32_e32 v9, v9, v77
	v_not_b32_e32 v77, v83
	v_ashrrev_i32_e32 v81, 31, v81
	v_xor_b32_e32 v79, vcc_lo, v79
	v_cmp_gt_i32_e32 vcc_lo, 0, v83
	v_and_b32_e32 v9, v9, v78
	v_not_b32_e32 v78, v80
	v_ashrrev_i32_e32 v77, 31, v77
	v_xor_b32_e32 v81, s0, v81
	v_mul_u32_u24_e32 v8, 9, v8
	v_and_b32_e32 v9, v9, v79
	v_cmp_gt_i32_e64 s0, 0, v80
	v_ashrrev_i32_e32 v78, 31, v78
	v_xor_b32_e32 v77, vcc_lo, v77
	v_add_lshl_u32 v80, v3, v8, 2
	v_and_b32_e32 v9, v9, v81
	s_delay_alu instid0(VALU_DEP_4) | instskip(SKIP_2) | instid1(VALU_DEP_1)
	v_xor_b32_e32 v8, s0, v78
	ds_load_b32 v78, v80 offset:32
	v_and_b32_e32 v9, v9, v77
	; wave barrier
	v_and_b32_e32 v8, v9, v8
	s_delay_alu instid0(VALU_DEP_1) | instskip(SKIP_1) | instid1(VALU_DEP_2)
	v_mbcnt_lo_u32_b32 v79, v8, 0
	v_cmp_ne_u32_e64 s0, 0, v8
	v_cmp_eq_u32_e32 vcc_lo, 0, v79
	s_delay_alu instid0(VALU_DEP_2) | instskip(NEXT) | instid1(SALU_CYCLE_1)
	s_and_b32 s3, s0, vcc_lo
	s_and_saveexec_b32 s0, s3
	s_cbranch_execz .LBB48_253
; %bb.252:
	s_waitcnt lgkmcnt(0)
	v_bcnt_u32_b32 v8, v8, v78
	ds_store_b32 v80, v8 offset:32
.LBB48_253:
	s_or_b32 exec_lo, exec_lo, s0
	v_xor_b32_e32 v77, 0xffffff80, v7
	; wave barrier
	s_delay_alu instid0(VALU_DEP_1) | instskip(NEXT) | instid1(VALU_DEP_1)
	v_and_b32_e32 v7, 0xff, v77
	v_lshrrev_b32_e32 v7, s60, v7
	s_delay_alu instid0(VALU_DEP_1) | instskip(NEXT) | instid1(VALU_DEP_1)
	v_and_b32_e32 v7, s1, v7
	v_and_b32_e32 v8, 1, v7
	v_lshlrev_b32_e32 v9, 30, v7
	v_lshlrev_b32_e32 v81, 29, v7
	;; [unrolled: 1-line block ×4, first 2 shown]
	v_add_co_u32 v8, s0, v8, -1
	s_delay_alu instid0(VALU_DEP_1)
	v_cndmask_b32_e64 v83, 0, 1, s0
	v_not_b32_e32 v87, v9
	v_cmp_gt_i32_e64 s0, 0, v9
	v_not_b32_e32 v9, v81
	v_lshlrev_b32_e32 v85, 26, v7
	v_cmp_ne_u32_e32 vcc_lo, 0, v83
	v_ashrrev_i32_e32 v87, 31, v87
	v_lshlrev_b32_e32 v86, 25, v7
	v_ashrrev_i32_e32 v9, 31, v9
	v_lshlrev_b32_e32 v83, 24, v7
	v_xor_b32_e32 v8, vcc_lo, v8
	v_cmp_gt_i32_e32 vcc_lo, 0, v81
	v_not_b32_e32 v81, v82
	v_xor_b32_e32 v87, s0, v87
	v_cmp_gt_i32_e64 s0, 0, v82
	v_and_b32_e32 v8, exec_lo, v8
	v_not_b32_e32 v82, v84
	v_ashrrev_i32_e32 v81, 31, v81
	v_xor_b32_e32 v9, vcc_lo, v9
	v_cmp_gt_i32_e32 vcc_lo, 0, v84
	v_and_b32_e32 v8, v8, v87
	v_not_b32_e32 v84, v85
	v_ashrrev_i32_e32 v82, 31, v82
	v_xor_b32_e32 v81, s0, v81
	v_cmp_gt_i32_e64 s0, 0, v85
	v_and_b32_e32 v8, v8, v9
	v_not_b32_e32 v9, v86
	v_ashrrev_i32_e32 v84, 31, v84
	v_xor_b32_e32 v82, vcc_lo, v82
	v_cmp_gt_i32_e32 vcc_lo, 0, v86
	v_and_b32_e32 v8, v8, v81
	v_not_b32_e32 v81, v83
	v_ashrrev_i32_e32 v9, 31, v9
	v_xor_b32_e32 v84, s0, v84
	v_mul_u32_u24_e32 v7, 9, v7
	v_and_b32_e32 v8, v8, v82
	v_cmp_gt_i32_e64 s0, 0, v83
	v_ashrrev_i32_e32 v81, 31, v81
	v_xor_b32_e32 v9, vcc_lo, v9
	s_delay_alu instid0(VALU_DEP_4) | instskip(SKIP_1) | instid1(VALU_DEP_4)
	v_and_b32_e32 v8, v8, v84
	v_add_lshl_u32 v84, v3, v7, 2
	v_xor_b32_e32 v7, s0, v81
	s_delay_alu instid0(VALU_DEP_3) | instskip(SKIP_2) | instid1(VALU_DEP_1)
	v_and_b32_e32 v8, v8, v9
	ds_load_b32 v82, v84 offset:32
	; wave barrier
	v_and_b32_e32 v7, v8, v7
	v_mbcnt_lo_u32_b32 v83, v7, 0
	v_cmp_ne_u32_e64 s0, 0, v7
	s_delay_alu instid0(VALU_DEP_2) | instskip(NEXT) | instid1(VALU_DEP_2)
	v_cmp_eq_u32_e32 vcc_lo, 0, v83
	s_and_b32 s3, s0, vcc_lo
	s_delay_alu instid0(SALU_CYCLE_1)
	s_and_saveexec_b32 s0, s3
	s_cbranch_execz .LBB48_255
; %bb.254:
	s_waitcnt lgkmcnt(0)
	v_bcnt_u32_b32 v7, v7, v82
	ds_store_b32 v84, v7 offset:32
.LBB48_255:
	s_or_b32 exec_lo, exec_lo, s0
	v_xor_b32_e32 v81, 0xffffff80, v6
	; wave barrier
	s_delay_alu instid0(VALU_DEP_1) | instskip(NEXT) | instid1(VALU_DEP_1)
	v_and_b32_e32 v6, 0xff, v81
	v_lshrrev_b32_e32 v6, s60, v6
	s_delay_alu instid0(VALU_DEP_1) | instskip(NEXT) | instid1(VALU_DEP_1)
	v_and_b32_e32 v6, s1, v6
	v_and_b32_e32 v7, 1, v6
	v_lshlrev_b32_e32 v8, 30, v6
	v_lshlrev_b32_e32 v9, 29, v6
	;; [unrolled: 1-line block ×4, first 2 shown]
	v_add_co_u32 v7, s0, v7, -1
	s_delay_alu instid0(VALU_DEP_1)
	v_cndmask_b32_e64 v86, 0, 1, s0
	v_not_b32_e32 v90, v8
	v_cmp_gt_i32_e64 s0, 0, v8
	v_not_b32_e32 v8, v9
	v_lshlrev_b32_e32 v88, 26, v6
	v_cmp_ne_u32_e32 vcc_lo, 0, v86
	v_ashrrev_i32_e32 v90, 31, v90
	v_lshlrev_b32_e32 v89, 25, v6
	v_ashrrev_i32_e32 v8, 31, v8
	v_lshlrev_b32_e32 v86, 24, v6
	v_xor_b32_e32 v7, vcc_lo, v7
	v_cmp_gt_i32_e32 vcc_lo, 0, v9
	v_not_b32_e32 v9, v85
	v_xor_b32_e32 v90, s0, v90
	v_cmp_gt_i32_e64 s0, 0, v85
	v_and_b32_e32 v7, exec_lo, v7
	v_not_b32_e32 v85, v87
	v_ashrrev_i32_e32 v9, 31, v9
	v_xor_b32_e32 v8, vcc_lo, v8
	v_cmp_gt_i32_e32 vcc_lo, 0, v87
	v_and_b32_e32 v7, v7, v90
	v_not_b32_e32 v87, v88
	v_ashrrev_i32_e32 v85, 31, v85
	v_xor_b32_e32 v9, s0, v9
	v_cmp_gt_i32_e64 s0, 0, v88
	v_and_b32_e32 v7, v7, v8
	v_not_b32_e32 v8, v89
	v_ashrrev_i32_e32 v87, 31, v87
	v_xor_b32_e32 v85, vcc_lo, v85
	v_cmp_gt_i32_e32 vcc_lo, 0, v89
	v_and_b32_e32 v7, v7, v9
	v_not_b32_e32 v9, v86
	v_ashrrev_i32_e32 v8, 31, v8
	v_xor_b32_e32 v87, s0, v87
	v_mul_u32_u24_e32 v6, 9, v6
	v_and_b32_e32 v7, v7, v85
	v_cmp_gt_i32_e64 s0, 0, v86
	v_ashrrev_i32_e32 v9, 31, v9
	v_xor_b32_e32 v8, vcc_lo, v8
	v_add_lshl_u32 v88, v3, v6, 2
	v_and_b32_e32 v7, v7, v87
	s_delay_alu instid0(VALU_DEP_4) | instskip(SKIP_2) | instid1(VALU_DEP_1)
	v_xor_b32_e32 v6, s0, v9
	ds_load_b32 v86, v88 offset:32
	v_and_b32_e32 v7, v7, v8
	; wave barrier
	v_and_b32_e32 v6, v7, v6
	s_delay_alu instid0(VALU_DEP_1) | instskip(SKIP_1) | instid1(VALU_DEP_2)
	v_mbcnt_lo_u32_b32 v87, v6, 0
	v_cmp_ne_u32_e64 s0, 0, v6
	v_cmp_eq_u32_e32 vcc_lo, 0, v87
	s_delay_alu instid0(VALU_DEP_2) | instskip(NEXT) | instid1(SALU_CYCLE_1)
	s_and_b32 s3, s0, vcc_lo
	s_and_saveexec_b32 s0, s3
	s_cbranch_execz .LBB48_257
; %bb.256:
	s_waitcnt lgkmcnt(0)
	v_bcnt_u32_b32 v6, v6, v86
	ds_store_b32 v88, v6 offset:32
.LBB48_257:
	s_or_b32 exec_lo, exec_lo, s0
	v_xor_b32_e32 v85, 0xffffff80, v5
	; wave barrier
	s_delay_alu instid0(VALU_DEP_1) | instskip(NEXT) | instid1(VALU_DEP_1)
	v_and_b32_e32 v5, 0xff, v85
	v_lshrrev_b32_e32 v5, s60, v5
	s_delay_alu instid0(VALU_DEP_1) | instskip(NEXT) | instid1(VALU_DEP_1)
	v_and_b32_e32 v5, s1, v5
	v_and_b32_e32 v6, 1, v5
	v_lshlrev_b32_e32 v7, 30, v5
	v_lshlrev_b32_e32 v8, 29, v5
	;; [unrolled: 1-line block ×4, first 2 shown]
	v_add_co_u32 v6, s0, v6, -1
	s_delay_alu instid0(VALU_DEP_1)
	v_cndmask_b32_e64 v89, 0, 1, s0
	v_not_b32_e32 v93, v7
	v_cmp_gt_i32_e64 s0, 0, v7
	v_not_b32_e32 v7, v8
	v_lshlrev_b32_e32 v91, 26, v5
	v_cmp_ne_u32_e32 vcc_lo, 0, v89
	v_ashrrev_i32_e32 v93, 31, v93
	v_lshlrev_b32_e32 v92, 25, v5
	v_ashrrev_i32_e32 v7, 31, v7
	v_lshlrev_b32_e32 v89, 24, v5
	v_xor_b32_e32 v6, vcc_lo, v6
	v_cmp_gt_i32_e32 vcc_lo, 0, v8
	v_not_b32_e32 v8, v9
	v_xor_b32_e32 v93, s0, v93
	v_cmp_gt_i32_e64 s0, 0, v9
	v_and_b32_e32 v6, exec_lo, v6
	v_not_b32_e32 v9, v90
	v_ashrrev_i32_e32 v8, 31, v8
	v_xor_b32_e32 v7, vcc_lo, v7
	v_cmp_gt_i32_e32 vcc_lo, 0, v90
	v_and_b32_e32 v6, v6, v93
	v_not_b32_e32 v90, v91
	v_ashrrev_i32_e32 v9, 31, v9
	v_xor_b32_e32 v8, s0, v8
	v_cmp_gt_i32_e64 s0, 0, v91
	v_and_b32_e32 v6, v6, v7
	v_not_b32_e32 v7, v92
	v_ashrrev_i32_e32 v90, 31, v90
	v_xor_b32_e32 v9, vcc_lo, v9
	v_cmp_gt_i32_e32 vcc_lo, 0, v92
	v_and_b32_e32 v6, v6, v8
	v_not_b32_e32 v8, v89
	v_ashrrev_i32_e32 v7, 31, v7
	v_xor_b32_e32 v90, s0, v90
	v_mul_u32_u24_e32 v5, 9, v5
	v_and_b32_e32 v6, v6, v9
	v_cmp_gt_i32_e64 s0, 0, v89
	v_ashrrev_i32_e32 v8, 31, v8
	v_xor_b32_e32 v7, vcc_lo, v7
	v_add_lshl_u32 v92, v3, v5, 2
	v_and_b32_e32 v6, v6, v90
	s_delay_alu instid0(VALU_DEP_4) | instskip(SKIP_2) | instid1(VALU_DEP_1)
	v_xor_b32_e32 v5, s0, v8
	ds_load_b32 v90, v92 offset:32
	v_and_b32_e32 v6, v6, v7
	; wave barrier
	v_and_b32_e32 v5, v6, v5
	s_delay_alu instid0(VALU_DEP_1) | instskip(SKIP_1) | instid1(VALU_DEP_2)
	v_mbcnt_lo_u32_b32 v91, v5, 0
	v_cmp_ne_u32_e64 s0, 0, v5
	v_cmp_eq_u32_e32 vcc_lo, 0, v91
	s_delay_alu instid0(VALU_DEP_2) | instskip(NEXT) | instid1(SALU_CYCLE_1)
	s_and_b32 s3, s0, vcc_lo
	s_and_saveexec_b32 s0, s3
	s_cbranch_execz .LBB48_259
; %bb.258:
	s_waitcnt lgkmcnt(0)
	v_bcnt_u32_b32 v5, v5, v90
	ds_store_b32 v92, v5 offset:32
.LBB48_259:
	s_or_b32 exec_lo, exec_lo, s0
	v_xor_b32_e32 v89, 0xffffff80, v4
	; wave barrier
	s_delay_alu instid0(VALU_DEP_1) | instskip(NEXT) | instid1(VALU_DEP_1)
	v_and_b32_e32 v4, 0xff, v89
	v_lshrrev_b32_e32 v4, s60, v4
	s_delay_alu instid0(VALU_DEP_1) | instskip(NEXT) | instid1(VALU_DEP_1)
	v_and_b32_e32 v4, s1, v4
	v_and_b32_e32 v5, 1, v4
	v_lshlrev_b32_e32 v6, 30, v4
	v_lshlrev_b32_e32 v7, 29, v4
	;; [unrolled: 1-line block ×4, first 2 shown]
	v_add_co_u32 v5, s0, v5, -1
	s_delay_alu instid0(VALU_DEP_1)
	v_cndmask_b32_e64 v9, 0, 1, s0
	v_not_b32_e32 v96, v6
	v_cmp_gt_i32_e64 s0, 0, v6
	v_not_b32_e32 v6, v7
	v_lshlrev_b32_e32 v94, 26, v4
	v_cmp_ne_u32_e32 vcc_lo, 0, v9
	v_ashrrev_i32_e32 v96, 31, v96
	v_lshlrev_b32_e32 v95, 25, v4
	v_ashrrev_i32_e32 v6, 31, v6
	v_lshlrev_b32_e32 v9, 24, v4
	v_xor_b32_e32 v5, vcc_lo, v5
	v_cmp_gt_i32_e32 vcc_lo, 0, v7
	v_not_b32_e32 v7, v8
	v_xor_b32_e32 v96, s0, v96
	v_cmp_gt_i32_e64 s0, 0, v8
	v_and_b32_e32 v5, exec_lo, v5
	v_not_b32_e32 v8, v93
	v_ashrrev_i32_e32 v7, 31, v7
	v_xor_b32_e32 v6, vcc_lo, v6
	v_cmp_gt_i32_e32 vcc_lo, 0, v93
	v_and_b32_e32 v5, v5, v96
	v_not_b32_e32 v93, v94
	v_ashrrev_i32_e32 v8, 31, v8
	v_xor_b32_e32 v7, s0, v7
	v_cmp_gt_i32_e64 s0, 0, v94
	v_and_b32_e32 v5, v5, v6
	v_not_b32_e32 v6, v95
	v_ashrrev_i32_e32 v93, 31, v93
	v_xor_b32_e32 v8, vcc_lo, v8
	v_cmp_gt_i32_e32 vcc_lo, 0, v95
	v_and_b32_e32 v5, v5, v7
	v_not_b32_e32 v7, v9
	v_ashrrev_i32_e32 v6, 31, v6
	v_xor_b32_e32 v93, s0, v93
	v_mul_u32_u24_e32 v4, 9, v4
	v_and_b32_e32 v5, v5, v8
	v_cmp_gt_i32_e64 s0, 0, v9
	v_ashrrev_i32_e32 v7, 31, v7
	v_xor_b32_e32 v6, vcc_lo, v6
	v_add_lshl_u32 v96, v3, v4, 2
	v_and_b32_e32 v5, v5, v93
	s_delay_alu instid0(VALU_DEP_4) | instskip(SKIP_2) | instid1(VALU_DEP_1)
	v_xor_b32_e32 v4, s0, v7
	ds_load_b32 v94, v96 offset:32
	v_and_b32_e32 v5, v5, v6
	; wave barrier
	v_and_b32_e32 v4, v5, v4
	s_delay_alu instid0(VALU_DEP_1) | instskip(SKIP_1) | instid1(VALU_DEP_2)
	v_mbcnt_lo_u32_b32 v95, v4, 0
	v_cmp_ne_u32_e64 s0, 0, v4
	v_cmp_eq_u32_e32 vcc_lo, 0, v95
	s_delay_alu instid0(VALU_DEP_2) | instskip(NEXT) | instid1(SALU_CYCLE_1)
	s_and_b32 s3, s0, vcc_lo
	s_and_saveexec_b32 s0, s3
	s_cbranch_execz .LBB48_261
; %bb.260:
	s_waitcnt lgkmcnt(0)
	v_bcnt_u32_b32 v4, v4, v94
	ds_store_b32 v96, v4 offset:32
.LBB48_261:
	s_or_b32 exec_lo, exec_lo, s0
	v_xor_b32_e32 v93, 0xffffff80, v2
	; wave barrier
	v_add_nc_u32_e32 v100, 32, v14
	s_delay_alu instid0(VALU_DEP_2) | instskip(NEXT) | instid1(VALU_DEP_1)
	v_and_b32_e32 v2, 0xff, v93
	v_lshrrev_b32_e32 v2, s60, v2
	s_delay_alu instid0(VALU_DEP_1) | instskip(NEXT) | instid1(VALU_DEP_1)
	v_and_b32_e32 v2, s1, v2
	v_and_b32_e32 v4, 1, v2
	v_lshlrev_b32_e32 v5, 30, v2
	v_lshlrev_b32_e32 v6, 29, v2
	;; [unrolled: 1-line block ×4, first 2 shown]
	v_add_co_u32 v4, s0, v4, -1
	s_delay_alu instid0(VALU_DEP_1)
	v_cndmask_b32_e64 v8, 0, 1, s0
	v_not_b32_e32 v99, v5
	v_cmp_gt_i32_e64 s0, 0, v5
	v_not_b32_e32 v5, v6
	v_lshlrev_b32_e32 v97, 26, v2
	v_cmp_ne_u32_e32 vcc_lo, 0, v8
	v_ashrrev_i32_e32 v99, 31, v99
	v_lshlrev_b32_e32 v98, 25, v2
	v_ashrrev_i32_e32 v5, 31, v5
	v_lshlrev_b32_e32 v8, 24, v2
	v_xor_b32_e32 v4, vcc_lo, v4
	v_cmp_gt_i32_e32 vcc_lo, 0, v6
	v_not_b32_e32 v6, v7
	v_xor_b32_e32 v99, s0, v99
	v_cmp_gt_i32_e64 s0, 0, v7
	v_and_b32_e32 v4, exec_lo, v4
	v_not_b32_e32 v7, v9
	v_ashrrev_i32_e32 v6, 31, v6
	v_xor_b32_e32 v5, vcc_lo, v5
	v_cmp_gt_i32_e32 vcc_lo, 0, v9
	v_and_b32_e32 v4, v4, v99
	v_not_b32_e32 v9, v97
	v_ashrrev_i32_e32 v7, 31, v7
	v_xor_b32_e32 v6, s0, v6
	v_cmp_gt_i32_e64 s0, 0, v97
	v_and_b32_e32 v4, v4, v5
	v_not_b32_e32 v5, v98
	v_ashrrev_i32_e32 v9, 31, v9
	v_xor_b32_e32 v7, vcc_lo, v7
	v_cmp_gt_i32_e32 vcc_lo, 0, v98
	v_and_b32_e32 v4, v4, v6
	v_not_b32_e32 v6, v8
	v_ashrrev_i32_e32 v5, 31, v5
	v_xor_b32_e32 v9, s0, v9
	v_mul_u32_u24_e32 v2, 9, v2
	v_and_b32_e32 v4, v4, v7
	v_cmp_gt_i32_e64 s0, 0, v8
	v_ashrrev_i32_e32 v6, 31, v6
	v_xor_b32_e32 v5, vcc_lo, v5
	v_add_lshl_u32 v99, v3, v2, 2
	v_and_b32_e32 v4, v4, v9
	s_delay_alu instid0(VALU_DEP_4) | instskip(SKIP_2) | instid1(VALU_DEP_1)
	v_xor_b32_e32 v2, s0, v6
	ds_load_b32 v97, v99 offset:32
	v_and_b32_e32 v3, v4, v5
	; wave barrier
	v_and_b32_e32 v2, v3, v2
	s_delay_alu instid0(VALU_DEP_1) | instskip(SKIP_1) | instid1(VALU_DEP_2)
	v_mbcnt_lo_u32_b32 v98, v2, 0
	v_cmp_ne_u32_e64 s0, 0, v2
	v_cmp_eq_u32_e32 vcc_lo, 0, v98
	s_delay_alu instid0(VALU_DEP_2) | instskip(NEXT) | instid1(SALU_CYCLE_1)
	s_and_b32 s3, s0, vcc_lo
	s_and_saveexec_b32 s0, s3
	s_cbranch_execz .LBB48_263
; %bb.262:
	s_waitcnt lgkmcnt(0)
	v_bcnt_u32_b32 v2, v2, v97
	ds_store_b32 v99, v2 offset:32
.LBB48_263:
	s_or_b32 exec_lo, exec_lo, s0
	; wave barrier
	s_waitcnt lgkmcnt(0)
	s_barrier
	buffer_gl0_inv
	ds_load_2addr_b32 v[8:9], v14 offset0:8 offset1:9
	ds_load_2addr_b32 v[6:7], v100 offset0:2 offset1:3
	;; [unrolled: 1-line block ×4, first 2 shown]
	ds_load_b32 v101, v100 offset:32
	v_min_u32_e32 v12, 0xe0, v12
	s_mov_b32 s0, exec_lo
	s_delay_alu instid0(VALU_DEP_1) | instskip(SKIP_3) | instid1(VALU_DEP_1)
	v_or_b32_e32 v104, 31, v12
	s_waitcnt lgkmcnt(3)
	v_add3_u32 v102, v9, v8, v6
	s_waitcnt lgkmcnt(2)
	v_add3_u32 v102, v102, v7, v4
	s_waitcnt lgkmcnt(1)
	s_delay_alu instid0(VALU_DEP_1) | instskip(SKIP_1) | instid1(VALU_DEP_1)
	v_add3_u32 v102, v102, v5, v2
	s_waitcnt lgkmcnt(0)
	v_add3_u32 v101, v102, v3, v101
	v_and_b32_e32 v102, 15, v51
	s_delay_alu instid0(VALU_DEP_2) | instskip(NEXT) | instid1(VALU_DEP_2)
	v_mov_b32_dpp v103, v101 row_shr:1 row_mask:0xf bank_mask:0xf
	v_cmp_ne_u32_e32 vcc_lo, 0, v102
	s_delay_alu instid0(VALU_DEP_2) | instskip(SKIP_1) | instid1(VALU_DEP_2)
	v_cndmask_b32_e32 v103, 0, v103, vcc_lo
	v_cmp_lt_u32_e32 vcc_lo, 1, v102
	v_add_nc_u32_e32 v101, v103, v101
	s_delay_alu instid0(VALU_DEP_1) | instskip(NEXT) | instid1(VALU_DEP_1)
	v_mov_b32_dpp v103, v101 row_shr:2 row_mask:0xf bank_mask:0xf
	v_cndmask_b32_e32 v103, 0, v103, vcc_lo
	v_cmp_lt_u32_e32 vcc_lo, 3, v102
	s_delay_alu instid0(VALU_DEP_2) | instskip(NEXT) | instid1(VALU_DEP_1)
	v_add_nc_u32_e32 v101, v101, v103
	v_mov_b32_dpp v103, v101 row_shr:4 row_mask:0xf bank_mask:0xf
	s_delay_alu instid0(VALU_DEP_1) | instskip(SKIP_1) | instid1(VALU_DEP_2)
	v_cndmask_b32_e32 v103, 0, v103, vcc_lo
	v_cmp_lt_u32_e32 vcc_lo, 7, v102
	v_add_nc_u32_e32 v101, v101, v103
	s_delay_alu instid0(VALU_DEP_1) | instskip(NEXT) | instid1(VALU_DEP_1)
	v_mov_b32_dpp v103, v101 row_shr:8 row_mask:0xf bank_mask:0xf
	v_cndmask_b32_e32 v102, 0, v103, vcc_lo
	v_bfe_i32 v103, v51, 4, 1
	s_delay_alu instid0(VALU_DEP_2) | instskip(SKIP_4) | instid1(VALU_DEP_2)
	v_add_nc_u32_e32 v102, v101, v102
	ds_swizzle_b32 v101, v102 offset:swizzle(BROADCAST,32,15)
	s_waitcnt lgkmcnt(0)
	v_and_b32_e32 v103, v103, v101
	v_lshrrev_b32_e32 v101, 5, v1
	v_add_nc_u32_e32 v12, v102, v103
	v_cmpx_eq_u32_e64 v104, v1
	s_cbranch_execz .LBB48_265
; %bb.264:
	s_delay_alu instid0(VALU_DEP_3)
	v_lshlrev_b32_e32 v102, 2, v101
	ds_store_b32 v102, v12
.LBB48_265:
	s_or_b32 exec_lo, exec_lo, s0
	s_delay_alu instid0(SALU_CYCLE_1)
	s_mov_b32 s0, exec_lo
	s_waitcnt lgkmcnt(0)
	s_barrier
	buffer_gl0_inv
	v_cmpx_gt_u32_e32 8, v1
	s_cbranch_execz .LBB48_267
; %bb.266:
	v_lshlrev_b32_e32 v102, 2, v1
	ds_load_b32 v103, v102
	s_waitcnt lgkmcnt(0)
	v_mov_b32_dpp v105, v103 row_shr:1 row_mask:0xf bank_mask:0xf
	v_and_b32_e32 v104, 7, v51
	s_delay_alu instid0(VALU_DEP_1) | instskip(NEXT) | instid1(VALU_DEP_3)
	v_cmp_ne_u32_e32 vcc_lo, 0, v104
	v_cndmask_b32_e32 v105, 0, v105, vcc_lo
	v_cmp_lt_u32_e32 vcc_lo, 1, v104
	s_delay_alu instid0(VALU_DEP_2) | instskip(NEXT) | instid1(VALU_DEP_1)
	v_add_nc_u32_e32 v103, v105, v103
	v_mov_b32_dpp v105, v103 row_shr:2 row_mask:0xf bank_mask:0xf
	s_delay_alu instid0(VALU_DEP_1) | instskip(SKIP_1) | instid1(VALU_DEP_2)
	v_cndmask_b32_e32 v105, 0, v105, vcc_lo
	v_cmp_lt_u32_e32 vcc_lo, 3, v104
	v_add_nc_u32_e32 v103, v103, v105
	s_delay_alu instid0(VALU_DEP_1) | instskip(NEXT) | instid1(VALU_DEP_1)
	v_mov_b32_dpp v105, v103 row_shr:4 row_mask:0xf bank_mask:0xf
	v_cndmask_b32_e32 v104, 0, v105, vcc_lo
	s_delay_alu instid0(VALU_DEP_1)
	v_add_nc_u32_e32 v103, v103, v104
	ds_store_b32 v102, v103
.LBB48_267:
	s_or_b32 exec_lo, exec_lo, s0
	v_mov_b32_e32 v102, 0
	s_mov_b32 s0, exec_lo
	s_waitcnt lgkmcnt(0)
	s_barrier
	buffer_gl0_inv
	v_cmpx_lt_u32_e32 31, v1
	s_cbranch_execz .LBB48_269
; %bb.268:
	v_lshl_add_u32 v101, v101, 2, -4
	ds_load_b32 v102, v101
.LBB48_269:
	s_or_b32 exec_lo, exec_lo, s0
	v_add_nc_u32_e32 v101, -1, v51
	s_mov_b32 s0, 0
	s_mov_b32 s3, exec_lo
	s_waitcnt lgkmcnt(0)
	v_add_nc_u32_e32 v12, v102, v12
	v_cmp_gt_i32_e32 vcc_lo, 0, v101
	v_cndmask_b32_e32 v101, v101, v51, vcc_lo
	v_cmp_eq_u32_e32 vcc_lo, 0, v51
	s_delay_alu instid0(VALU_DEP_2) | instskip(SKIP_4) | instid1(VALU_DEP_2)
	v_lshlrev_b32_e32 v101, 2, v101
	ds_bpermute_b32 v12, v101, v12
	s_waitcnt lgkmcnt(0)
	v_cndmask_b32_e32 v12, v12, v102, vcc_lo
	v_cmp_ne_u32_e32 vcc_lo, 0, v1
	v_cndmask_b32_e32 v12, 0, v12, vcc_lo
	s_delay_alu instid0(VALU_DEP_1) | instskip(NEXT) | instid1(VALU_DEP_1)
	v_add_nc_u32_e32 v8, v12, v8
	v_add_nc_u32_e32 v9, v8, v9
	s_delay_alu instid0(VALU_DEP_1) | instskip(NEXT) | instid1(VALU_DEP_1)
	v_add_nc_u32_e32 v6, v9, v6
	v_add_nc_u32_e32 v7, v6, v7
	;; [unrolled: 3-line block ×4, first 2 shown]
	ds_store_2addr_b32 v14, v12, v8 offset0:8 offset1:9
	ds_store_2addr_b32 v100, v9, v6 offset0:2 offset1:3
	ds_store_2addr_b32 v100, v7, v4 offset0:4 offset1:5
	ds_store_2addr_b32 v100, v5, v2 offset0:6 offset1:7
	ds_store_b32 v100, v3 offset:32
	v_mov_b32_e32 v2, 0x1600
	s_waitcnt lgkmcnt(0)
	s_barrier
	buffer_gl0_inv
	ds_load_b32 v4, v19 offset:32
	ds_load_b32 v5, v23 offset:32
	;; [unrolled: 1-line block ×23, first 2 shown]
	v_add_nc_u32_e32 v14, 1, v1
	s_delay_alu instid0(VALU_DEP_1)
	v_cmpx_ne_u32_e32 0x100, v14
	s_cbranch_execz .LBB48_271
; %bb.270:
	v_mul_u32_u24_e32 v2, 9, v14
	s_delay_alu instid0(VALU_DEP_1)
	v_lshlrev_b32_e32 v2, 2, v2
	ds_load_b32 v2, v2 offset:32
.LBB48_271:
	s_or_b32 exec_lo, exec_lo, s3
	s_waitcnt lgkmcnt(1)
	v_add_nc_u32_e32 v58, v15, v13
	v_add3_u32 v47, v18, v17, v4
	v_add3_u32 v43, v22, v21, v5
	v_mov_b32_e32 v5, 0
	v_lshl_add_u32 v4, s15, 8, v1
	v_add3_u32 v39, v26, v25, v6
	v_add3_u32 v35, v30, v29, v7
	;; [unrolled: 1-line block ×3, first 2 shown]
	s_waitcnt lgkmcnt(0)
	v_sub_nc_u32_e32 v52, v2, v3
	v_lshlrev_b64 v[6:7], 2, v[4:5]
	v_add3_u32 v33, v34, v33, v8
	v_add3_u32 v31, v38, v37, v9
	;; [unrolled: 1-line block ×5, first 2 shown]
	v_add_co_u32 v6, vcc_lo, s66, v6
	v_add3_u32 v25, v61, v60, v62
	v_add3_u32 v23, v64, v63, v65
	;; [unrolled: 1-line block ×11, first 2 shown]
	s_barrier
	buffer_gl0_inv
	ds_store_b8 v58, v11 offset:2048
	ds_store_b8 v47, v0 offset:2048
	;; [unrolled: 1-line block ×15, first 2 shown]
	v_add_co_ci_u32_e32 v7, vcc_lo, s67, v7, vcc_lo
	v_or_b32_e32 v2, 2.0, v52
	v_mov_b32_e32 v0, 0
	ds_store_b8 v19, v69 offset:2048
	ds_store_b8 v18, v73 offset:2048
	;; [unrolled: 1-line block ×7, first 2 shown]
	s_waitcnt lgkmcnt(0)
	s_barrier
	buffer_gl0_inv
	global_store_b32 v[6:7], v2, off
                                        ; implicit-def: $sgpr3
	s_branch .LBB48_274
	.p2align	6
.LBB48_272:                             ;   in Loop: Header=BB48_274 Depth=1
	s_or_b32 exec_lo, exec_lo, s4
.LBB48_273:                             ;   in Loop: Header=BB48_274 Depth=1
	s_delay_alu instid0(SALU_CYCLE_1) | instskip(SKIP_2) | instid1(VALU_DEP_2)
	s_or_b32 exec_lo, exec_lo, s3
	v_and_b32_e32 v4, 0x3fffffff, v4
	v_cmp_eq_u32_e64 s3, 0x80000000, v2
	v_add_nc_u32_e32 v0, v4, v0
	s_delay_alu instid0(VALU_DEP_2) | instskip(NEXT) | instid1(SALU_CYCLE_1)
	s_and_b32 s4, exec_lo, s3
	s_or_b32 s0, s4, s0
	s_delay_alu instid0(SALU_CYCLE_1)
	s_and_not1_b32 exec_lo, exec_lo, s0
	s_cbranch_execz .LBB48_279
.LBB48_274:                             ; =>This Loop Header: Depth=1
                                        ;     Child Loop BB48_277 Depth 2
	s_or_b32 s3, s3, exec_lo
	s_cmp_eq_u32 s63, 0
	s_cbranch_scc1 .LBB48_278
; %bb.275:                              ;   in Loop: Header=BB48_274 Depth=1
	s_add_i32 s63, s63, -1
	s_mov_b32 s3, exec_lo
	v_lshl_add_u32 v4, s63, 8, v1
	s_delay_alu instid0(VALU_DEP_1) | instskip(NEXT) | instid1(VALU_DEP_1)
	v_lshlrev_b64 v[8:9], 2, v[4:5]
	v_add_co_u32 v8, vcc_lo, s66, v8
	s_delay_alu instid0(VALU_DEP_2) | instskip(SKIP_3) | instid1(VALU_DEP_1)
	v_add_co_ci_u32_e32 v9, vcc_lo, s67, v9, vcc_lo
	global_load_b32 v4, v[8:9], off glc
	s_waitcnt vmcnt(0)
	v_and_b32_e32 v2, -2.0, v4
	v_cmpx_eq_u32_e32 0, v2
	s_cbranch_execz .LBB48_273
; %bb.276:                              ;   in Loop: Header=BB48_274 Depth=1
	s_mov_b32 s4, 0
.LBB48_277:                             ;   Parent Loop BB48_274 Depth=1
                                        ; =>  This Inner Loop Header: Depth=2
	global_load_b32 v4, v[8:9], off glc
	s_waitcnt vmcnt(0)
	v_and_b32_e32 v2, -2.0, v4
	s_delay_alu instid0(VALU_DEP_1) | instskip(SKIP_1) | instid1(SALU_CYCLE_1)
	v_cmp_ne_u32_e32 vcc_lo, 0, v2
	s_or_b32 s4, vcc_lo, s4
	s_and_not1_b32 exec_lo, exec_lo, s4
	s_cbranch_execnz .LBB48_277
	s_branch .LBB48_272
.LBB48_278:                             ;   in Loop: Header=BB48_274 Depth=1
                                        ; implicit-def: $sgpr63
	s_and_b32 s4, exec_lo, s3
	s_delay_alu instid0(SALU_CYCLE_1) | instskip(NEXT) | instid1(SALU_CYCLE_1)
	s_or_b32 s0, s4, s0
	s_and_not1_b32 exec_lo, exec_lo, s0
	s_cbranch_execnz .LBB48_274
.LBB48_279:
	s_or_b32 exec_lo, exec_lo, s0
	v_add_nc_u32_e32 v2, v0, v52
	v_lshlrev_b32_e32 v53, 3, v1
	v_lshlrev_b32_e32 v9, 3, v51
	s_lshl_b64 s[4:5], s[64:65], 3
	v_lshlrev_b32_e32 v10, 3, v10
	v_or_b32_e32 v2, 0x80000000, v2
	v_add_nc_u32_e32 v5, 0x1100, v1
	v_or_b32_e32 v8, 0x1400, v1
	v_lshlrev_b32_e32 v58, 3, v58
	v_lshlrev_b32_e32 v47, 3, v47
	global_store_b32 v[6:7], v2, off
	global_load_b64 v[36:37], v53, s[56:57]
	v_sub_co_u32 v2, s0, v0, v3
	s_delay_alu instid0(VALU_DEP_1) | instskip(SKIP_3) | instid1(VALU_DEP_1)
	v_sub_co_ci_u32_e64 v4, null, 0, 0, s0
	s_add_u32 s0, s52, s4
	s_addc_u32 s3, s53, s5
	v_add_co_u32 v11, s0, s0, v9
	v_add_co_ci_u32_e64 v16, null, s3, 0, s0
	v_or_b32_e32 v0, 0x1000, v1
	s_delay_alu instid0(VALU_DEP_3) | instskip(NEXT) | instid1(VALU_DEP_3)
	v_add_co_u32 v54, vcc_lo, v11, v10
	v_add_co_ci_u32_e32 v55, vcc_lo, 0, v16, vcc_lo
	v_add_nc_u32_e32 v6, 0x1200, v1
	v_add_nc_u32_e32 v7, 0x1300, v1
	;; [unrolled: 1-line block ×3, first 2 shown]
	v_lshlrev_b32_e32 v43, 3, v43
	v_lshlrev_b32_e32 v39, 3, v39
	;; [unrolled: 1-line block ×20, first 2 shown]
	s_add_i32 s2, s2, -1
	s_delay_alu instid0(SALU_CYCLE_1)
	s_cmp_eq_u32 s15, s2
	s_cselect_b32 s2, -1, 0
	s_waitcnt vmcnt(0)
	v_add_co_u32 v10, vcc_lo, v2, v36
	v_add_co_ci_u32_e32 v11, vcc_lo, v4, v37, vcc_lo
	v_add_co_u32 v56, vcc_lo, 0x1000, v54
	v_add_co_ci_u32_e32 v57, vcc_lo, 0, v55, vcc_lo
	ds_store_b64 v53, v[10:11]
	s_waitcnt lgkmcnt(0)
	s_waitcnt_vscnt null, 0x0
	s_barrier
	buffer_gl0_inv
	ds_load_u8 v2, v1 offset:2304
	ds_load_u8 v4, v1 offset:2560
	;; [unrolled: 1-line block ×22, first 2 shown]
	s_waitcnt lgkmcnt(19)
	v_and_b32_e32 v59, 0xff, v10
	v_xor_b32_e32 v103, 0x80, v10
	s_waitcnt lgkmcnt(18)
	v_and_b32_e32 v10, 0xff, v11
	v_xor_b32_e32 v104, 0x80, v11
	;; [unrolled: 3-line block ×18, first 2 shown]
	s_waitcnt lgkmcnt(1)
	v_and_b32_e32 v48, 0xff, v49
	v_lshrrev_b32_e32 v10, s60, v10
	v_lshrrev_b32_e32 v11, s60, v11
	;; [unrolled: 1-line block ×6, first 2 shown]
	v_and_b32_e32 v50, 0xff, v2
	v_and_b32_e32 v51, 0xff, v4
	v_lshrrev_b32_e32 v24, s60, v24
	v_lshrrev_b32_e32 v28, s60, v28
	;; [unrolled: 1-line block ×12, first 2 shown]
	v_and_b32_e32 v10, s1, v10
	v_and_b32_e32 v65, s1, v46
	;; [unrolled: 1-line block ×6, first 2 shown]
	v_xor_b32_e32 v121, 0x80, v49
	v_lshrrev_b32_e32 v49, s60, v50
	v_lshrrev_b32_e32 v50, s60, v51
	;; [unrolled: 1-line block ×3, first 2 shown]
	v_and_b32_e32 v24, s1, v24
	v_and_b32_e32 v28, s1, v28
	;; [unrolled: 1-line block ×12, first 2 shown]
	v_lshlrev_b32_e32 v44, 3, v10
	v_lshlrev_b32_e32 v10, 3, v65
	;; [unrolled: 1-line block ×18, first 2 shown]
	ds_load_b64 v[59:60], v10
	ds_load_b64 v[61:62], v11
	s_waitcnt lgkmcnt(2)
	v_and_b32_e32 v71, 0xff, v67
	v_xor_b32_e32 v122, 0x80, v67
	ds_load_b64 v[63:64], v44
	ds_load_b64 v[65:66], v45
	ds_load_b64 v[67:68], v46
	ds_load_b64 v[69:70], v48
	v_and_b32_e32 v49, s1, v49
	v_and_b32_e32 v50, s1, v50
	v_lshrrev_b32_e32 v79, s60, v71
	ds_load_b64 v[71:72], v38
	ds_load_b64 v[73:74], v40
	;; [unrolled: 1-line block ×4, first 2 shown]
	v_and_b32_e32 v51, s1, v51
	v_lshlrev_b32_e32 v49, 3, v49
	v_lshlrev_b32_e32 v50, 3, v50
	v_and_b32_e32 v87, s1, v79
	ds_load_b64 v[79:80], v20
	ds_load_b64 v[81:82], v24
	;; [unrolled: 1-line block ×4, first 2 shown]
	v_lshlrev_b32_e32 v51, 3, v51
	v_xor_b32_e32 v2, 0x80, v2
	v_xor_b32_e32 v4, 0x80, v4
	v_lshlrev_b32_e32 v123, 3, v87
	ds_load_b64 v[87:88], v16
	ds_load_b64 v[89:90], v34
	;; [unrolled: 1-line block ×8, first 2 shown]
	s_waitcnt lgkmcnt(19)
	v_add_co_u32 v63, vcc_lo, s50, v63
	v_add_co_ci_u32_e32 v64, vcc_lo, s51, v64, vcc_lo
	s_waitcnt lgkmcnt(18)
	v_add_co_u32 v65, vcc_lo, s50, v65
	v_add_co_ci_u32_e32 v66, vcc_lo, s51, v66, vcc_lo
	s_waitcnt lgkmcnt(17)
	v_add_co_u32 v67, vcc_lo, s50, v67
	v_add_co_ci_u32_e32 v68, vcc_lo, s51, v68, vcc_lo
	s_waitcnt lgkmcnt(16)
	v_add_co_u32 v69, vcc_lo, s50, v69
	v_add_co_ci_u32_e32 v70, vcc_lo, s51, v70, vcc_lo
	s_waitcnt lgkmcnt(15)
	v_add_co_u32 v71, vcc_lo, s50, v71
	v_add_co_ci_u32_e32 v72, vcc_lo, s51, v72, vcc_lo
	s_waitcnt lgkmcnt(14)
	v_add_co_u32 v73, vcc_lo, s50, v73
	v_add_co_ci_u32_e32 v74, vcc_lo, s51, v74, vcc_lo
	s_waitcnt lgkmcnt(13)
	v_add_co_u32 v75, vcc_lo, s50, v75
	v_add_co_ci_u32_e32 v76, vcc_lo, s51, v76, vcc_lo
	s_waitcnt lgkmcnt(12)
	v_add_co_u32 v77, vcc_lo, s50, v77
	v_add_co_ci_u32_e32 v78, vcc_lo, s51, v78, vcc_lo
	s_waitcnt lgkmcnt(11)
	v_add_co_u32 v79, vcc_lo, s50, v79
	v_add_co_ci_u32_e32 v80, vcc_lo, s51, v80, vcc_lo
	s_waitcnt lgkmcnt(10)
	v_add_co_u32 v81, vcc_lo, s50, v81
	v_add_co_ci_u32_e32 v82, vcc_lo, s51, v82, vcc_lo
	s_waitcnt lgkmcnt(9)
	v_add_co_u32 v83, vcc_lo, s50, v83
	v_add_co_ci_u32_e32 v84, vcc_lo, s51, v84, vcc_lo
	s_waitcnt lgkmcnt(8)
	v_add_co_u32 v85, vcc_lo, s50, v85
	v_add_co_ci_u32_e32 v86, vcc_lo, s51, v86, vcc_lo
	s_waitcnt lgkmcnt(7)
	v_add_co_u32 v87, vcc_lo, s50, v87
	v_add_co_ci_u32_e32 v88, vcc_lo, s51, v88, vcc_lo
	s_waitcnt lgkmcnt(6)
	v_add_co_u32 v89, vcc_lo, s50, v89
	v_add_co_ci_u32_e32 v90, vcc_lo, s51, v90, vcc_lo
	s_waitcnt lgkmcnt(5)
	v_add_co_u32 v91, vcc_lo, s50, v91
	v_add_co_ci_u32_e32 v92, vcc_lo, s51, v92, vcc_lo
	s_waitcnt lgkmcnt(4)
	v_add_co_u32 v93, vcc_lo, s50, v93
	v_add_co_ci_u32_e32 v94, vcc_lo, s51, v94, vcc_lo
	v_add_co_u32 v124, vcc_lo, s50, v59
	v_add_co_ci_u32_e32 v125, vcc_lo, s51, v60, vcc_lo
	v_add_co_u32 v126, vcc_lo, s50, v61
	v_add_co_ci_u32_e32 v127, vcc_lo, s51, v62, vcc_lo
	;; [unrolled: 2-line block ×19, first 2 shown]
	s_waitcnt lgkmcnt(3)
	v_add_co_u32 v93, vcc_lo, s50, v95
	v_add_co_ci_u32_e32 v94, vcc_lo, s51, v96, vcc_lo
	s_waitcnt lgkmcnt(2)
	v_add_co_u32 v95, vcc_lo, s50, v97
	v_add_co_ci_u32_e32 v96, vcc_lo, s51, v98, vcc_lo
	;; [unrolled: 3-line block ×4, first 2 shown]
	v_add_co_u32 v93, vcc_lo, v93, v1
	v_add_co_ci_u32_e32 v94, vcc_lo, 0, v94, vcc_lo
	v_add_co_u32 v95, vcc_lo, v95, v1
	v_add_co_ci_u32_e32 v96, vcc_lo, 0, v96, vcc_lo
	;; [unrolled: 2-line block ×5, first 2 shown]
	s_clause 0x15
	global_store_b8 v[93:94], v122, off
	global_store_b8 v[95:96], v2, off offset:256
	global_store_b8 v[97:98], v4, off offset:512
	;; [unrolled: 1-line block ×15, first 2 shown]
	global_store_b8 v[83:84], v116, off
	global_store_b8 v[85:86], v117, off
	;; [unrolled: 1-line block ×6, first 2 shown]
	s_clause 0x15
	global_load_b64 v[59:60], v[54:55], off
	global_load_b64 v[61:62], v[54:55], off offset:256
	global_load_b64 v[63:64], v[54:55], off offset:512
	;; [unrolled: 1-line block ×15, first 2 shown]
	global_load_b64 v[89:90], v[56:57], off
	global_load_b64 v[91:92], v[56:57], off offset:256
	global_load_b64 v[93:94], v[56:57], off offset:512
	;; [unrolled: 1-line block ×5, first 2 shown]
	v_dual_mov_b32 v2, 0 :: v_dual_lshlrev_b32 v115, 3, v6
	v_lshlrev_b32_e32 v116, 3, v7
	v_lshlrev_b32_e32 v117, 3, v8
	v_lshlrev_b32_e32 v118, 3, v9
	s_delay_alu instid0(VALU_DEP_4)
	v_mov_b32_e32 v4, v2
	v_lshlrev_b32_e32 v114, 3, v5
	s_waitcnt vmcnt(0)
	s_waitcnt_vscnt null, 0x0
	s_barrier
	buffer_gl0_inv
	v_add_nc_u32_e32 v100, 0x1000, v53
	v_add_nc_u32_e32 v101, 0x1800, v53
	v_or_b32_e32 v102, 0x2000, v53
	v_add_nc_u32_e32 v103, 0x2800, v53
	v_add_nc_u32_e32 v104, 0x3000, v53
	v_add_nc_u32_e32 v105, 0x3800, v53
	v_or_b32_e32 v106, 0x4000, v53
	v_add_nc_u32_e32 v107, 0x4800, v53
	;; [unrolled: 4-line block ×3, first 2 shown]
	v_add_nc_u32_e32 v112, 0x7000, v53
	v_add_nc_u32_e32 v113, 0x7800, v53
	v_lshlrev_b32_e32 v0, 3, v0
	ds_store_b64 v58, v[59:60] offset:2048
	ds_store_b64 v47, v[61:62] offset:2048
	;; [unrolled: 1-line block ×22, first 2 shown]
	s_waitcnt lgkmcnt(0)
	s_barrier
	buffer_gl0_inv
	ds_load_2addr_stride64_b64 v[5:8], v53 offset0:4 offset1:8
	ds_load_2addr_stride64_b64 v[12:15], v53 offset0:12 offset1:16
	ds_load_b64 v[29:30], v123
	ds_load_b64 v[66:67], v49
	ds_load_b64 v[68:69], v50
	ds_load_b64 v[70:71], v51
	ds_load_2addr_stride64_b64 v[54:57], v53 offset0:20 offset1:24
	ds_load_2addr_stride64_b64 v[58:61], v53 offset0:28 offset1:32
	ds_load_b64 v[72:73], v44
	ds_load_b64 v[74:75], v45
	ds_load_b64 v[76:77], v46
	ds_load_b64 v[78:79], v48
	;; [unrolled: 6-line block ×5, first 2 shown]
	ds_load_2addr_stride64_b64 v[25:28], v53 offset0:84 offset1:88
	ds_load_b64 v[9:10], v10
	ds_load_b64 v[98:99], v11
	s_waitcnt lgkmcnt(30)
	v_lshlrev_b64 v[29:30], 3, v[29:30]
	s_waitcnt lgkmcnt(29)
	v_lshlrev_b64 v[66:67], 3, v[66:67]
	;; [unrolled: 2-line block ×6, first 2 shown]
	v_add_co_u32 v11, vcc_lo, s54, v29
	v_add_co_ci_u32_e32 v16, vcc_lo, s55, v30, vcc_lo
	v_add_co_u32 v29, vcc_lo, s54, v66
	v_add_co_ci_u32_e32 v30, vcc_lo, s55, v67, vcc_lo
	;; [unrolled: 2-line block ×4, first 2 shown]
	s_waitcnt lgkmcnt(22)
	v_lshlrev_b64 v[76:77], 3, v[76:77]
	v_add_co_u32 v67, vcc_lo, s54, v72
	v_add_co_ci_u32_e32 v68, vcc_lo, s55, v73, vcc_lo
	s_waitcnt lgkmcnt(21)
	v_lshlrev_b64 v[78:79], 3, v[78:79]
	v_add_co_u32 v69, vcc_lo, s54, v74
	v_add_co_ci_u32_e32 v70, vcc_lo, s55, v75, vcc_lo
	;; [unrolled: 4-line block ×16, first 2 shown]
	v_add_co_u32 v120, vcc_lo, s54, v9
	v_add_co_ci_u32_e32 v121, vcc_lo, s55, v10, vcc_lo
	v_add_co_u32 v98, vcc_lo, s54, v98
	v_add_co_ci_u32_e32 v99, vcc_lo, s55, v99, vcc_lo
	;; [unrolled: 2-line block ×24, first 2 shown]
	s_clause 0x15
	global_store_b64 v[9:10], v[5:6], off
	global_store_b64 v[29:30], v[7:8], off offset:2048
	global_store_b64 v[31:32], v[12:13], off
	global_store_b64 v[33:34], v[14:15], off
	;; [unrolled: 1-line block ×20, first 2 shown]
.LBB48_280:
	s_and_b32 vcc_lo, exec_lo, s2
	s_cbranch_vccnz .LBB48_282
; %bb.281:
	s_nop 0
	s_sendmsg sendmsg(MSG_DEALLOC_VGPRS)
	s_endpgm
.LBB48_282:
	ds_load_b64 v[5:6], v53
	v_lshlrev_b64 v[0:1], 3, v[1:2]
	v_add_co_u32 v2, vcc_lo, v3, v52
	v_add_co_ci_u32_e32 v3, vcc_lo, 0, v4, vcc_lo
	s_delay_alu instid0(VALU_DEP_3) | instskip(NEXT) | instid1(VALU_DEP_4)
	v_add_co_u32 v0, vcc_lo, s58, v0
	v_add_co_ci_u32_e32 v1, vcc_lo, s59, v1, vcc_lo
	s_waitcnt lgkmcnt(0)
	v_add_co_u32 v2, vcc_lo, v2, v5
	v_add_co_ci_u32_e32 v3, vcc_lo, v3, v6, vcc_lo
	global_store_b64 v[0:1], v[2:3], off
	s_nop 0
	s_sendmsg sendmsg(MSG_DEALLOC_VGPRS)
	s_endpgm
.LBB48_283:
	global_load_b64 v[5:6], v[49:50], off
	s_or_b32 exec_lo, exec_lo, s47
                                        ; implicit-def: $vgpr7_vgpr8
	s_and_saveexec_b32 s47, s2
	s_cbranch_execz .LBB48_151
.LBB48_284:
	global_load_b64 v[7:8], v[49:50], off offset:256
	s_or_b32 exec_lo, exec_lo, s47
                                        ; implicit-def: $vgpr9_vgpr10
	s_and_saveexec_b32 s2, s3
	s_cbranch_execz .LBB48_152
.LBB48_285:
	global_load_b64 v[9:10], v[49:50], off offset:512
	s_or_b32 exec_lo, exec_lo, s2
                                        ; implicit-def: $vgpr11_vgpr12
	s_and_saveexec_b32 s2, s4
	s_cbranch_execz .LBB48_153
.LBB48_286:
	global_load_b64 v[11:12], v[49:50], off offset:768
	s_or_b32 exec_lo, exec_lo, s2
                                        ; implicit-def: $vgpr13_vgpr14
	s_and_saveexec_b32 s2, s5
	s_cbranch_execz .LBB48_154
.LBB48_287:
	global_load_b64 v[13:14], v[49:50], off offset:1024
	s_or_b32 exec_lo, exec_lo, s2
                                        ; implicit-def: $vgpr15_vgpr16
	s_and_saveexec_b32 s2, s6
	s_cbranch_execz .LBB48_155
.LBB48_288:
	global_load_b64 v[15:16], v[49:50], off offset:1280
	s_or_b32 exec_lo, exec_lo, s2
                                        ; implicit-def: $vgpr17_vgpr18
	s_and_saveexec_b32 s2, s7
	s_cbranch_execz .LBB48_156
.LBB48_289:
	global_load_b64 v[17:18], v[49:50], off offset:1536
	s_or_b32 exec_lo, exec_lo, s2
                                        ; implicit-def: $vgpr19_vgpr20
	s_and_saveexec_b32 s2, s8
	s_cbranch_execz .LBB48_157
.LBB48_290:
	global_load_b64 v[19:20], v[49:50], off offset:1792
	s_or_b32 exec_lo, exec_lo, s2
                                        ; implicit-def: $vgpr21_vgpr22
	s_and_saveexec_b32 s2, s9
	s_cbranch_execz .LBB48_158
.LBB48_291:
	global_load_b64 v[21:22], v[49:50], off offset:2048
	s_or_b32 exec_lo, exec_lo, s2
                                        ; implicit-def: $vgpr23_vgpr24
	s_and_saveexec_b32 s2, s10
	s_cbranch_execz .LBB48_159
.LBB48_292:
	global_load_b64 v[23:24], v[49:50], off offset:2304
	s_or_b32 exec_lo, exec_lo, s2
                                        ; implicit-def: $vgpr25_vgpr26
	s_and_saveexec_b32 s2, s11
	s_cbranch_execz .LBB48_160
.LBB48_293:
	global_load_b64 v[25:26], v[49:50], off offset:2560
	s_or_b32 exec_lo, exec_lo, s2
                                        ; implicit-def: $vgpr27_vgpr28
	s_and_saveexec_b32 s2, s12
	s_cbranch_execz .LBB48_161
.LBB48_294:
	global_load_b64 v[27:28], v[49:50], off offset:2816
	s_or_b32 exec_lo, exec_lo, s2
                                        ; implicit-def: $vgpr29_vgpr30
	s_and_saveexec_b32 s2, s13
	s_cbranch_execz .LBB48_162
.LBB48_295:
	global_load_b64 v[29:30], v[49:50], off offset:3072
	s_or_b32 exec_lo, exec_lo, s2
                                        ; implicit-def: $vgpr31_vgpr32
	s_and_saveexec_b32 s2, s14
	s_cbranch_execz .LBB48_163
.LBB48_296:
	global_load_b64 v[31:32], v[49:50], off offset:3328
	s_or_b32 exec_lo, exec_lo, s2
                                        ; implicit-def: $vgpr33_vgpr34
	s_and_saveexec_b32 s2, s16
	s_cbranch_execz .LBB48_164
.LBB48_297:
	global_load_b64 v[33:34], v[49:50], off offset:3584
	s_or_b32 exec_lo, exec_lo, s2
                                        ; implicit-def: $vgpr35_vgpr36
	s_and_saveexec_b32 s2, s18
	s_cbranch_execz .LBB48_165
.LBB48_298:
	global_load_b64 v[35:36], v[49:50], off offset:3840
	s_or_b32 exec_lo, exec_lo, s2
                                        ; implicit-def: $vgpr37_vgpr38
	s_and_saveexec_b32 s2, s23
	s_cbranch_execz .LBB48_166
.LBB48_299:
	v_add_co_u32 v37, vcc_lo, 0x1000, v49
	v_add_co_ci_u32_e32 v38, vcc_lo, 0, v50, vcc_lo
	global_load_b64 v[37:38], v[37:38], off
	s_or_b32 exec_lo, exec_lo, s2
                                        ; implicit-def: $vgpr39_vgpr40
	s_and_saveexec_b32 s2, s21
	s_cbranch_execz .LBB48_167
.LBB48_300:
	v_add_co_u32 v39, vcc_lo, 0x1000, v49
	v_add_co_ci_u32_e32 v40, vcc_lo, 0, v50, vcc_lo
	global_load_b64 v[39:40], v[39:40], off offset:256
	s_or_b32 exec_lo, exec_lo, s2
                                        ; implicit-def: $vgpr41_vgpr42
	s_and_saveexec_b32 s2, s22
	s_cbranch_execz .LBB48_168
.LBB48_301:
	v_add_co_u32 v41, vcc_lo, 0x1000, v49
	v_add_co_ci_u32_e32 v42, vcc_lo, 0, v50, vcc_lo
	global_load_b64 v[41:42], v[41:42], off offset:512
	s_or_b32 exec_lo, exec_lo, s2
                                        ; implicit-def: $vgpr43_vgpr44
	s_and_saveexec_b32 s2, s19
	s_cbranch_execz .LBB48_169
.LBB48_302:
	v_add_co_u32 v43, vcc_lo, 0x1000, v49
	v_add_co_ci_u32_e32 v44, vcc_lo, 0, v50, vcc_lo
	global_load_b64 v[43:44], v[43:44], off offset:768
	s_or_b32 exec_lo, exec_lo, s2
                                        ; implicit-def: $vgpr45_vgpr46
	s_and_saveexec_b32 s2, s20
	s_cbranch_execz .LBB48_170
.LBB48_303:
	v_add_co_u32 v45, vcc_lo, 0x1000, v49
	v_add_co_ci_u32_e32 v46, vcc_lo, 0, v50, vcc_lo
	global_load_b64 v[45:46], v[45:46], off offset:1024
	s_or_b32 exec_lo, exec_lo, s2
                                        ; implicit-def: $vgpr47_vgpr48
	s_and_saveexec_b32 s2, s17
	s_cbranch_execz .LBB48_171
.LBB48_304:
	v_add_co_u32 v47, vcc_lo, 0x1000, v49
	v_add_co_ci_u32_e32 v48, vcc_lo, 0, v50, vcc_lo
	global_load_b64 v[47:48], v[47:48], off offset:1280
	s_or_b32 exec_lo, exec_lo, s2
                                        ; implicit-def: $vgpr115
	s_and_saveexec_b32 s2, s24
	s_cbranch_execz .LBB48_172
.LBB48_305:
	ds_load_u8 v49, v1 offset:2048
	s_waitcnt lgkmcnt(0)
	v_lshrrev_b32_e32 v49, s60, v49
	s_delay_alu instid0(VALU_DEP_1)
	v_and_b32_e32 v115, s68, v49
	s_or_b32 exec_lo, exec_lo, s2
                                        ; implicit-def: $vgpr114
	s_and_saveexec_b32 s2, s25
	s_cbranch_execz .LBB48_173
.LBB48_306:
	ds_load_u8 v49, v1 offset:2304
	s_waitcnt lgkmcnt(0)
	v_lshrrev_b32_e32 v49, s60, v49
	s_delay_alu instid0(VALU_DEP_1)
	v_and_b32_e32 v114, s68, v49
	s_or_b32 exec_lo, exec_lo, s2
                                        ; implicit-def: $vgpr113
	s_and_saveexec_b32 s2, s26
	s_cbranch_execz .LBB48_174
.LBB48_307:
	ds_load_u8 v49, v1 offset:2560
	s_waitcnt lgkmcnt(0)
	v_lshrrev_b32_e32 v49, s60, v49
	s_delay_alu instid0(VALU_DEP_1)
	v_and_b32_e32 v113, s68, v49
	s_or_b32 exec_lo, exec_lo, s2
                                        ; implicit-def: $vgpr112
	s_and_saveexec_b32 s2, s27
	s_cbranch_execz .LBB48_175
.LBB48_308:
	ds_load_u8 v49, v1 offset:2816
	s_waitcnt lgkmcnt(0)
	v_lshrrev_b32_e32 v49, s60, v49
	s_delay_alu instid0(VALU_DEP_1)
	v_and_b32_e32 v112, s68, v49
	s_or_b32 exec_lo, exec_lo, s2
                                        ; implicit-def: $vgpr111
	s_and_saveexec_b32 s2, s28
	s_cbranch_execz .LBB48_176
.LBB48_309:
	ds_load_u8 v49, v1 offset:3072
	s_waitcnt lgkmcnt(0)
	v_lshrrev_b32_e32 v49, s60, v49
	s_delay_alu instid0(VALU_DEP_1)
	v_and_b32_e32 v111, s68, v49
	s_or_b32 exec_lo, exec_lo, s2
                                        ; implicit-def: $vgpr110
	s_and_saveexec_b32 s2, s29
	s_cbranch_execz .LBB48_177
.LBB48_310:
	ds_load_u8 v49, v1 offset:3328
	s_waitcnt lgkmcnt(0)
	v_lshrrev_b32_e32 v49, s60, v49
	s_delay_alu instid0(VALU_DEP_1)
	v_and_b32_e32 v110, s68, v49
	s_or_b32 exec_lo, exec_lo, s2
                                        ; implicit-def: $vgpr109
	s_and_saveexec_b32 s2, s30
	s_cbranch_execz .LBB48_178
.LBB48_311:
	ds_load_u8 v49, v1 offset:3584
	s_waitcnt lgkmcnt(0)
	v_lshrrev_b32_e32 v49, s60, v49
	s_delay_alu instid0(VALU_DEP_1)
	v_and_b32_e32 v109, s68, v49
	s_or_b32 exec_lo, exec_lo, s2
                                        ; implicit-def: $vgpr108
	s_and_saveexec_b32 s2, s31
	s_cbranch_execz .LBB48_179
.LBB48_312:
	ds_load_u8 v49, v1 offset:3840
	s_waitcnt lgkmcnt(0)
	v_lshrrev_b32_e32 v49, s60, v49
	s_delay_alu instid0(VALU_DEP_1)
	v_and_b32_e32 v108, s68, v49
	s_or_b32 exec_lo, exec_lo, s2
                                        ; implicit-def: $vgpr107
	s_and_saveexec_b32 s2, s33
	s_cbranch_execz .LBB48_180
.LBB48_313:
	ds_load_u8 v49, v1 offset:4096
	s_waitcnt lgkmcnt(0)
	v_lshrrev_b32_e32 v49, s60, v49
	s_delay_alu instid0(VALU_DEP_1)
	v_and_b32_e32 v107, s68, v49
	s_or_b32 exec_lo, exec_lo, s2
                                        ; implicit-def: $vgpr106
	s_and_saveexec_b32 s2, s34
	s_cbranch_execz .LBB48_181
.LBB48_314:
	ds_load_u8 v49, v1 offset:4352
	s_waitcnt lgkmcnt(0)
	v_lshrrev_b32_e32 v49, s60, v49
	s_delay_alu instid0(VALU_DEP_1)
	v_and_b32_e32 v106, s68, v49
	s_or_b32 exec_lo, exec_lo, s2
                                        ; implicit-def: $vgpr105
	s_and_saveexec_b32 s2, s35
	s_cbranch_execz .LBB48_182
.LBB48_315:
	ds_load_u8 v49, v1 offset:4608
	s_waitcnt lgkmcnt(0)
	v_lshrrev_b32_e32 v49, s60, v49
	s_delay_alu instid0(VALU_DEP_1)
	v_and_b32_e32 v105, s68, v49
	s_or_b32 exec_lo, exec_lo, s2
                                        ; implicit-def: $vgpr104
	s_and_saveexec_b32 s2, s36
	s_cbranch_execz .LBB48_183
.LBB48_316:
	ds_load_u8 v49, v1 offset:4864
	s_waitcnt lgkmcnt(0)
	v_lshrrev_b32_e32 v49, s60, v49
	s_delay_alu instid0(VALU_DEP_1)
	v_and_b32_e32 v104, s68, v49
	s_or_b32 exec_lo, exec_lo, s2
                                        ; implicit-def: $vgpr103
	s_and_saveexec_b32 s2, s37
	s_cbranch_execz .LBB48_184
.LBB48_317:
	ds_load_u8 v49, v1 offset:5120
	s_waitcnt lgkmcnt(0)
	v_lshrrev_b32_e32 v49, s60, v49
	s_delay_alu instid0(VALU_DEP_1)
	v_and_b32_e32 v103, s68, v49
	s_or_b32 exec_lo, exec_lo, s2
                                        ; implicit-def: $vgpr102
	s_and_saveexec_b32 s2, s38
	s_cbranch_execz .LBB48_185
.LBB48_318:
	ds_load_u8 v49, v1 offset:5376
	s_waitcnt lgkmcnt(0)
	v_lshrrev_b32_e32 v49, s60, v49
	s_delay_alu instid0(VALU_DEP_1)
	v_and_b32_e32 v102, s68, v49
	s_or_b32 exec_lo, exec_lo, s2
                                        ; implicit-def: $vgpr101
	s_and_saveexec_b32 s2, s39
	s_cbranch_execz .LBB48_186
.LBB48_319:
	ds_load_u8 v49, v1 offset:5632
	s_waitcnt lgkmcnt(0)
	v_lshrrev_b32_e32 v49, s60, v49
	s_delay_alu instid0(VALU_DEP_1)
	v_and_b32_e32 v101, s68, v49
	s_or_b32 exec_lo, exec_lo, s2
                                        ; implicit-def: $vgpr100
	s_and_saveexec_b32 s2, s40
	s_cbranch_execz .LBB48_187
.LBB48_320:
	ds_load_u8 v49, v1 offset:5888
	s_waitcnt lgkmcnt(0)
	v_lshrrev_b32_e32 v49, s60, v49
	s_delay_alu instid0(VALU_DEP_1)
	v_and_b32_e32 v100, s68, v49
	s_or_b32 exec_lo, exec_lo, s2
                                        ; implicit-def: $vgpr99
	s_and_saveexec_b32 s2, s41
	s_cbranch_execz .LBB48_188
.LBB48_321:
	ds_load_u8 v49, v1 offset:6144
	s_waitcnt lgkmcnt(0)
	v_lshrrev_b32_e32 v49, s60, v49
	s_delay_alu instid0(VALU_DEP_1)
	v_and_b32_e32 v99, s68, v49
	s_or_b32 exec_lo, exec_lo, s2
                                        ; implicit-def: $vgpr98
	s_and_saveexec_b32 s2, s42
	s_cbranch_execz .LBB48_189
.LBB48_322:
	ds_load_u8 v49, v1 offset:6400
	s_waitcnt lgkmcnt(0)
	v_lshrrev_b32_e32 v49, s60, v49
	s_delay_alu instid0(VALU_DEP_1)
	v_and_b32_e32 v98, s68, v49
	s_or_b32 exec_lo, exec_lo, s2
                                        ; implicit-def: $vgpr97
	s_and_saveexec_b32 s2, s43
	s_cbranch_execz .LBB48_190
.LBB48_323:
	ds_load_u8 v49, v1 offset:6656
	s_waitcnt lgkmcnt(0)
	v_lshrrev_b32_e32 v49, s60, v49
	s_delay_alu instid0(VALU_DEP_1)
	v_and_b32_e32 v97, s68, v49
	s_or_b32 exec_lo, exec_lo, s2
                                        ; implicit-def: $vgpr96
	s_and_saveexec_b32 s2, s44
	s_cbranch_execz .LBB48_191
.LBB48_324:
	ds_load_u8 v49, v1 offset:6912
	s_waitcnt lgkmcnt(0)
	v_lshrrev_b32_e32 v49, s60, v49
	s_delay_alu instid0(VALU_DEP_1)
	v_and_b32_e32 v96, s68, v49
	s_or_b32 exec_lo, exec_lo, s2
                                        ; implicit-def: $vgpr50
	s_and_saveexec_b32 s2, s45
	s_cbranch_execz .LBB48_192
.LBB48_325:
	ds_load_u8 v49, v1 offset:7168
	s_waitcnt lgkmcnt(0)
	v_lshrrev_b32_e32 v49, s60, v49
	s_delay_alu instid0(VALU_DEP_1)
	v_and_b32_e32 v50, s68, v49
	s_or_b32 exec_lo, exec_lo, s2
                                        ; implicit-def: $vgpr49
	s_and_saveexec_b32 s2, s46
	s_cbranch_execnz .LBB48_193
	s_branch .LBB48_194
.LBB48_326:
	v_lshlrev_b32_e32 v5, 3, v115
	ds_load_b64 v[5:6], v5
	ds_load_b64 v[7:8], v53 offset:2048
	s_waitcnt lgkmcnt(1)
	v_lshlrev_b64 v[5:6], 3, v[5:6]
	s_delay_alu instid0(VALU_DEP_1) | instskip(NEXT) | instid1(VALU_DEP_2)
	v_add_co_u32 v5, vcc_lo, s54, v5
	v_add_co_ci_u32_e32 v6, vcc_lo, s55, v6, vcc_lo
	s_delay_alu instid0(VALU_DEP_2) | instskip(NEXT) | instid1(VALU_DEP_2)
	v_add_co_u32 v5, vcc_lo, v5, v53
	v_add_co_ci_u32_e32 v6, vcc_lo, 0, v6, vcc_lo
	s_waitcnt lgkmcnt(0)
	global_store_b64 v[5:6], v[7:8], off
	s_or_b32 exec_lo, exec_lo, s2
	s_and_saveexec_b32 s2, s25
	s_cbranch_execz .LBB48_196
.LBB48_327:
	v_lshlrev_b32_e32 v5, 3, v114
	v_lshlrev_b32_e32 v9, 3, v1
	ds_load_b64 v[5:6], v5
	ds_load_b64 v[7:8], v9 offset:4096
	s_waitcnt lgkmcnt(1)
	v_lshlrev_b64 v[5:6], 3, v[5:6]
	s_delay_alu instid0(VALU_DEP_1) | instskip(NEXT) | instid1(VALU_DEP_2)
	v_add_co_u32 v5, vcc_lo, s54, v5
	v_add_co_ci_u32_e32 v6, vcc_lo, s55, v6, vcc_lo
	s_delay_alu instid0(VALU_DEP_2) | instskip(NEXT) | instid1(VALU_DEP_2)
	v_add_co_u32 v5, vcc_lo, v5, v9
	v_add_co_ci_u32_e32 v6, vcc_lo, 0, v6, vcc_lo
	s_waitcnt lgkmcnt(0)
	global_store_b64 v[5:6], v[7:8], off offset:2048
	s_or_b32 exec_lo, exec_lo, s2
	s_and_saveexec_b32 s2, s26
	s_cbranch_execz .LBB48_197
.LBB48_328:
	v_lshlrev_b32_e32 v5, 3, v113
	v_lshlrev_b32_e32 v7, 3, v1
	;; [unrolled: 1-line block ×3, first 2 shown]
	ds_load_b64 v[5:6], v5
	ds_load_b64 v[7:8], v7 offset:6144
	s_waitcnt lgkmcnt(1)
	v_lshlrev_b64 v[5:6], 3, v[5:6]
	s_delay_alu instid0(VALU_DEP_1) | instskip(NEXT) | instid1(VALU_DEP_2)
	v_add_co_u32 v5, vcc_lo, s54, v5
	v_add_co_ci_u32_e32 v6, vcc_lo, s55, v6, vcc_lo
	s_delay_alu instid0(VALU_DEP_2) | instskip(NEXT) | instid1(VALU_DEP_2)
	v_add_co_u32 v5, vcc_lo, v5, v9
	v_add_co_ci_u32_e32 v6, vcc_lo, 0, v6, vcc_lo
	s_waitcnt lgkmcnt(0)
	global_store_b64 v[5:6], v[7:8], off
	s_or_b32 exec_lo, exec_lo, s2
	s_and_saveexec_b32 s2, s27
	s_cbranch_execz .LBB48_198
.LBB48_329:
	v_lshlrev_b32_e32 v5, 3, v112
	v_lshlrev_b32_e32 v7, 3, v1
	v_lshlrev_b32_e32 v9, 3, v58
	ds_load_b64 v[5:6], v5
	ds_load_b64 v[7:8], v7 offset:8192
	s_waitcnt lgkmcnt(1)
	v_lshlrev_b64 v[5:6], 3, v[5:6]
	s_delay_alu instid0(VALU_DEP_1) | instskip(NEXT) | instid1(VALU_DEP_2)
	v_add_co_u32 v5, vcc_lo, s54, v5
	v_add_co_ci_u32_e32 v6, vcc_lo, s55, v6, vcc_lo
	s_delay_alu instid0(VALU_DEP_2) | instskip(NEXT) | instid1(VALU_DEP_2)
	v_add_co_u32 v5, vcc_lo, v5, v9
	v_add_co_ci_u32_e32 v6, vcc_lo, 0, v6, vcc_lo
	s_waitcnt lgkmcnt(0)
	global_store_b64 v[5:6], v[7:8], off
	s_or_b32 exec_lo, exec_lo, s2
	s_and_saveexec_b32 s2, s28
	s_cbranch_execz .LBB48_199
.LBB48_330:
	v_lshlrev_b32_e32 v5, 3, v111
	v_lshlrev_b32_e32 v7, 3, v1
	;; [unrolled: 1-line block ×3, first 2 shown]
	ds_load_b64 v[5:6], v5
	ds_load_b64 v[7:8], v7 offset:10240
	s_waitcnt lgkmcnt(1)
	v_lshlrev_b64 v[5:6], 3, v[5:6]
	s_delay_alu instid0(VALU_DEP_1) | instskip(NEXT) | instid1(VALU_DEP_2)
	v_add_co_u32 v5, vcc_lo, s54, v5
	v_add_co_ci_u32_e32 v6, vcc_lo, s55, v6, vcc_lo
	s_delay_alu instid0(VALU_DEP_2) | instskip(NEXT) | instid1(VALU_DEP_2)
	v_add_co_u32 v5, vcc_lo, v5, v9
	v_add_co_ci_u32_e32 v6, vcc_lo, 0, v6, vcc_lo
	s_waitcnt lgkmcnt(0)
	global_store_b64 v[5:6], v[7:8], off
	s_or_b32 exec_lo, exec_lo, s2
	s_and_saveexec_b32 s2, s29
	s_cbranch_execz .LBB48_200
.LBB48_331:
	v_lshlrev_b32_e32 v5, 3, v110
	v_lshlrev_b32_e32 v7, 3, v1
	;; [unrolled: 1-line block ×3, first 2 shown]
	ds_load_b64 v[5:6], v5
	ds_load_b64 v[7:8], v7 offset:12288
	s_waitcnt lgkmcnt(1)
	v_lshlrev_b64 v[5:6], 3, v[5:6]
	s_delay_alu instid0(VALU_DEP_1) | instskip(NEXT) | instid1(VALU_DEP_2)
	v_add_co_u32 v5, vcc_lo, s54, v5
	v_add_co_ci_u32_e32 v6, vcc_lo, s55, v6, vcc_lo
	s_delay_alu instid0(VALU_DEP_2) | instskip(NEXT) | instid1(VALU_DEP_2)
	v_add_co_u32 v5, vcc_lo, v5, v9
	v_add_co_ci_u32_e32 v6, vcc_lo, 0, v6, vcc_lo
	s_waitcnt lgkmcnt(0)
	global_store_b64 v[5:6], v[7:8], off
	s_or_b32 exec_lo, exec_lo, s2
	s_and_saveexec_b32 s2, s30
	s_cbranch_execz .LBB48_201
.LBB48_332:
	v_lshlrev_b32_e32 v5, 3, v109
	v_lshlrev_b32_e32 v7, 3, v1
	;; [unrolled: 1-line block ×3, first 2 shown]
	ds_load_b64 v[5:6], v5
	ds_load_b64 v[7:8], v7 offset:14336
	s_waitcnt lgkmcnt(1)
	v_lshlrev_b64 v[5:6], 3, v[5:6]
	s_delay_alu instid0(VALU_DEP_1) | instskip(NEXT) | instid1(VALU_DEP_2)
	v_add_co_u32 v5, vcc_lo, s54, v5
	v_add_co_ci_u32_e32 v6, vcc_lo, s55, v6, vcc_lo
	s_delay_alu instid0(VALU_DEP_2) | instskip(NEXT) | instid1(VALU_DEP_2)
	v_add_co_u32 v5, vcc_lo, v5, v9
	v_add_co_ci_u32_e32 v6, vcc_lo, 0, v6, vcc_lo
	s_waitcnt lgkmcnt(0)
	global_store_b64 v[5:6], v[7:8], off
	s_or_b32 exec_lo, exec_lo, s2
	s_and_saveexec_b32 s2, s31
	s_cbranch_execz .LBB48_202
.LBB48_333:
	v_lshlrev_b32_e32 v5, 3, v108
	v_lshlrev_b32_e32 v7, 3, v1
	;; [unrolled: 1-line block ×3, first 2 shown]
	ds_load_b64 v[5:6], v5
	ds_load_b64 v[7:8], v7 offset:16384
	s_waitcnt lgkmcnt(1)
	v_lshlrev_b64 v[5:6], 3, v[5:6]
	s_delay_alu instid0(VALU_DEP_1) | instskip(NEXT) | instid1(VALU_DEP_2)
	v_add_co_u32 v5, vcc_lo, s54, v5
	v_add_co_ci_u32_e32 v6, vcc_lo, s55, v6, vcc_lo
	s_delay_alu instid0(VALU_DEP_2) | instskip(NEXT) | instid1(VALU_DEP_2)
	v_add_co_u32 v5, vcc_lo, v5, v9
	v_add_co_ci_u32_e32 v6, vcc_lo, 0, v6, vcc_lo
	s_waitcnt lgkmcnt(0)
	global_store_b64 v[5:6], v[7:8], off
	s_or_b32 exec_lo, exec_lo, s2
	s_and_saveexec_b32 s2, s33
	s_cbranch_execz .LBB48_203
.LBB48_334:
	v_lshlrev_b32_e32 v5, 3, v107
	v_lshlrev_b32_e32 v7, 3, v1
	;; [unrolled: 1-line block ×3, first 2 shown]
	ds_load_b64 v[5:6], v5
	ds_load_b64 v[7:8], v7 offset:18432
	s_waitcnt lgkmcnt(1)
	v_lshlrev_b64 v[5:6], 3, v[5:6]
	s_delay_alu instid0(VALU_DEP_1) | instskip(NEXT) | instid1(VALU_DEP_2)
	v_add_co_u32 v5, vcc_lo, s54, v5
	v_add_co_ci_u32_e32 v6, vcc_lo, s55, v6, vcc_lo
	s_delay_alu instid0(VALU_DEP_2) | instskip(NEXT) | instid1(VALU_DEP_2)
	v_add_co_u32 v5, vcc_lo, v5, v9
	v_add_co_ci_u32_e32 v6, vcc_lo, 0, v6, vcc_lo
	s_waitcnt lgkmcnt(0)
	global_store_b64 v[5:6], v[7:8], off
	s_or_b32 exec_lo, exec_lo, s2
	s_and_saveexec_b32 s2, s34
	s_cbranch_execz .LBB48_204
.LBB48_335:
	v_lshlrev_b32_e32 v5, 3, v106
	v_lshlrev_b32_e32 v7, 3, v1
	;; [unrolled: 1-line block ×3, first 2 shown]
	ds_load_b64 v[5:6], v5
	ds_load_b64 v[7:8], v7 offset:20480
	s_waitcnt lgkmcnt(1)
	v_lshlrev_b64 v[5:6], 3, v[5:6]
	s_delay_alu instid0(VALU_DEP_1) | instskip(NEXT) | instid1(VALU_DEP_2)
	v_add_co_u32 v5, vcc_lo, s54, v5
	v_add_co_ci_u32_e32 v6, vcc_lo, s55, v6, vcc_lo
	s_delay_alu instid0(VALU_DEP_2) | instskip(NEXT) | instid1(VALU_DEP_2)
	v_add_co_u32 v5, vcc_lo, v5, v9
	v_add_co_ci_u32_e32 v6, vcc_lo, 0, v6, vcc_lo
	s_waitcnt lgkmcnt(0)
	global_store_b64 v[5:6], v[7:8], off
	s_or_b32 exec_lo, exec_lo, s2
	s_and_saveexec_b32 s2, s35
	s_cbranch_execz .LBB48_205
.LBB48_336:
	v_lshlrev_b32_e32 v5, 3, v105
	v_lshlrev_b32_e32 v7, 3, v1
	;; [unrolled: 1-line block ×3, first 2 shown]
	ds_load_b64 v[5:6], v5
	ds_load_b64 v[7:8], v7 offset:22528
	s_waitcnt lgkmcnt(1)
	v_lshlrev_b64 v[5:6], 3, v[5:6]
	s_delay_alu instid0(VALU_DEP_1) | instskip(NEXT) | instid1(VALU_DEP_2)
	v_add_co_u32 v5, vcc_lo, s54, v5
	v_add_co_ci_u32_e32 v6, vcc_lo, s55, v6, vcc_lo
	s_delay_alu instid0(VALU_DEP_2) | instskip(NEXT) | instid1(VALU_DEP_2)
	v_add_co_u32 v5, vcc_lo, v5, v9
	v_add_co_ci_u32_e32 v6, vcc_lo, 0, v6, vcc_lo
	s_waitcnt lgkmcnt(0)
	global_store_b64 v[5:6], v[7:8], off
	s_or_b32 exec_lo, exec_lo, s2
	s_and_saveexec_b32 s2, s36
	s_cbranch_execz .LBB48_206
.LBB48_337:
	v_lshlrev_b32_e32 v5, 3, v104
	v_lshlrev_b32_e32 v7, 3, v1
	;; [unrolled: 1-line block ×3, first 2 shown]
	ds_load_b64 v[5:6], v5
	ds_load_b64 v[7:8], v7 offset:24576
	s_waitcnt lgkmcnt(1)
	v_lshlrev_b64 v[5:6], 3, v[5:6]
	s_delay_alu instid0(VALU_DEP_1) | instskip(NEXT) | instid1(VALU_DEP_2)
	v_add_co_u32 v5, vcc_lo, s54, v5
	v_add_co_ci_u32_e32 v6, vcc_lo, s55, v6, vcc_lo
	s_delay_alu instid0(VALU_DEP_2) | instskip(NEXT) | instid1(VALU_DEP_2)
	v_add_co_u32 v5, vcc_lo, v5, v9
	v_add_co_ci_u32_e32 v6, vcc_lo, 0, v6, vcc_lo
	s_waitcnt lgkmcnt(0)
	global_store_b64 v[5:6], v[7:8], off
	s_or_b32 exec_lo, exec_lo, s2
	s_and_saveexec_b32 s2, s37
	s_cbranch_execz .LBB48_207
.LBB48_338:
	v_lshlrev_b32_e32 v5, 3, v103
	v_lshlrev_b32_e32 v7, 3, v1
	;; [unrolled: 1-line block ×3, first 2 shown]
	ds_load_b64 v[5:6], v5
	ds_load_b64 v[7:8], v7 offset:26624
	s_waitcnt lgkmcnt(1)
	v_lshlrev_b64 v[5:6], 3, v[5:6]
	s_delay_alu instid0(VALU_DEP_1) | instskip(NEXT) | instid1(VALU_DEP_2)
	v_add_co_u32 v5, vcc_lo, s54, v5
	v_add_co_ci_u32_e32 v6, vcc_lo, s55, v6, vcc_lo
	s_delay_alu instid0(VALU_DEP_2) | instskip(NEXT) | instid1(VALU_DEP_2)
	v_add_co_u32 v5, vcc_lo, v5, v9
	v_add_co_ci_u32_e32 v6, vcc_lo, 0, v6, vcc_lo
	s_waitcnt lgkmcnt(0)
	global_store_b64 v[5:6], v[7:8], off
	s_or_b32 exec_lo, exec_lo, s2
	s_and_saveexec_b32 s2, s38
	s_cbranch_execz .LBB48_208
.LBB48_339:
	v_lshlrev_b32_e32 v5, 3, v102
	v_lshlrev_b32_e32 v7, 3, v1
	;; [unrolled: 1-line block ×3, first 2 shown]
	ds_load_b64 v[5:6], v5
	ds_load_b64 v[7:8], v7 offset:28672
	s_waitcnt lgkmcnt(1)
	v_lshlrev_b64 v[5:6], 3, v[5:6]
	s_delay_alu instid0(VALU_DEP_1) | instskip(NEXT) | instid1(VALU_DEP_2)
	v_add_co_u32 v5, vcc_lo, s54, v5
	v_add_co_ci_u32_e32 v6, vcc_lo, s55, v6, vcc_lo
	s_delay_alu instid0(VALU_DEP_2) | instskip(NEXT) | instid1(VALU_DEP_2)
	v_add_co_u32 v5, vcc_lo, v5, v9
	v_add_co_ci_u32_e32 v6, vcc_lo, 0, v6, vcc_lo
	s_waitcnt lgkmcnt(0)
	global_store_b64 v[5:6], v[7:8], off
	s_or_b32 exec_lo, exec_lo, s2
	s_and_saveexec_b32 s2, s39
	s_cbranch_execz .LBB48_209
.LBB48_340:
	v_lshlrev_b32_e32 v5, 3, v101
	v_lshlrev_b32_e32 v7, 3, v1
	;; [unrolled: 1-line block ×3, first 2 shown]
	ds_load_b64 v[5:6], v5
	ds_load_b64 v[7:8], v7 offset:30720
	s_waitcnt lgkmcnt(1)
	v_lshlrev_b64 v[5:6], 3, v[5:6]
	s_delay_alu instid0(VALU_DEP_1) | instskip(NEXT) | instid1(VALU_DEP_2)
	v_add_co_u32 v5, vcc_lo, s54, v5
	v_add_co_ci_u32_e32 v6, vcc_lo, s55, v6, vcc_lo
	s_delay_alu instid0(VALU_DEP_2) | instskip(NEXT) | instid1(VALU_DEP_2)
	v_add_co_u32 v5, vcc_lo, v5, v9
	v_add_co_ci_u32_e32 v6, vcc_lo, 0, v6, vcc_lo
	s_waitcnt lgkmcnt(0)
	global_store_b64 v[5:6], v[7:8], off
	s_or_b32 exec_lo, exec_lo, s2
	s_and_saveexec_b32 s2, s40
	s_cbranch_execz .LBB48_210
.LBB48_341:
	v_lshlrev_b32_e32 v5, 3, v100
	v_lshlrev_b32_e32 v7, 3, v1
	;; [unrolled: 1-line block ×3, first 2 shown]
	ds_load_b64 v[5:6], v5
	ds_load_b64 v[7:8], v7 offset:32768
	s_waitcnt lgkmcnt(1)
	v_lshlrev_b64 v[5:6], 3, v[5:6]
	s_delay_alu instid0(VALU_DEP_1) | instskip(NEXT) | instid1(VALU_DEP_2)
	v_add_co_u32 v5, vcc_lo, s54, v5
	v_add_co_ci_u32_e32 v6, vcc_lo, s55, v6, vcc_lo
	s_delay_alu instid0(VALU_DEP_2) | instskip(NEXT) | instid1(VALU_DEP_2)
	v_add_co_u32 v5, vcc_lo, v5, v9
	v_add_co_ci_u32_e32 v6, vcc_lo, 0, v6, vcc_lo
	s_waitcnt lgkmcnt(0)
	global_store_b64 v[5:6], v[7:8], off
	s_or_b32 exec_lo, exec_lo, s2
	s_and_saveexec_b32 s2, s41
	s_cbranch_execz .LBB48_211
.LBB48_342:
	v_lshlrev_b32_e32 v5, 3, v99
	v_lshlrev_b32_e32 v7, 3, v1
	;; [unrolled: 1-line block ×3, first 2 shown]
	ds_load_b64 v[5:6], v5
	ds_load_b64 v[7:8], v7 offset:34816
	s_waitcnt lgkmcnt(1)
	v_lshlrev_b64 v[5:6], 3, v[5:6]
	s_delay_alu instid0(VALU_DEP_1) | instskip(NEXT) | instid1(VALU_DEP_2)
	v_add_co_u32 v5, vcc_lo, s54, v5
	v_add_co_ci_u32_e32 v6, vcc_lo, s55, v6, vcc_lo
	s_delay_alu instid0(VALU_DEP_2) | instskip(NEXT) | instid1(VALU_DEP_2)
	v_add_co_u32 v5, vcc_lo, v5, v9
	v_add_co_ci_u32_e32 v6, vcc_lo, 0, v6, vcc_lo
	s_waitcnt lgkmcnt(0)
	global_store_b64 v[5:6], v[7:8], off
	s_or_b32 exec_lo, exec_lo, s2
	s_and_saveexec_b32 s2, s42
	s_cbranch_execz .LBB48_212
.LBB48_343:
	v_lshlrev_b32_e32 v5, 3, v98
	v_lshlrev_b32_e32 v7, 3, v1
	;; [unrolled: 1-line block ×3, first 2 shown]
	ds_load_b64 v[5:6], v5
	ds_load_b64 v[7:8], v7 offset:36864
	s_waitcnt lgkmcnt(1)
	v_lshlrev_b64 v[5:6], 3, v[5:6]
	s_delay_alu instid0(VALU_DEP_1) | instskip(NEXT) | instid1(VALU_DEP_2)
	v_add_co_u32 v5, vcc_lo, s54, v5
	v_add_co_ci_u32_e32 v6, vcc_lo, s55, v6, vcc_lo
	s_delay_alu instid0(VALU_DEP_2) | instskip(NEXT) | instid1(VALU_DEP_2)
	v_add_co_u32 v5, vcc_lo, v5, v9
	v_add_co_ci_u32_e32 v6, vcc_lo, 0, v6, vcc_lo
	s_waitcnt lgkmcnt(0)
	global_store_b64 v[5:6], v[7:8], off
	s_or_b32 exec_lo, exec_lo, s2
	s_and_saveexec_b32 s2, s43
	s_cbranch_execz .LBB48_213
.LBB48_344:
	v_lshlrev_b32_e32 v5, 3, v97
	v_lshlrev_b32_e32 v7, 3, v1
	;; [unrolled: 1-line block ×3, first 2 shown]
	ds_load_b64 v[5:6], v5
	ds_load_b64 v[7:8], v7 offset:38912
	s_waitcnt lgkmcnt(1)
	v_lshlrev_b64 v[5:6], 3, v[5:6]
	s_delay_alu instid0(VALU_DEP_1) | instskip(NEXT) | instid1(VALU_DEP_2)
	v_add_co_u32 v5, vcc_lo, s54, v5
	v_add_co_ci_u32_e32 v6, vcc_lo, s55, v6, vcc_lo
	s_delay_alu instid0(VALU_DEP_2) | instskip(NEXT) | instid1(VALU_DEP_2)
	v_add_co_u32 v5, vcc_lo, v5, v9
	v_add_co_ci_u32_e32 v6, vcc_lo, 0, v6, vcc_lo
	s_waitcnt lgkmcnt(0)
	global_store_b64 v[5:6], v[7:8], off
	s_or_b32 exec_lo, exec_lo, s2
	s_and_saveexec_b32 s2, s44
	s_cbranch_execz .LBB48_214
.LBB48_345:
	v_lshlrev_b32_e32 v5, 3, v96
	v_lshlrev_b32_e32 v7, 3, v1
	;; [unrolled: 1-line block ×3, first 2 shown]
	ds_load_b64 v[5:6], v5
	ds_load_b64 v[7:8], v7 offset:40960
	s_waitcnt lgkmcnt(1)
	v_lshlrev_b64 v[5:6], 3, v[5:6]
	s_delay_alu instid0(VALU_DEP_1) | instskip(NEXT) | instid1(VALU_DEP_2)
	v_add_co_u32 v5, vcc_lo, s54, v5
	v_add_co_ci_u32_e32 v6, vcc_lo, s55, v6, vcc_lo
	s_delay_alu instid0(VALU_DEP_2) | instskip(NEXT) | instid1(VALU_DEP_2)
	v_add_co_u32 v5, vcc_lo, v5, v9
	v_add_co_ci_u32_e32 v6, vcc_lo, 0, v6, vcc_lo
	s_waitcnt lgkmcnt(0)
	global_store_b64 v[5:6], v[7:8], off
	s_or_b32 exec_lo, exec_lo, s2
	s_and_saveexec_b32 s2, s45
	s_cbranch_execz .LBB48_215
.LBB48_346:
	v_lshlrev_b32_e32 v5, 3, v50
	v_lshlrev_b32_e32 v7, 3, v1
	;; [unrolled: 1-line block ×3, first 2 shown]
	ds_load_b64 v[5:6], v5
	ds_load_b64 v[7:8], v7 offset:43008
	s_waitcnt lgkmcnt(1)
	v_lshlrev_b64 v[5:6], 3, v[5:6]
	s_delay_alu instid0(VALU_DEP_1) | instskip(NEXT) | instid1(VALU_DEP_2)
	v_add_co_u32 v5, vcc_lo, s54, v5
	v_add_co_ci_u32_e32 v6, vcc_lo, s55, v6, vcc_lo
	s_delay_alu instid0(VALU_DEP_2) | instskip(NEXT) | instid1(VALU_DEP_2)
	v_add_co_u32 v5, vcc_lo, v5, v9
	v_add_co_ci_u32_e32 v6, vcc_lo, 0, v6, vcc_lo
	s_waitcnt lgkmcnt(0)
	global_store_b64 v[5:6], v[7:8], off
	s_or_b32 exec_lo, exec_lo, s2
	s_and_saveexec_b32 s2, s46
	s_cbranch_execnz .LBB48_216
	s_branch .LBB48_217
	.section	.rodata,"a",@progbits
	.p2align	6, 0x0
	.amdhsa_kernel _ZN7rocprim17ROCPRIM_304000_NS6detail25onesweep_iteration_kernelINS1_34wrapped_radix_sort_onesweep_configINS0_14default_configEaN2at4cuda3cub6detail10OpaqueTypeILi8EEEEELb0EPKaPaPKSA_PSA_mNS0_19identity_decomposerEEEvT1_T2_T3_T4_jPT5_SO_PNS1_23onesweep_lookback_stateET6_jjj
		.amdhsa_group_segment_fixed_size 47104
		.amdhsa_private_segment_fixed_size 0
		.amdhsa_kernarg_size 336
		.amdhsa_user_sgpr_count 15
		.amdhsa_user_sgpr_dispatch_ptr 0
		.amdhsa_user_sgpr_queue_ptr 0
		.amdhsa_user_sgpr_kernarg_segment_ptr 1
		.amdhsa_user_sgpr_dispatch_id 0
		.amdhsa_user_sgpr_private_segment_size 0
		.amdhsa_wavefront_size32 1
		.amdhsa_uses_dynamic_stack 0
		.amdhsa_enable_private_segment 0
		.amdhsa_system_sgpr_workgroup_id_x 1
		.amdhsa_system_sgpr_workgroup_id_y 0
		.amdhsa_system_sgpr_workgroup_id_z 0
		.amdhsa_system_sgpr_workgroup_info 0
		.amdhsa_system_vgpr_workitem_id 2
		.amdhsa_next_free_vgpr 128
		.amdhsa_next_free_sgpr 72
		.amdhsa_reserve_vcc 1
		.amdhsa_float_round_mode_32 0
		.amdhsa_float_round_mode_16_64 0
		.amdhsa_float_denorm_mode_32 3
		.amdhsa_float_denorm_mode_16_64 3
		.amdhsa_dx10_clamp 1
		.amdhsa_ieee_mode 1
		.amdhsa_fp16_overflow 0
		.amdhsa_workgroup_processor_mode 1
		.amdhsa_memory_ordered 1
		.amdhsa_forward_progress 0
		.amdhsa_shared_vgpr_count 0
		.amdhsa_exception_fp_ieee_invalid_op 0
		.amdhsa_exception_fp_denorm_src 0
		.amdhsa_exception_fp_ieee_div_zero 0
		.amdhsa_exception_fp_ieee_overflow 0
		.amdhsa_exception_fp_ieee_underflow 0
		.amdhsa_exception_fp_ieee_inexact 0
		.amdhsa_exception_int_div_zero 0
	.end_amdhsa_kernel
	.section	.text._ZN7rocprim17ROCPRIM_304000_NS6detail25onesweep_iteration_kernelINS1_34wrapped_radix_sort_onesweep_configINS0_14default_configEaN2at4cuda3cub6detail10OpaqueTypeILi8EEEEELb0EPKaPaPKSA_PSA_mNS0_19identity_decomposerEEEvT1_T2_T3_T4_jPT5_SO_PNS1_23onesweep_lookback_stateET6_jjj,"axG",@progbits,_ZN7rocprim17ROCPRIM_304000_NS6detail25onesweep_iteration_kernelINS1_34wrapped_radix_sort_onesweep_configINS0_14default_configEaN2at4cuda3cub6detail10OpaqueTypeILi8EEEEELb0EPKaPaPKSA_PSA_mNS0_19identity_decomposerEEEvT1_T2_T3_T4_jPT5_SO_PNS1_23onesweep_lookback_stateET6_jjj,comdat
.Lfunc_end48:
	.size	_ZN7rocprim17ROCPRIM_304000_NS6detail25onesweep_iteration_kernelINS1_34wrapped_radix_sort_onesweep_configINS0_14default_configEaN2at4cuda3cub6detail10OpaqueTypeILi8EEEEELb0EPKaPaPKSA_PSA_mNS0_19identity_decomposerEEEvT1_T2_T3_T4_jPT5_SO_PNS1_23onesweep_lookback_stateET6_jjj, .Lfunc_end48-_ZN7rocprim17ROCPRIM_304000_NS6detail25onesweep_iteration_kernelINS1_34wrapped_radix_sort_onesweep_configINS0_14default_configEaN2at4cuda3cub6detail10OpaqueTypeILi8EEEEELb0EPKaPaPKSA_PSA_mNS0_19identity_decomposerEEEvT1_T2_T3_T4_jPT5_SO_PNS1_23onesweep_lookback_stateET6_jjj
                                        ; -- End function
	.section	.AMDGPU.csdata,"",@progbits
; Kernel info:
; codeLenInByte = 32136
; NumSgprs: 74
; NumVgprs: 128
; ScratchSize: 0
; MemoryBound: 0
; FloatMode: 240
; IeeeMode: 1
; LDSByteSize: 47104 bytes/workgroup (compile time only)
; SGPRBlocks: 9
; VGPRBlocks: 15
; NumSGPRsForWavesPerEU: 74
; NumVGPRsForWavesPerEU: 128
; Occupancy: 4
; WaveLimiterHint : 1
; COMPUTE_PGM_RSRC2:SCRATCH_EN: 0
; COMPUTE_PGM_RSRC2:USER_SGPR: 15
; COMPUTE_PGM_RSRC2:TRAP_HANDLER: 0
; COMPUTE_PGM_RSRC2:TGID_X_EN: 1
; COMPUTE_PGM_RSRC2:TGID_Y_EN: 0
; COMPUTE_PGM_RSRC2:TGID_Z_EN: 0
; COMPUTE_PGM_RSRC2:TIDIG_COMP_CNT: 2
	.section	.text._ZN7rocprim17ROCPRIM_304000_NS6detail25onesweep_iteration_kernelINS1_34wrapped_radix_sort_onesweep_configINS0_14default_configEaN2at4cuda3cub6detail10OpaqueTypeILi8EEEEELb0EPaSC_PSA_SD_mNS0_19identity_decomposerEEEvT1_T2_T3_T4_jPT5_SK_PNS1_23onesweep_lookback_stateET6_jjj,"axG",@progbits,_ZN7rocprim17ROCPRIM_304000_NS6detail25onesweep_iteration_kernelINS1_34wrapped_radix_sort_onesweep_configINS0_14default_configEaN2at4cuda3cub6detail10OpaqueTypeILi8EEEEELb0EPaSC_PSA_SD_mNS0_19identity_decomposerEEEvT1_T2_T3_T4_jPT5_SK_PNS1_23onesweep_lookback_stateET6_jjj,comdat
	.protected	_ZN7rocprim17ROCPRIM_304000_NS6detail25onesweep_iteration_kernelINS1_34wrapped_radix_sort_onesweep_configINS0_14default_configEaN2at4cuda3cub6detail10OpaqueTypeILi8EEEEELb0EPaSC_PSA_SD_mNS0_19identity_decomposerEEEvT1_T2_T3_T4_jPT5_SK_PNS1_23onesweep_lookback_stateET6_jjj ; -- Begin function _ZN7rocprim17ROCPRIM_304000_NS6detail25onesweep_iteration_kernelINS1_34wrapped_radix_sort_onesweep_configINS0_14default_configEaN2at4cuda3cub6detail10OpaqueTypeILi8EEEEELb0EPaSC_PSA_SD_mNS0_19identity_decomposerEEEvT1_T2_T3_T4_jPT5_SK_PNS1_23onesweep_lookback_stateET6_jjj
	.globl	_ZN7rocprim17ROCPRIM_304000_NS6detail25onesweep_iteration_kernelINS1_34wrapped_radix_sort_onesweep_configINS0_14default_configEaN2at4cuda3cub6detail10OpaqueTypeILi8EEEEELb0EPaSC_PSA_SD_mNS0_19identity_decomposerEEEvT1_T2_T3_T4_jPT5_SK_PNS1_23onesweep_lookback_stateET6_jjj
	.p2align	8
	.type	_ZN7rocprim17ROCPRIM_304000_NS6detail25onesweep_iteration_kernelINS1_34wrapped_radix_sort_onesweep_configINS0_14default_configEaN2at4cuda3cub6detail10OpaqueTypeILi8EEEEELb0EPaSC_PSA_SD_mNS0_19identity_decomposerEEEvT1_T2_T3_T4_jPT5_SK_PNS1_23onesweep_lookback_stateET6_jjj,@function
_ZN7rocprim17ROCPRIM_304000_NS6detail25onesweep_iteration_kernelINS1_34wrapped_radix_sort_onesweep_configINS0_14default_configEaN2at4cuda3cub6detail10OpaqueTypeILi8EEEEELb0EPaSC_PSA_SD_mNS0_19identity_decomposerEEEvT1_T2_T3_T4_jPT5_SK_PNS1_23onesweep_lookback_stateET6_jjj: ; @_ZN7rocprim17ROCPRIM_304000_NS6detail25onesweep_iteration_kernelINS1_34wrapped_radix_sort_onesweep_configINS0_14default_configEaN2at4cuda3cub6detail10OpaqueTypeILi8EEEEELb0EPaSC_PSA_SD_mNS0_19identity_decomposerEEEvT1_T2_T3_T4_jPT5_SK_PNS1_23onesweep_lookback_stateET6_jjj
; %bb.0:
	s_clause 0x3
	s_load_b128 s[60:63], s[0:1], 0x44
	s_load_b256 s[48:55], s[0:1], 0x0
	s_load_b128 s[56:59], s[0:1], 0x28
	s_load_b64 s[66:67], s[0:1], 0x38
	v_and_b32_e32 v1, 0x3ff, v0
	v_mbcnt_lo_u32_b32 v51, -1, 0
	s_waitcnt lgkmcnt(0)
	s_mov_b32 s63, s15
	s_mul_i32 s64, s15, 0x1600
	s_cmp_ge_u32 s15, s62
	s_cbranch_scc0 .LBB49_218
; %bb.1:
	s_load_b32 s2, s[0:1], 0x20
	v_and_b32_e32 v11, 0xe0, v1
	s_mul_i32 s47, s62, 0xffffea00
	v_dual_mov_b32 v13, 0x7f :: v_dual_mov_b32 v12, 0x7f
	s_mov_b32 s65, 0
	s_delay_alu instid0(VALU_DEP_2) | instskip(NEXT) | instid1(VALU_DEP_1)
	v_mul_u32_u24_e32 v10, 22, v11
	v_or_b32_e32 v14, v51, v10
	s_waitcnt lgkmcnt(0)
	s_add_i32 s47, s47, s2
	s_add_u32 s2, s48, s64
	s_addc_u32 s3, s49, 0
	v_add_co_u32 v2, s2, s2, v51
	s_delay_alu instid0(VALU_DEP_1) | instskip(SKIP_1) | instid1(VALU_DEP_3)
	v_add_co_ci_u32_e64 v3, null, s3, 0, s2
	v_cmp_gt_u32_e32 vcc_lo, s47, v14
	v_add_co_u32 v2, s2, v2, v10
	s_delay_alu instid0(VALU_DEP_1)
	v_add_co_ci_u32_e64 v3, s2, 0, v3, s2
	s_and_saveexec_b32 s2, vcc_lo
	s_cbranch_execz .LBB49_3
; %bb.2:
	global_load_u8 v12, v[2:3], off
.LBB49_3:
	s_or_b32 exec_lo, exec_lo, s2
	v_add_nc_u32_e32 v4, 32, v14
	s_delay_alu instid0(VALU_DEP_1) | instskip(NEXT) | instid1(VALU_DEP_1)
	v_cmp_gt_u32_e64 s2, s47, v4
	s_and_saveexec_b32 s3, s2
	s_cbranch_execz .LBB49_5
; %bb.4:
	global_load_u8 v13, v[2:3], off offset:32
.LBB49_5:
	s_or_b32 exec_lo, exec_lo, s3
	v_dual_mov_b32 v21, 0x7f :: v_dual_add_nc_u32 v4, 64, v14
	v_mov_b32_e32 v17, 0x7f
	s_delay_alu instid0(VALU_DEP_2) | instskip(NEXT) | instid1(VALU_DEP_1)
	v_cmp_gt_u32_e64 s3, s47, v4
	s_and_saveexec_b32 s4, s3
	s_cbranch_execz .LBB49_7
; %bb.6:
	global_load_u8 v17, v[2:3], off offset:64
.LBB49_7:
	s_or_b32 exec_lo, exec_lo, s4
	v_add_nc_u32_e32 v4, 0x60, v14
	s_delay_alu instid0(VALU_DEP_1) | instskip(NEXT) | instid1(VALU_DEP_1)
	v_cmp_gt_u32_e64 s4, s47, v4
	s_and_saveexec_b32 s5, s4
	s_cbranch_execz .LBB49_9
; %bb.8:
	global_load_u8 v21, v[2:3], off offset:96
.LBB49_9:
	s_or_b32 exec_lo, exec_lo, s5
	v_add_nc_u32_e32 v4, 0x80, v14
	v_mov_b32_e32 v29, 0x7f
	v_mov_b32_e32 v25, 0x7f
	s_delay_alu instid0(VALU_DEP_3) | instskip(NEXT) | instid1(VALU_DEP_1)
	v_cmp_gt_u32_e64 s5, s47, v4
	s_and_saveexec_b32 s6, s5
	s_cbranch_execz .LBB49_11
; %bb.10:
	global_load_u8 v25, v[2:3], off offset:128
.LBB49_11:
	s_or_b32 exec_lo, exec_lo, s6
	v_add_nc_u32_e32 v4, 0xa0, v14
	s_delay_alu instid0(VALU_DEP_1) | instskip(NEXT) | instid1(VALU_DEP_1)
	v_cmp_gt_u32_e64 s6, s47, v4
	s_and_saveexec_b32 s7, s6
	s_cbranch_execz .LBB49_13
; %bb.12:
	global_load_u8 v29, v[2:3], off offset:160
.LBB49_13:
	s_or_b32 exec_lo, exec_lo, s7
	v_add_nc_u32_e32 v4, 0xc0, v14
	v_mov_b32_e32 v37, 0x7f
	v_mov_b32_e32 v33, 0x7f
	s_delay_alu instid0(VALU_DEP_3) | instskip(NEXT) | instid1(VALU_DEP_1)
	v_cmp_gt_u32_e64 s7, s47, v4
	s_and_saveexec_b32 s8, s7
	s_cbranch_execz .LBB49_15
; %bb.14:
	global_load_u8 v33, v[2:3], off offset:192
.LBB49_15:
	s_or_b32 exec_lo, exec_lo, s8
	v_add_nc_u32_e32 v4, 0xe0, v14
	s_delay_alu instid0(VALU_DEP_1) | instskip(NEXT) | instid1(VALU_DEP_1)
	v_cmp_gt_u32_e64 s8, s47, v4
	s_and_saveexec_b32 s9, s8
	s_cbranch_execz .LBB49_17
; %bb.16:
	global_load_u8 v37, v[2:3], off offset:224
.LBB49_17:
	s_or_b32 exec_lo, exec_lo, s9
	v_add_nc_u32_e32 v4, 0x100, v14
	v_dual_mov_b32 v47, 0x7f :: v_dual_mov_b32 v42, 0x7f
	s_delay_alu instid0(VALU_DEP_2) | instskip(NEXT) | instid1(VALU_DEP_1)
	v_cmp_gt_u32_e64 s9, s47, v4
	s_and_saveexec_b32 s10, s9
	s_cbranch_execz .LBB49_19
; %bb.18:
	global_load_u8 v42, v[2:3], off offset:256
.LBB49_19:
	s_or_b32 exec_lo, exec_lo, s10
	v_add_nc_u32_e32 v4, 0x120, v14
	s_delay_alu instid0(VALU_DEP_1) | instskip(NEXT) | instid1(VALU_DEP_1)
	v_cmp_gt_u32_e64 s10, s47, v4
	s_and_saveexec_b32 s11, s10
	s_cbranch_execz .LBB49_21
; %bb.20:
	global_load_u8 v47, v[2:3], off offset:288
.LBB49_21:
	s_or_b32 exec_lo, exec_lo, s11
	v_add_nc_u32_e32 v4, 0x140, v14
	v_dual_mov_b32 v58, 0x7f :: v_dual_mov_b32 v53, 0x7f
	s_delay_alu instid0(VALU_DEP_2) | instskip(NEXT) | instid1(VALU_DEP_1)
	v_cmp_gt_u32_e64 s11, s47, v4
	s_and_saveexec_b32 s12, s11
	s_cbranch_execz .LBB49_23
; %bb.22:
	global_load_u8 v53, v[2:3], off offset:320
.LBB49_23:
	s_or_b32 exec_lo, exec_lo, s12
	v_add_nc_u32_e32 v4, 0x160, v14
	s_delay_alu instid0(VALU_DEP_1) | instskip(NEXT) | instid1(VALU_DEP_1)
	v_cmp_gt_u32_e64 s12, s47, v4
	s_and_saveexec_b32 s13, s12
	s_cbranch_execz .LBB49_25
; %bb.24:
	global_load_u8 v58, v[2:3], off offset:352
.LBB49_25:
	s_or_b32 exec_lo, exec_lo, s13
	v_add_nc_u32_e32 v4, 0x180, v14
	v_mov_b32_e32 v50, 0x7f
	v_mov_b32_e32 v56, 0x7f
	s_delay_alu instid0(VALU_DEP_3) | instskip(NEXT) | instid1(VALU_DEP_1)
	v_cmp_gt_u32_e64 s13, s47, v4
	s_and_saveexec_b32 s14, s13
	s_cbranch_execz .LBB49_27
; %bb.26:
	global_load_u8 v56, v[2:3], off offset:384
.LBB49_27:
	s_or_b32 exec_lo, exec_lo, s14
	v_add_nc_u32_e32 v4, 0x1a0, v14
	s_delay_alu instid0(VALU_DEP_1) | instskip(NEXT) | instid1(VALU_DEP_1)
	v_cmp_gt_u32_e64 s14, s47, v4
	s_and_saveexec_b32 s16, s14
	s_cbranch_execz .LBB49_29
; %bb.28:
	global_load_u8 v50, v[2:3], off offset:416
.LBB49_29:
	s_or_b32 exec_lo, exec_lo, s16
	v_add_nc_u32_e32 v4, 0x1c0, v14
	v_dual_mov_b32 v41, 0x7f :: v_dual_mov_b32 v46, 0x7f
	s_delay_alu instid0(VALU_DEP_2) | instskip(NEXT) | instid1(VALU_DEP_1)
	v_cmp_gt_u32_e64 s16, s47, v4
	s_and_saveexec_b32 s17, s16
	s_cbranch_execz .LBB49_31
; %bb.30:
	global_load_u8 v46, v[2:3], off offset:448
.LBB49_31:
	s_or_b32 exec_lo, exec_lo, s17
	v_add_nc_u32_e32 v4, 0x1e0, v14
	s_delay_alu instid0(VALU_DEP_1) | instskip(NEXT) | instid1(VALU_DEP_1)
	v_cmp_gt_u32_e64 s18, s47, v4
	s_and_saveexec_b32 s17, s18
	s_cbranch_execz .LBB49_33
; %bb.32:
	global_load_u8 v41, v[2:3], off offset:480
.LBB49_33:
	s_or_b32 exec_lo, exec_lo, s17
	v_add_nc_u32_e32 v4, 0x200, v14
	v_dual_mov_b32 v8, 0x7f :: v_dual_mov_b32 v9, 0x7f
	s_delay_alu instid0(VALU_DEP_2) | instskip(NEXT) | instid1(VALU_DEP_1)
	;; [unrolled: 19-line block ×3, first 2 shown]
	v_cmp_gt_u32_e64 s22, s47, v4
	s_and_saveexec_b32 s17, s22
	s_cbranch_execz .LBB49_39
; %bb.38:
	global_load_u8 v7, v[2:3], off offset:576
.LBB49_39:
	s_or_b32 exec_lo, exec_lo, s17
	v_add_nc_u32_e32 v4, 0x260, v14
	s_delay_alu instid0(VALU_DEP_1) | instskip(NEXT) | instid1(VALU_DEP_1)
	v_cmp_gt_u32_e64 s19, s47, v4
	s_and_saveexec_b32 s17, s19
	s_cbranch_execz .LBB49_41
; %bb.40:
	global_load_u8 v6, v[2:3], off offset:608
.LBB49_41:
	s_or_b32 exec_lo, exec_lo, s17
	v_add_nc_u32_e32 v5, 0x280, v14
	v_mov_b32_e32 v4, 0x7f
	s_delay_alu instid0(VALU_DEP_2) | instskip(SKIP_1) | instid1(VALU_DEP_2)
	v_cmp_gt_u32_e64 s20, s47, v5
	v_mov_b32_e32 v5, 0x7f
	s_and_saveexec_b32 s17, s20
	s_cbranch_execz .LBB49_43
; %bb.42:
	global_load_u8 v5, v[2:3], off offset:640
.LBB49_43:
	s_or_b32 exec_lo, exec_lo, s17
	v_add_nc_u32_e32 v14, 0x2a0, v14
	s_delay_alu instid0(VALU_DEP_1) | instskip(NEXT) | instid1(VALU_DEP_1)
	v_cmp_gt_u32_e64 s17, s47, v14
	s_and_saveexec_b32 s24, s17
	s_cbranch_execz .LBB49_45
; %bb.44:
	global_load_u8 v4, v[2:3], off offset:672
.LBB49_45:
	s_or_b32 exec_lo, exec_lo, s24
	s_clause 0x1
	s_load_b32 s24, s[0:1], 0x5c
	s_load_b32 s62, s[0:1], 0x50
	s_add_u32 s25, s0, 0x50
	s_addc_u32 s26, s1, 0
	v_mov_b32_e32 v16, 0
	s_waitcnt vmcnt(0)
	v_xor_b32_e32 v12, 0xffffff80, v12
	s_delay_alu instid0(VALU_DEP_1) | instskip(NEXT) | instid1(VALU_DEP_1)
	v_and_b32_e32 v2, 0xff, v12
	v_lshrrev_b32_e32 v2, s60, v2
	s_waitcnt lgkmcnt(0)
	s_lshr_b32 s27, s24, 16
	s_cmp_lt_u32 s15, s62
	s_cselect_b32 s24, 12, 18
	s_delay_alu instid0(SALU_CYCLE_1) | instskip(SKIP_3) | instid1(SALU_CYCLE_1)
	s_add_u32 s24, s25, s24
	s_addc_u32 s25, s26, 0
	global_load_u16 v14, v16, s[24:25]
	s_lshl_b32 s24, -1, s61
	s_not_b32 s68, s24
	s_delay_alu instid0(SALU_CYCLE_1) | instskip(SKIP_1) | instid1(VALU_DEP_2)
	v_and_b32_e32 v18, s68, v2
	v_bfe_u32 v2, v0, 10, 10
	v_and_b32_e32 v3, 1, v18
	v_lshlrev_b32_e32 v15, 30, v18
	v_lshlrev_b32_e32 v19, 29, v18
	;; [unrolled: 1-line block ×4, first 2 shown]
	v_add_co_u32 v3, s24, v3, -1
	s_delay_alu instid0(VALU_DEP_1)
	v_cndmask_b32_e64 v22, 0, 1, s24
	v_not_b32_e32 v27, v15
	v_cmp_gt_i32_e64 s25, 0, v15
	v_not_b32_e32 v15, v19
	v_lshlrev_b32_e32 v24, 26, v18
	v_cmp_ne_u32_e64 s24, 0, v22
	v_ashrrev_i32_e32 v27, 31, v27
	v_lshlrev_b32_e32 v26, 25, v18
	v_ashrrev_i32_e32 v15, 31, v15
	v_lshlrev_b32_e32 v22, 24, v18
	v_xor_b32_e32 v3, s24, v3
	v_cmp_gt_i32_e64 s24, 0, v19
	v_not_b32_e32 v19, v20
	v_xor_b32_e32 v27, s25, v27
	v_cmp_gt_i32_e64 s25, 0, v20
	v_and_b32_e32 v3, exec_lo, v3
	v_not_b32_e32 v20, v23
	v_ashrrev_i32_e32 v19, 31, v19
	v_xor_b32_e32 v15, s24, v15
	v_cmp_gt_i32_e64 s24, 0, v23
	v_and_b32_e32 v3, v3, v27
	v_not_b32_e32 v23, v24
	v_ashrrev_i32_e32 v20, 31, v20
	v_xor_b32_e32 v19, s25, v19
	v_cmp_gt_i32_e64 s25, 0, v24
	v_and_b32_e32 v3, v3, v15
	;; [unrolled: 5-line block ×4, first 2 shown]
	v_bfe_u32 v20, v0, 20, 10
	v_ashrrev_i32_e32 v19, 31, v19
	v_xor_b32_e32 v15, s24, v15
	v_mul_u32_u24_e32 v22, 9, v1
	v_and_b32_e32 v3, v3, v23
	v_mad_u32_u24 v20, v20, s27, v2
	v_xor_b32_e32 v19, s25, v19
	s_delay_alu instid0(VALU_DEP_3)
	v_and_b32_e32 v23, v3, v15
	v_lshlrev_b32_e32 v15, 2, v22
	ds_store_2addr_b32 v15, v16, v16 offset0:8 offset1:9
	ds_store_2addr_b32 v15, v16, v16 offset0:10 offset1:11
	;; [unrolled: 1-line block ×4, first 2 shown]
	ds_store_b32 v15, v16 offset:64
	v_mul_u32_u24_e32 v16, 9, v18
	s_waitcnt vmcnt(0) lgkmcnt(0)
	s_barrier
	buffer_gl0_inv
	; wave barrier
	v_mad_u64_u32 v[2:3], null, v20, v14, v[1:2]
	v_and_b32_e32 v3, v23, v19
	s_delay_alu instid0(VALU_DEP_1) | instskip(NEXT) | instid1(VALU_DEP_3)
	v_mbcnt_lo_u32_b32 v14, v3, 0
	v_lshrrev_b32_e32 v2, 5, v2
	v_cmp_ne_u32_e64 s25, 0, v3
	s_delay_alu instid0(VALU_DEP_3) | instskip(NEXT) | instid1(VALU_DEP_3)
	v_cmp_eq_u32_e64 s24, 0, v14
	v_add_lshl_u32 v16, v2, v16, 2
	s_delay_alu instid0(VALU_DEP_2) | instskip(NEXT) | instid1(SALU_CYCLE_1)
	s_and_b32 s25, s25, s24
	s_and_saveexec_b32 s24, s25
	s_cbranch_execz .LBB49_47
; %bb.46:
	v_bcnt_u32_b32 v3, v3, 0
	ds_store_b32 v16, v3 offset:32
.LBB49_47:
	s_or_b32 exec_lo, exec_lo, s24
	v_xor_b32_e32 v13, 0xffffff80, v13
	; wave barrier
	s_delay_alu instid0(VALU_DEP_1) | instskip(NEXT) | instid1(VALU_DEP_1)
	v_and_b32_e32 v3, 0xff, v13
	v_lshrrev_b32_e32 v3, s60, v3
	s_delay_alu instid0(VALU_DEP_1) | instskip(NEXT) | instid1(VALU_DEP_1)
	v_and_b32_e32 v3, s68, v3
	v_and_b32_e32 v18, 1, v3
	v_lshlrev_b32_e32 v19, 30, v3
	v_lshlrev_b32_e32 v20, 29, v3
	;; [unrolled: 1-line block ×4, first 2 shown]
	v_add_co_u32 v18, s24, v18, -1
	s_delay_alu instid0(VALU_DEP_1)
	v_cndmask_b32_e64 v23, 0, 1, s24
	v_not_b32_e32 v28, v19
	v_cmp_gt_i32_e64 s25, 0, v19
	v_not_b32_e32 v19, v20
	v_lshlrev_b32_e32 v26, 26, v3
	v_cmp_ne_u32_e64 s24, 0, v23
	v_ashrrev_i32_e32 v28, 31, v28
	v_lshlrev_b32_e32 v27, 25, v3
	v_ashrrev_i32_e32 v19, 31, v19
	v_lshlrev_b32_e32 v23, 24, v3
	v_xor_b32_e32 v18, s24, v18
	v_cmp_gt_i32_e64 s24, 0, v20
	v_not_b32_e32 v20, v22
	v_xor_b32_e32 v28, s25, v28
	v_cmp_gt_i32_e64 s25, 0, v22
	v_and_b32_e32 v18, exec_lo, v18
	v_not_b32_e32 v22, v24
	v_ashrrev_i32_e32 v20, 31, v20
	v_xor_b32_e32 v19, s24, v19
	v_cmp_gt_i32_e64 s24, 0, v24
	v_and_b32_e32 v18, v18, v28
	v_not_b32_e32 v24, v26
	v_ashrrev_i32_e32 v22, 31, v22
	v_xor_b32_e32 v20, s25, v20
	v_cmp_gt_i32_e64 s25, 0, v26
	v_and_b32_e32 v18, v18, v19
	;; [unrolled: 5-line block ×3, first 2 shown]
	v_not_b32_e32 v20, v23
	v_ashrrev_i32_e32 v19, 31, v19
	v_xor_b32_e32 v24, s25, v24
	v_mul_u32_u24_e32 v3, 9, v3
	v_and_b32_e32 v18, v18, v22
	v_cmp_gt_i32_e64 s25, 0, v23
	v_ashrrev_i32_e32 v22, 31, v20
	v_xor_b32_e32 v19, s24, v19
	v_add_lshl_u32 v20, v2, v3, 2
	v_and_b32_e32 v18, v18, v24
	s_delay_alu instid0(VALU_DEP_4) | instskip(NEXT) | instid1(VALU_DEP_2)
	v_xor_b32_e32 v3, s25, v22
	v_and_b32_e32 v19, v18, v19
	ds_load_b32 v18, v20 offset:32
	; wave barrier
	v_and_b32_e32 v3, v19, v3
	s_delay_alu instid0(VALU_DEP_1) | instskip(SKIP_1) | instid1(VALU_DEP_2)
	v_mbcnt_lo_u32_b32 v19, v3, 0
	v_cmp_ne_u32_e64 s25, 0, v3
	v_cmp_eq_u32_e64 s24, 0, v19
	s_delay_alu instid0(VALU_DEP_1) | instskip(NEXT) | instid1(SALU_CYCLE_1)
	s_and_b32 s25, s25, s24
	s_and_saveexec_b32 s24, s25
	s_cbranch_execz .LBB49_49
; %bb.48:
	s_waitcnt lgkmcnt(0)
	v_bcnt_u32_b32 v3, v3, v18
	ds_store_b32 v20, v3 offset:32
.LBB49_49:
	s_or_b32 exec_lo, exec_lo, s24
	v_xor_b32_e32 v17, 0xffffff80, v17
	; wave barrier
	s_delay_alu instid0(VALU_DEP_1) | instskip(NEXT) | instid1(VALU_DEP_1)
	v_and_b32_e32 v3, 0xff, v17
	v_lshrrev_b32_e32 v3, s60, v3
	s_delay_alu instid0(VALU_DEP_1) | instskip(NEXT) | instid1(VALU_DEP_1)
	v_and_b32_e32 v3, s68, v3
	v_and_b32_e32 v22, 1, v3
	v_lshlrev_b32_e32 v23, 30, v3
	v_lshlrev_b32_e32 v24, 29, v3
	;; [unrolled: 1-line block ×4, first 2 shown]
	v_add_co_u32 v22, s24, v22, -1
	s_delay_alu instid0(VALU_DEP_1)
	v_cndmask_b32_e64 v27, 0, 1, s24
	v_not_b32_e32 v32, v23
	v_cmp_gt_i32_e64 s25, 0, v23
	v_not_b32_e32 v23, v24
	v_lshlrev_b32_e32 v30, 26, v3
	v_cmp_ne_u32_e64 s24, 0, v27
	v_ashrrev_i32_e32 v32, 31, v32
	v_lshlrev_b32_e32 v31, 25, v3
	v_ashrrev_i32_e32 v23, 31, v23
	v_lshlrev_b32_e32 v27, 24, v3
	v_xor_b32_e32 v22, s24, v22
	v_cmp_gt_i32_e64 s24, 0, v24
	v_not_b32_e32 v24, v26
	v_xor_b32_e32 v32, s25, v32
	v_cmp_gt_i32_e64 s25, 0, v26
	v_and_b32_e32 v22, exec_lo, v22
	v_not_b32_e32 v26, v28
	v_ashrrev_i32_e32 v24, 31, v24
	v_xor_b32_e32 v23, s24, v23
	v_cmp_gt_i32_e64 s24, 0, v28
	v_and_b32_e32 v22, v22, v32
	v_not_b32_e32 v28, v30
	v_ashrrev_i32_e32 v26, 31, v26
	v_xor_b32_e32 v24, s25, v24
	v_cmp_gt_i32_e64 s25, 0, v30
	v_and_b32_e32 v22, v22, v23
	;; [unrolled: 5-line block ×3, first 2 shown]
	v_not_b32_e32 v24, v27
	v_ashrrev_i32_e32 v23, 31, v23
	v_xor_b32_e32 v28, s25, v28
	v_mul_u32_u24_e32 v3, 9, v3
	v_and_b32_e32 v22, v22, v26
	v_cmp_gt_i32_e64 s25, 0, v27
	v_ashrrev_i32_e32 v26, 31, v24
	v_xor_b32_e32 v23, s24, v23
	v_add_lshl_u32 v24, v2, v3, 2
	v_and_b32_e32 v22, v22, v28
	s_delay_alu instid0(VALU_DEP_4) | instskip(NEXT) | instid1(VALU_DEP_2)
	v_xor_b32_e32 v3, s25, v26
	v_and_b32_e32 v23, v22, v23
	ds_load_b32 v22, v24 offset:32
	; wave barrier
	v_and_b32_e32 v3, v23, v3
	s_delay_alu instid0(VALU_DEP_1) | instskip(SKIP_1) | instid1(VALU_DEP_2)
	v_mbcnt_lo_u32_b32 v23, v3, 0
	v_cmp_ne_u32_e64 s25, 0, v3
	v_cmp_eq_u32_e64 s24, 0, v23
	s_delay_alu instid0(VALU_DEP_1) | instskip(NEXT) | instid1(SALU_CYCLE_1)
	s_and_b32 s25, s25, s24
	s_and_saveexec_b32 s24, s25
	s_cbranch_execz .LBB49_51
; %bb.50:
	s_waitcnt lgkmcnt(0)
	v_bcnt_u32_b32 v3, v3, v22
	ds_store_b32 v24, v3 offset:32
.LBB49_51:
	s_or_b32 exec_lo, exec_lo, s24
	v_xor_b32_e32 v21, 0xffffff80, v21
	; wave barrier
	s_delay_alu instid0(VALU_DEP_1) | instskip(NEXT) | instid1(VALU_DEP_1)
	v_and_b32_e32 v3, 0xff, v21
	v_lshrrev_b32_e32 v3, s60, v3
	s_delay_alu instid0(VALU_DEP_1) | instskip(NEXT) | instid1(VALU_DEP_1)
	v_and_b32_e32 v3, s68, v3
	v_and_b32_e32 v26, 1, v3
	v_lshlrev_b32_e32 v27, 30, v3
	v_lshlrev_b32_e32 v28, 29, v3
	;; [unrolled: 1-line block ×4, first 2 shown]
	v_add_co_u32 v26, s24, v26, -1
	s_delay_alu instid0(VALU_DEP_1)
	v_cndmask_b32_e64 v31, 0, 1, s24
	v_not_b32_e32 v36, v27
	v_cmp_gt_i32_e64 s25, 0, v27
	v_not_b32_e32 v27, v28
	v_lshlrev_b32_e32 v34, 26, v3
	v_cmp_ne_u32_e64 s24, 0, v31
	v_ashrrev_i32_e32 v36, 31, v36
	v_lshlrev_b32_e32 v35, 25, v3
	v_ashrrev_i32_e32 v27, 31, v27
	v_lshlrev_b32_e32 v31, 24, v3
	v_xor_b32_e32 v26, s24, v26
	v_cmp_gt_i32_e64 s24, 0, v28
	v_not_b32_e32 v28, v30
	v_xor_b32_e32 v36, s25, v36
	v_cmp_gt_i32_e64 s25, 0, v30
	v_and_b32_e32 v26, exec_lo, v26
	v_not_b32_e32 v30, v32
	v_ashrrev_i32_e32 v28, 31, v28
	v_xor_b32_e32 v27, s24, v27
	v_cmp_gt_i32_e64 s24, 0, v32
	v_and_b32_e32 v26, v26, v36
	v_not_b32_e32 v32, v34
	v_ashrrev_i32_e32 v30, 31, v30
	v_xor_b32_e32 v28, s25, v28
	v_cmp_gt_i32_e64 s25, 0, v34
	v_and_b32_e32 v26, v26, v27
	;; [unrolled: 5-line block ×3, first 2 shown]
	v_not_b32_e32 v28, v31
	v_ashrrev_i32_e32 v27, 31, v27
	v_xor_b32_e32 v32, s25, v32
	v_mul_u32_u24_e32 v3, 9, v3
	v_and_b32_e32 v26, v26, v30
	v_cmp_gt_i32_e64 s25, 0, v31
	v_ashrrev_i32_e32 v30, 31, v28
	v_xor_b32_e32 v27, s24, v27
	v_add_lshl_u32 v28, v2, v3, 2
	v_and_b32_e32 v26, v26, v32
	s_delay_alu instid0(VALU_DEP_4) | instskip(NEXT) | instid1(VALU_DEP_2)
	v_xor_b32_e32 v3, s25, v30
	v_and_b32_e32 v27, v26, v27
	ds_load_b32 v26, v28 offset:32
	; wave barrier
	v_and_b32_e32 v3, v27, v3
	s_delay_alu instid0(VALU_DEP_1) | instskip(SKIP_1) | instid1(VALU_DEP_2)
	v_mbcnt_lo_u32_b32 v27, v3, 0
	v_cmp_ne_u32_e64 s25, 0, v3
	v_cmp_eq_u32_e64 s24, 0, v27
	s_delay_alu instid0(VALU_DEP_1) | instskip(NEXT) | instid1(SALU_CYCLE_1)
	s_and_b32 s25, s25, s24
	s_and_saveexec_b32 s24, s25
	s_cbranch_execz .LBB49_53
; %bb.52:
	s_waitcnt lgkmcnt(0)
	v_bcnt_u32_b32 v3, v3, v26
	ds_store_b32 v28, v3 offset:32
.LBB49_53:
	s_or_b32 exec_lo, exec_lo, s24
	v_xor_b32_e32 v25, 0xffffff80, v25
	; wave barrier
	s_delay_alu instid0(VALU_DEP_1) | instskip(NEXT) | instid1(VALU_DEP_1)
	v_and_b32_e32 v3, 0xff, v25
	v_lshrrev_b32_e32 v3, s60, v3
	s_delay_alu instid0(VALU_DEP_1) | instskip(NEXT) | instid1(VALU_DEP_1)
	v_and_b32_e32 v3, s68, v3
	v_and_b32_e32 v30, 1, v3
	v_lshlrev_b32_e32 v31, 30, v3
	v_lshlrev_b32_e32 v32, 29, v3
	;; [unrolled: 1-line block ×4, first 2 shown]
	v_add_co_u32 v30, s24, v30, -1
	s_delay_alu instid0(VALU_DEP_1)
	v_cndmask_b32_e64 v35, 0, 1, s24
	v_not_b32_e32 v40, v31
	v_cmp_gt_i32_e64 s25, 0, v31
	v_not_b32_e32 v31, v32
	v_lshlrev_b32_e32 v38, 26, v3
	v_cmp_ne_u32_e64 s24, 0, v35
	v_ashrrev_i32_e32 v40, 31, v40
	v_lshlrev_b32_e32 v39, 25, v3
	v_ashrrev_i32_e32 v31, 31, v31
	v_lshlrev_b32_e32 v35, 24, v3
	v_xor_b32_e32 v30, s24, v30
	v_cmp_gt_i32_e64 s24, 0, v32
	v_not_b32_e32 v32, v34
	v_xor_b32_e32 v40, s25, v40
	v_cmp_gt_i32_e64 s25, 0, v34
	v_and_b32_e32 v30, exec_lo, v30
	v_not_b32_e32 v34, v36
	v_ashrrev_i32_e32 v32, 31, v32
	v_xor_b32_e32 v31, s24, v31
	v_cmp_gt_i32_e64 s24, 0, v36
	v_and_b32_e32 v30, v30, v40
	v_not_b32_e32 v36, v38
	v_ashrrev_i32_e32 v34, 31, v34
	v_xor_b32_e32 v32, s25, v32
	v_cmp_gt_i32_e64 s25, 0, v38
	v_and_b32_e32 v30, v30, v31
	;; [unrolled: 5-line block ×3, first 2 shown]
	v_not_b32_e32 v32, v35
	v_ashrrev_i32_e32 v31, 31, v31
	v_xor_b32_e32 v36, s25, v36
	v_mul_u32_u24_e32 v3, 9, v3
	v_and_b32_e32 v30, v30, v34
	v_cmp_gt_i32_e64 s25, 0, v35
	v_ashrrev_i32_e32 v34, 31, v32
	v_xor_b32_e32 v31, s24, v31
	v_add_lshl_u32 v32, v2, v3, 2
	v_and_b32_e32 v30, v30, v36
	s_delay_alu instid0(VALU_DEP_4) | instskip(NEXT) | instid1(VALU_DEP_2)
	v_xor_b32_e32 v3, s25, v34
	v_and_b32_e32 v31, v30, v31
	ds_load_b32 v30, v32 offset:32
	; wave barrier
	v_and_b32_e32 v3, v31, v3
	s_delay_alu instid0(VALU_DEP_1) | instskip(SKIP_1) | instid1(VALU_DEP_2)
	v_mbcnt_lo_u32_b32 v31, v3, 0
	v_cmp_ne_u32_e64 s25, 0, v3
	v_cmp_eq_u32_e64 s24, 0, v31
	s_delay_alu instid0(VALU_DEP_1) | instskip(NEXT) | instid1(SALU_CYCLE_1)
	s_and_b32 s25, s25, s24
	s_and_saveexec_b32 s24, s25
	s_cbranch_execz .LBB49_55
; %bb.54:
	s_waitcnt lgkmcnt(0)
	v_bcnt_u32_b32 v3, v3, v30
	ds_store_b32 v32, v3 offset:32
.LBB49_55:
	s_or_b32 exec_lo, exec_lo, s24
	v_xor_b32_e32 v29, 0xffffff80, v29
	; wave barrier
	s_delay_alu instid0(VALU_DEP_1) | instskip(NEXT) | instid1(VALU_DEP_1)
	v_and_b32_e32 v3, 0xff, v29
	v_lshrrev_b32_e32 v3, s60, v3
	s_delay_alu instid0(VALU_DEP_1) | instskip(NEXT) | instid1(VALU_DEP_1)
	v_and_b32_e32 v3, s68, v3
	v_and_b32_e32 v34, 1, v3
	v_lshlrev_b32_e32 v35, 30, v3
	v_lshlrev_b32_e32 v36, 29, v3
	;; [unrolled: 1-line block ×4, first 2 shown]
	v_add_co_u32 v34, s24, v34, -1
	s_delay_alu instid0(VALU_DEP_1)
	v_cndmask_b32_e64 v39, 0, 1, s24
	v_not_b32_e32 v45, v35
	v_cmp_gt_i32_e64 s25, 0, v35
	v_not_b32_e32 v35, v36
	v_lshlrev_b32_e32 v43, 26, v3
	v_cmp_ne_u32_e64 s24, 0, v39
	v_ashrrev_i32_e32 v45, 31, v45
	v_lshlrev_b32_e32 v44, 25, v3
	v_ashrrev_i32_e32 v35, 31, v35
	v_lshlrev_b32_e32 v39, 24, v3
	v_xor_b32_e32 v34, s24, v34
	v_cmp_gt_i32_e64 s24, 0, v36
	v_not_b32_e32 v36, v38
	v_xor_b32_e32 v45, s25, v45
	v_cmp_gt_i32_e64 s25, 0, v38
	v_and_b32_e32 v34, exec_lo, v34
	v_not_b32_e32 v38, v40
	v_ashrrev_i32_e32 v36, 31, v36
	v_xor_b32_e32 v35, s24, v35
	v_cmp_gt_i32_e64 s24, 0, v40
	v_and_b32_e32 v34, v34, v45
	v_not_b32_e32 v40, v43
	v_ashrrev_i32_e32 v38, 31, v38
	v_xor_b32_e32 v36, s25, v36
	v_cmp_gt_i32_e64 s25, 0, v43
	v_and_b32_e32 v34, v34, v35
	;; [unrolled: 5-line block ×3, first 2 shown]
	v_not_b32_e32 v36, v39
	v_ashrrev_i32_e32 v35, 31, v35
	v_xor_b32_e32 v40, s25, v40
	v_mul_u32_u24_e32 v3, 9, v3
	v_and_b32_e32 v34, v34, v38
	v_cmp_gt_i32_e64 s25, 0, v39
	v_ashrrev_i32_e32 v38, 31, v36
	v_xor_b32_e32 v35, s24, v35
	v_add_lshl_u32 v36, v2, v3, 2
	v_and_b32_e32 v34, v34, v40
	s_delay_alu instid0(VALU_DEP_4) | instskip(NEXT) | instid1(VALU_DEP_2)
	v_xor_b32_e32 v3, s25, v38
	v_and_b32_e32 v35, v34, v35
	ds_load_b32 v34, v36 offset:32
	; wave barrier
	v_and_b32_e32 v3, v35, v3
	s_delay_alu instid0(VALU_DEP_1) | instskip(SKIP_1) | instid1(VALU_DEP_2)
	v_mbcnt_lo_u32_b32 v35, v3, 0
	v_cmp_ne_u32_e64 s25, 0, v3
	v_cmp_eq_u32_e64 s24, 0, v35
	s_delay_alu instid0(VALU_DEP_1) | instskip(NEXT) | instid1(SALU_CYCLE_1)
	s_and_b32 s25, s25, s24
	s_and_saveexec_b32 s24, s25
	s_cbranch_execz .LBB49_57
; %bb.56:
	s_waitcnt lgkmcnt(0)
	v_bcnt_u32_b32 v3, v3, v34
	ds_store_b32 v36, v3 offset:32
.LBB49_57:
	s_or_b32 exec_lo, exec_lo, s24
	v_xor_b32_e32 v33, 0xffffff80, v33
	; wave barrier
	s_delay_alu instid0(VALU_DEP_1) | instskip(NEXT) | instid1(VALU_DEP_1)
	v_and_b32_e32 v3, 0xff, v33
	v_lshrrev_b32_e32 v3, s60, v3
	s_delay_alu instid0(VALU_DEP_1) | instskip(NEXT) | instid1(VALU_DEP_1)
	v_and_b32_e32 v3, s68, v3
	v_and_b32_e32 v38, 1, v3
	v_lshlrev_b32_e32 v39, 30, v3
	v_lshlrev_b32_e32 v40, 29, v3
	;; [unrolled: 1-line block ×4, first 2 shown]
	v_add_co_u32 v38, s24, v38, -1
	s_delay_alu instid0(VALU_DEP_1)
	v_cndmask_b32_e64 v44, 0, 1, s24
	v_not_b32_e32 v52, v39
	v_cmp_gt_i32_e64 s25, 0, v39
	v_not_b32_e32 v39, v40
	v_lshlrev_b32_e32 v48, 26, v3
	v_cmp_ne_u32_e64 s24, 0, v44
	v_ashrrev_i32_e32 v52, 31, v52
	v_lshlrev_b32_e32 v49, 25, v3
	v_ashrrev_i32_e32 v39, 31, v39
	v_lshlrev_b32_e32 v44, 24, v3
	v_xor_b32_e32 v38, s24, v38
	v_cmp_gt_i32_e64 s24, 0, v40
	v_not_b32_e32 v40, v43
	v_xor_b32_e32 v52, s25, v52
	v_cmp_gt_i32_e64 s25, 0, v43
	v_and_b32_e32 v38, exec_lo, v38
	v_not_b32_e32 v43, v45
	v_ashrrev_i32_e32 v40, 31, v40
	v_xor_b32_e32 v39, s24, v39
	v_cmp_gt_i32_e64 s24, 0, v45
	v_and_b32_e32 v38, v38, v52
	v_not_b32_e32 v45, v48
	v_ashrrev_i32_e32 v43, 31, v43
	v_xor_b32_e32 v40, s25, v40
	v_cmp_gt_i32_e64 s25, 0, v48
	v_and_b32_e32 v38, v38, v39
	;; [unrolled: 5-line block ×3, first 2 shown]
	v_not_b32_e32 v40, v44
	v_ashrrev_i32_e32 v39, 31, v39
	v_xor_b32_e32 v45, s25, v45
	v_mul_u32_u24_e32 v3, 9, v3
	v_and_b32_e32 v38, v38, v43
	v_cmp_gt_i32_e64 s25, 0, v44
	v_ashrrev_i32_e32 v43, 31, v40
	v_xor_b32_e32 v39, s24, v39
	v_add_lshl_u32 v40, v2, v3, 2
	v_and_b32_e32 v38, v38, v45
	s_delay_alu instid0(VALU_DEP_4) | instskip(NEXT) | instid1(VALU_DEP_2)
	v_xor_b32_e32 v3, s25, v43
	v_and_b32_e32 v39, v38, v39
	ds_load_b32 v38, v40 offset:32
	; wave barrier
	v_and_b32_e32 v3, v39, v3
	s_delay_alu instid0(VALU_DEP_1) | instskip(SKIP_1) | instid1(VALU_DEP_2)
	v_mbcnt_lo_u32_b32 v39, v3, 0
	v_cmp_ne_u32_e64 s25, 0, v3
	v_cmp_eq_u32_e64 s24, 0, v39
	s_delay_alu instid0(VALU_DEP_1) | instskip(NEXT) | instid1(SALU_CYCLE_1)
	s_and_b32 s25, s25, s24
	s_and_saveexec_b32 s24, s25
	s_cbranch_execz .LBB49_59
; %bb.58:
	s_waitcnt lgkmcnt(0)
	v_bcnt_u32_b32 v3, v3, v38
	ds_store_b32 v40, v3 offset:32
.LBB49_59:
	s_or_b32 exec_lo, exec_lo, s24
	v_xor_b32_e32 v37, 0xffffff80, v37
	; wave barrier
	s_delay_alu instid0(VALU_DEP_1) | instskip(NEXT) | instid1(VALU_DEP_1)
	v_and_b32_e32 v3, 0xff, v37
	v_lshrrev_b32_e32 v3, s60, v3
	s_delay_alu instid0(VALU_DEP_1) | instskip(NEXT) | instid1(VALU_DEP_1)
	v_and_b32_e32 v3, s68, v3
	v_and_b32_e32 v43, 1, v3
	v_lshlrev_b32_e32 v44, 30, v3
	v_lshlrev_b32_e32 v45, 29, v3
	v_lshlrev_b32_e32 v48, 28, v3
	v_lshlrev_b32_e32 v52, 27, v3
	v_add_co_u32 v43, s24, v43, -1
	s_delay_alu instid0(VALU_DEP_1)
	v_cndmask_b32_e64 v49, 0, 1, s24
	v_not_b32_e32 v57, v44
	v_cmp_gt_i32_e64 s25, 0, v44
	v_not_b32_e32 v44, v45
	v_lshlrev_b32_e32 v54, 26, v3
	v_cmp_ne_u32_e64 s24, 0, v49
	v_ashrrev_i32_e32 v57, 31, v57
	v_lshlrev_b32_e32 v55, 25, v3
	v_ashrrev_i32_e32 v44, 31, v44
	v_lshlrev_b32_e32 v49, 24, v3
	v_xor_b32_e32 v43, s24, v43
	v_cmp_gt_i32_e64 s24, 0, v45
	v_not_b32_e32 v45, v48
	v_xor_b32_e32 v57, s25, v57
	v_cmp_gt_i32_e64 s25, 0, v48
	v_and_b32_e32 v43, exec_lo, v43
	v_not_b32_e32 v48, v52
	v_ashrrev_i32_e32 v45, 31, v45
	v_xor_b32_e32 v44, s24, v44
	v_cmp_gt_i32_e64 s24, 0, v52
	v_and_b32_e32 v43, v43, v57
	v_not_b32_e32 v52, v54
	v_ashrrev_i32_e32 v48, 31, v48
	v_xor_b32_e32 v45, s25, v45
	v_cmp_gt_i32_e64 s25, 0, v54
	v_and_b32_e32 v43, v43, v44
	;; [unrolled: 5-line block ×3, first 2 shown]
	v_not_b32_e32 v45, v49
	v_ashrrev_i32_e32 v44, 31, v44
	v_xor_b32_e32 v52, s25, v52
	v_mul_u32_u24_e32 v3, 9, v3
	v_and_b32_e32 v43, v43, v48
	v_cmp_gt_i32_e64 s25, 0, v49
	v_ashrrev_i32_e32 v48, 31, v45
	v_xor_b32_e32 v44, s24, v44
	v_add_lshl_u32 v45, v2, v3, 2
	v_and_b32_e32 v43, v43, v52
	s_delay_alu instid0(VALU_DEP_4) | instskip(NEXT) | instid1(VALU_DEP_2)
	v_xor_b32_e32 v3, s25, v48
	v_and_b32_e32 v44, v43, v44
	ds_load_b32 v43, v45 offset:32
	; wave barrier
	v_and_b32_e32 v3, v44, v3
	s_delay_alu instid0(VALU_DEP_1) | instskip(SKIP_1) | instid1(VALU_DEP_2)
	v_mbcnt_lo_u32_b32 v44, v3, 0
	v_cmp_ne_u32_e64 s25, 0, v3
	v_cmp_eq_u32_e64 s24, 0, v44
	s_delay_alu instid0(VALU_DEP_1) | instskip(NEXT) | instid1(SALU_CYCLE_1)
	s_and_b32 s25, s25, s24
	s_and_saveexec_b32 s24, s25
	s_cbranch_execz .LBB49_61
; %bb.60:
	s_waitcnt lgkmcnt(0)
	v_bcnt_u32_b32 v3, v3, v43
	ds_store_b32 v45, v3 offset:32
.LBB49_61:
	s_or_b32 exec_lo, exec_lo, s24
	v_xor_b32_e32 v42, 0xffffff80, v42
	; wave barrier
	s_delay_alu instid0(VALU_DEP_1) | instskip(NEXT) | instid1(VALU_DEP_1)
	v_and_b32_e32 v3, 0xff, v42
	v_lshrrev_b32_e32 v3, s60, v3
	s_delay_alu instid0(VALU_DEP_1) | instskip(NEXT) | instid1(VALU_DEP_1)
	v_and_b32_e32 v3, s68, v3
	v_and_b32_e32 v48, 1, v3
	v_lshlrev_b32_e32 v49, 30, v3
	v_lshlrev_b32_e32 v52, 29, v3
	;; [unrolled: 1-line block ×4, first 2 shown]
	v_add_co_u32 v48, s24, v48, -1
	s_delay_alu instid0(VALU_DEP_1)
	v_cndmask_b32_e64 v55, 0, 1, s24
	v_not_b32_e32 v61, v49
	v_cmp_gt_i32_e64 s25, 0, v49
	v_not_b32_e32 v49, v52
	v_lshlrev_b32_e32 v59, 26, v3
	v_cmp_ne_u32_e64 s24, 0, v55
	v_ashrrev_i32_e32 v61, 31, v61
	v_lshlrev_b32_e32 v60, 25, v3
	v_ashrrev_i32_e32 v49, 31, v49
	v_lshlrev_b32_e32 v55, 24, v3
	v_xor_b32_e32 v48, s24, v48
	v_cmp_gt_i32_e64 s24, 0, v52
	v_not_b32_e32 v52, v54
	v_xor_b32_e32 v61, s25, v61
	v_cmp_gt_i32_e64 s25, 0, v54
	v_and_b32_e32 v48, exec_lo, v48
	v_not_b32_e32 v54, v57
	v_ashrrev_i32_e32 v52, 31, v52
	v_xor_b32_e32 v49, s24, v49
	v_cmp_gt_i32_e64 s24, 0, v57
	v_and_b32_e32 v48, v48, v61
	v_not_b32_e32 v57, v59
	v_ashrrev_i32_e32 v54, 31, v54
	v_xor_b32_e32 v52, s25, v52
	v_cmp_gt_i32_e64 s25, 0, v59
	v_and_b32_e32 v48, v48, v49
	;; [unrolled: 5-line block ×3, first 2 shown]
	v_not_b32_e32 v52, v55
	v_ashrrev_i32_e32 v49, 31, v49
	v_xor_b32_e32 v57, s25, v57
	v_mul_u32_u24_e32 v3, 9, v3
	v_and_b32_e32 v48, v48, v54
	v_cmp_gt_i32_e64 s25, 0, v55
	v_ashrrev_i32_e32 v54, 31, v52
	v_xor_b32_e32 v49, s24, v49
	v_add_lshl_u32 v52, v2, v3, 2
	v_and_b32_e32 v48, v48, v57
	s_delay_alu instid0(VALU_DEP_4) | instskip(NEXT) | instid1(VALU_DEP_2)
	v_xor_b32_e32 v3, s25, v54
	v_and_b32_e32 v49, v48, v49
	ds_load_b32 v48, v52 offset:32
	; wave barrier
	v_and_b32_e32 v3, v49, v3
	s_delay_alu instid0(VALU_DEP_1) | instskip(SKIP_1) | instid1(VALU_DEP_2)
	v_mbcnt_lo_u32_b32 v49, v3, 0
	v_cmp_ne_u32_e64 s25, 0, v3
	v_cmp_eq_u32_e64 s24, 0, v49
	s_delay_alu instid0(VALU_DEP_1) | instskip(NEXT) | instid1(SALU_CYCLE_1)
	s_and_b32 s25, s25, s24
	s_and_saveexec_b32 s24, s25
	s_cbranch_execz .LBB49_63
; %bb.62:
	s_waitcnt lgkmcnt(0)
	v_bcnt_u32_b32 v3, v3, v48
	ds_store_b32 v52, v3 offset:32
.LBB49_63:
	s_or_b32 exec_lo, exec_lo, s24
	v_xor_b32_e32 v47, 0xffffff80, v47
	; wave barrier
	s_delay_alu instid0(VALU_DEP_1) | instskip(NEXT) | instid1(VALU_DEP_1)
	v_and_b32_e32 v3, 0xff, v47
	v_lshrrev_b32_e32 v3, s60, v3
	s_delay_alu instid0(VALU_DEP_1) | instskip(NEXT) | instid1(VALU_DEP_1)
	v_and_b32_e32 v3, s68, v3
	v_and_b32_e32 v54, 1, v3
	v_lshlrev_b32_e32 v55, 30, v3
	v_lshlrev_b32_e32 v57, 29, v3
	v_lshlrev_b32_e32 v59, 28, v3
	v_lshlrev_b32_e32 v61, 27, v3
	v_add_co_u32 v54, s24, v54, -1
	s_delay_alu instid0(VALU_DEP_1)
	v_cndmask_b32_e64 v60, 0, 1, s24
	v_not_b32_e32 v64, v55
	v_cmp_gt_i32_e64 s25, 0, v55
	v_not_b32_e32 v55, v57
	v_lshlrev_b32_e32 v62, 26, v3
	v_cmp_ne_u32_e64 s24, 0, v60
	v_ashrrev_i32_e32 v64, 31, v64
	v_lshlrev_b32_e32 v63, 25, v3
	v_ashrrev_i32_e32 v55, 31, v55
	v_lshlrev_b32_e32 v60, 24, v3
	v_xor_b32_e32 v54, s24, v54
	v_cmp_gt_i32_e64 s24, 0, v57
	v_not_b32_e32 v57, v59
	v_xor_b32_e32 v64, s25, v64
	v_cmp_gt_i32_e64 s25, 0, v59
	v_and_b32_e32 v54, exec_lo, v54
	v_not_b32_e32 v59, v61
	v_ashrrev_i32_e32 v57, 31, v57
	v_xor_b32_e32 v55, s24, v55
	v_cmp_gt_i32_e64 s24, 0, v61
	v_and_b32_e32 v54, v54, v64
	v_not_b32_e32 v61, v62
	v_ashrrev_i32_e32 v59, 31, v59
	v_xor_b32_e32 v57, s25, v57
	v_cmp_gt_i32_e64 s25, 0, v62
	v_and_b32_e32 v54, v54, v55
	;; [unrolled: 5-line block ×3, first 2 shown]
	v_not_b32_e32 v57, v60
	v_ashrrev_i32_e32 v55, 31, v55
	v_xor_b32_e32 v61, s25, v61
	v_mul_u32_u24_e32 v3, 9, v3
	v_and_b32_e32 v54, v54, v59
	v_cmp_gt_i32_e64 s25, 0, v60
	v_ashrrev_i32_e32 v59, 31, v57
	v_xor_b32_e32 v55, s24, v55
	v_add_lshl_u32 v57, v2, v3, 2
	v_and_b32_e32 v54, v54, v61
	s_delay_alu instid0(VALU_DEP_4) | instskip(NEXT) | instid1(VALU_DEP_2)
	v_xor_b32_e32 v3, s25, v59
	v_and_b32_e32 v55, v54, v55
	ds_load_b32 v54, v57 offset:32
	; wave barrier
	v_and_b32_e32 v3, v55, v3
	s_delay_alu instid0(VALU_DEP_1) | instskip(SKIP_1) | instid1(VALU_DEP_2)
	v_mbcnt_lo_u32_b32 v55, v3, 0
	v_cmp_ne_u32_e64 s25, 0, v3
	v_cmp_eq_u32_e64 s24, 0, v55
	s_delay_alu instid0(VALU_DEP_1) | instskip(NEXT) | instid1(SALU_CYCLE_1)
	s_and_b32 s25, s25, s24
	s_and_saveexec_b32 s24, s25
	s_cbranch_execz .LBB49_65
; %bb.64:
	s_waitcnt lgkmcnt(0)
	v_bcnt_u32_b32 v3, v3, v54
	ds_store_b32 v57, v3 offset:32
.LBB49_65:
	s_or_b32 exec_lo, exec_lo, s24
	v_xor_b32_e32 v53, 0xffffff80, v53
	; wave barrier
	s_delay_alu instid0(VALU_DEP_1) | instskip(NEXT) | instid1(VALU_DEP_1)
	v_and_b32_e32 v3, 0xff, v53
	v_lshrrev_b32_e32 v3, s60, v3
	s_delay_alu instid0(VALU_DEP_1) | instskip(NEXT) | instid1(VALU_DEP_1)
	v_and_b32_e32 v3, s68, v3
	v_and_b32_e32 v59, 1, v3
	v_lshlrev_b32_e32 v60, 30, v3
	v_lshlrev_b32_e32 v61, 29, v3
	;; [unrolled: 1-line block ×4, first 2 shown]
	v_add_co_u32 v59, s24, v59, -1
	s_delay_alu instid0(VALU_DEP_1)
	v_cndmask_b32_e64 v63, 0, 1, s24
	v_not_b32_e32 v67, v60
	v_cmp_gt_i32_e64 s25, 0, v60
	v_not_b32_e32 v60, v61
	v_lshlrev_b32_e32 v65, 26, v3
	v_cmp_ne_u32_e64 s24, 0, v63
	v_ashrrev_i32_e32 v67, 31, v67
	v_lshlrev_b32_e32 v66, 25, v3
	v_ashrrev_i32_e32 v60, 31, v60
	v_lshlrev_b32_e32 v63, 24, v3
	v_xor_b32_e32 v59, s24, v59
	v_cmp_gt_i32_e64 s24, 0, v61
	v_not_b32_e32 v61, v62
	v_xor_b32_e32 v67, s25, v67
	v_cmp_gt_i32_e64 s25, 0, v62
	v_and_b32_e32 v59, exec_lo, v59
	v_not_b32_e32 v62, v64
	v_ashrrev_i32_e32 v61, 31, v61
	v_xor_b32_e32 v60, s24, v60
	v_cmp_gt_i32_e64 s24, 0, v64
	v_and_b32_e32 v59, v59, v67
	v_not_b32_e32 v64, v65
	v_ashrrev_i32_e32 v62, 31, v62
	v_xor_b32_e32 v61, s25, v61
	v_cmp_gt_i32_e64 s25, 0, v65
	v_and_b32_e32 v59, v59, v60
	v_not_b32_e32 v60, v66
	v_ashrrev_i32_e32 v64, 31, v64
	v_xor_b32_e32 v62, s24, v62
	v_cmp_gt_i32_e64 s24, 0, v66
	v_and_b32_e32 v59, v59, v61
	v_not_b32_e32 v61, v63
	v_ashrrev_i32_e32 v60, 31, v60
	v_xor_b32_e32 v64, s25, v64
	v_mul_u32_u24_e32 v3, 9, v3
	v_and_b32_e32 v59, v59, v62
	v_cmp_gt_i32_e64 s25, 0, v63
	v_ashrrev_i32_e32 v62, 31, v61
	v_xor_b32_e32 v60, s24, v60
	v_add_lshl_u32 v61, v2, v3, 2
	v_and_b32_e32 v59, v59, v64
	s_delay_alu instid0(VALU_DEP_4) | instskip(NEXT) | instid1(VALU_DEP_2)
	v_xor_b32_e32 v3, s25, v62
	v_and_b32_e32 v60, v59, v60
	ds_load_b32 v59, v61 offset:32
	; wave barrier
	v_and_b32_e32 v3, v60, v3
	s_delay_alu instid0(VALU_DEP_1) | instskip(SKIP_1) | instid1(VALU_DEP_2)
	v_mbcnt_lo_u32_b32 v60, v3, 0
	v_cmp_ne_u32_e64 s25, 0, v3
	v_cmp_eq_u32_e64 s24, 0, v60
	s_delay_alu instid0(VALU_DEP_1) | instskip(NEXT) | instid1(SALU_CYCLE_1)
	s_and_b32 s25, s25, s24
	s_and_saveexec_b32 s24, s25
	s_cbranch_execz .LBB49_67
; %bb.66:
	s_waitcnt lgkmcnt(0)
	v_bcnt_u32_b32 v3, v3, v59
	ds_store_b32 v61, v3 offset:32
.LBB49_67:
	s_or_b32 exec_lo, exec_lo, s24
	v_xor_b32_e32 v58, 0xffffff80, v58
	; wave barrier
	s_delay_alu instid0(VALU_DEP_1) | instskip(NEXT) | instid1(VALU_DEP_1)
	v_and_b32_e32 v3, 0xff, v58
	v_lshrrev_b32_e32 v3, s60, v3
	s_delay_alu instid0(VALU_DEP_1) | instskip(NEXT) | instid1(VALU_DEP_1)
	v_and_b32_e32 v3, s68, v3
	v_and_b32_e32 v62, 1, v3
	v_lshlrev_b32_e32 v63, 30, v3
	v_lshlrev_b32_e32 v64, 29, v3
	;; [unrolled: 1-line block ×4, first 2 shown]
	v_add_co_u32 v62, s24, v62, -1
	s_delay_alu instid0(VALU_DEP_1)
	v_cndmask_b32_e64 v66, 0, 1, s24
	v_not_b32_e32 v70, v63
	v_cmp_gt_i32_e64 s25, 0, v63
	v_not_b32_e32 v63, v64
	v_lshlrev_b32_e32 v68, 26, v3
	v_cmp_ne_u32_e64 s24, 0, v66
	v_ashrrev_i32_e32 v70, 31, v70
	v_lshlrev_b32_e32 v69, 25, v3
	v_ashrrev_i32_e32 v63, 31, v63
	v_lshlrev_b32_e32 v66, 24, v3
	v_xor_b32_e32 v62, s24, v62
	v_cmp_gt_i32_e64 s24, 0, v64
	v_not_b32_e32 v64, v65
	v_xor_b32_e32 v70, s25, v70
	v_cmp_gt_i32_e64 s25, 0, v65
	v_and_b32_e32 v62, exec_lo, v62
	v_not_b32_e32 v65, v67
	v_ashrrev_i32_e32 v64, 31, v64
	v_xor_b32_e32 v63, s24, v63
	v_cmp_gt_i32_e64 s24, 0, v67
	v_and_b32_e32 v62, v62, v70
	v_not_b32_e32 v67, v68
	v_ashrrev_i32_e32 v65, 31, v65
	v_xor_b32_e32 v64, s25, v64
	v_cmp_gt_i32_e64 s25, 0, v68
	v_and_b32_e32 v62, v62, v63
	;; [unrolled: 5-line block ×3, first 2 shown]
	v_not_b32_e32 v64, v66
	v_ashrrev_i32_e32 v63, 31, v63
	v_xor_b32_e32 v67, s25, v67
	v_mul_u32_u24_e32 v3, 9, v3
	v_and_b32_e32 v62, v62, v65
	v_cmp_gt_i32_e64 s25, 0, v66
	v_ashrrev_i32_e32 v65, 31, v64
	v_xor_b32_e32 v63, s24, v63
	v_add_lshl_u32 v64, v2, v3, 2
	v_and_b32_e32 v62, v62, v67
	s_delay_alu instid0(VALU_DEP_4) | instskip(NEXT) | instid1(VALU_DEP_2)
	v_xor_b32_e32 v3, s25, v65
	v_and_b32_e32 v63, v62, v63
	ds_load_b32 v62, v64 offset:32
	; wave barrier
	v_and_b32_e32 v3, v63, v3
	s_delay_alu instid0(VALU_DEP_1) | instskip(SKIP_1) | instid1(VALU_DEP_2)
	v_mbcnt_lo_u32_b32 v63, v3, 0
	v_cmp_ne_u32_e64 s25, 0, v3
	v_cmp_eq_u32_e64 s24, 0, v63
	s_delay_alu instid0(VALU_DEP_1) | instskip(NEXT) | instid1(SALU_CYCLE_1)
	s_and_b32 s25, s25, s24
	s_and_saveexec_b32 s24, s25
	s_cbranch_execz .LBB49_69
; %bb.68:
	s_waitcnt lgkmcnt(0)
	v_bcnt_u32_b32 v3, v3, v62
	ds_store_b32 v64, v3 offset:32
.LBB49_69:
	s_or_b32 exec_lo, exec_lo, s24
	v_xor_b32_e32 v56, 0xffffff80, v56
	; wave barrier
	s_delay_alu instid0(VALU_DEP_1) | instskip(NEXT) | instid1(VALU_DEP_1)
	v_and_b32_e32 v3, 0xff, v56
	v_lshrrev_b32_e32 v3, s60, v3
	s_delay_alu instid0(VALU_DEP_1) | instskip(NEXT) | instid1(VALU_DEP_1)
	v_and_b32_e32 v3, s68, v3
	v_and_b32_e32 v65, 1, v3
	v_lshlrev_b32_e32 v66, 30, v3
	v_lshlrev_b32_e32 v67, 29, v3
	;; [unrolled: 1-line block ×4, first 2 shown]
	v_add_co_u32 v65, s24, v65, -1
	s_delay_alu instid0(VALU_DEP_1)
	v_cndmask_b32_e64 v69, 0, 1, s24
	v_not_b32_e32 v73, v66
	v_cmp_gt_i32_e64 s25, 0, v66
	v_not_b32_e32 v66, v67
	v_lshlrev_b32_e32 v71, 26, v3
	v_cmp_ne_u32_e64 s24, 0, v69
	v_ashrrev_i32_e32 v73, 31, v73
	v_lshlrev_b32_e32 v72, 25, v3
	v_ashrrev_i32_e32 v66, 31, v66
	v_lshlrev_b32_e32 v69, 24, v3
	v_xor_b32_e32 v65, s24, v65
	v_cmp_gt_i32_e64 s24, 0, v67
	v_not_b32_e32 v67, v68
	v_xor_b32_e32 v73, s25, v73
	v_cmp_gt_i32_e64 s25, 0, v68
	v_and_b32_e32 v65, exec_lo, v65
	v_not_b32_e32 v68, v70
	v_ashrrev_i32_e32 v67, 31, v67
	v_xor_b32_e32 v66, s24, v66
	v_cmp_gt_i32_e64 s24, 0, v70
	v_and_b32_e32 v65, v65, v73
	v_not_b32_e32 v70, v71
	v_ashrrev_i32_e32 v68, 31, v68
	v_xor_b32_e32 v67, s25, v67
	v_cmp_gt_i32_e64 s25, 0, v71
	v_and_b32_e32 v65, v65, v66
	;; [unrolled: 5-line block ×3, first 2 shown]
	v_not_b32_e32 v67, v69
	v_ashrrev_i32_e32 v66, 31, v66
	v_xor_b32_e32 v70, s25, v70
	v_mul_u32_u24_e32 v3, 9, v3
	v_and_b32_e32 v65, v65, v68
	v_cmp_gt_i32_e64 s25, 0, v69
	v_ashrrev_i32_e32 v67, 31, v67
	v_xor_b32_e32 v68, s24, v66
	v_add_lshl_u32 v66, v2, v3, 2
	v_and_b32_e32 v65, v65, v70
	s_delay_alu instid0(VALU_DEP_4) | instskip(NEXT) | instid1(VALU_DEP_2)
	v_xor_b32_e32 v3, s25, v67
	v_and_b32_e32 v67, v65, v68
	ds_load_b32 v65, v66 offset:32
	; wave barrier
	v_and_b32_e32 v3, v67, v3
	s_delay_alu instid0(VALU_DEP_1) | instskip(SKIP_1) | instid1(VALU_DEP_2)
	v_mbcnt_lo_u32_b32 v78, v3, 0
	v_cmp_ne_u32_e64 s25, 0, v3
	v_cmp_eq_u32_e64 s24, 0, v78
	s_delay_alu instid0(VALU_DEP_1) | instskip(NEXT) | instid1(SALU_CYCLE_1)
	s_and_b32 s25, s25, s24
	s_and_saveexec_b32 s24, s25
	s_cbranch_execz .LBB49_71
; %bb.70:
	s_waitcnt lgkmcnt(0)
	v_bcnt_u32_b32 v3, v3, v65
	ds_store_b32 v66, v3 offset:32
.LBB49_71:
	s_or_b32 exec_lo, exec_lo, s24
	v_xor_b32_e32 v50, 0xffffff80, v50
	; wave barrier
	s_delay_alu instid0(VALU_DEP_1) | instskip(NEXT) | instid1(VALU_DEP_1)
	v_and_b32_e32 v3, 0xff, v50
	v_lshrrev_b32_e32 v3, s60, v3
	s_delay_alu instid0(VALU_DEP_1) | instskip(NEXT) | instid1(VALU_DEP_1)
	v_and_b32_e32 v3, s68, v3
	v_and_b32_e32 v67, 1, v3
	v_lshlrev_b32_e32 v68, 30, v3
	v_lshlrev_b32_e32 v69, 29, v3
	;; [unrolled: 1-line block ×4, first 2 shown]
	v_add_co_u32 v67, s24, v67, -1
	s_delay_alu instid0(VALU_DEP_1)
	v_cndmask_b32_e64 v71, 0, 1, s24
	v_not_b32_e32 v75, v68
	v_cmp_gt_i32_e64 s25, 0, v68
	v_not_b32_e32 v68, v69
	v_lshlrev_b32_e32 v73, 26, v3
	v_cmp_ne_u32_e64 s24, 0, v71
	v_ashrrev_i32_e32 v75, 31, v75
	v_lshlrev_b32_e32 v74, 25, v3
	v_ashrrev_i32_e32 v68, 31, v68
	v_lshlrev_b32_e32 v71, 24, v3
	v_xor_b32_e32 v67, s24, v67
	v_cmp_gt_i32_e64 s24, 0, v69
	v_not_b32_e32 v69, v70
	v_xor_b32_e32 v75, s25, v75
	v_cmp_gt_i32_e64 s25, 0, v70
	v_and_b32_e32 v67, exec_lo, v67
	v_not_b32_e32 v70, v72
	v_ashrrev_i32_e32 v69, 31, v69
	v_xor_b32_e32 v68, s24, v68
	v_cmp_gt_i32_e64 s24, 0, v72
	v_and_b32_e32 v67, v67, v75
	v_not_b32_e32 v72, v73
	v_ashrrev_i32_e32 v70, 31, v70
	v_xor_b32_e32 v69, s25, v69
	v_cmp_gt_i32_e64 s25, 0, v73
	v_and_b32_e32 v67, v67, v68
	;; [unrolled: 5-line block ×3, first 2 shown]
	v_not_b32_e32 v69, v71
	v_ashrrev_i32_e32 v68, 31, v68
	v_xor_b32_e32 v72, s25, v72
	v_mul_u32_u24_e32 v3, 9, v3
	v_and_b32_e32 v67, v67, v70
	v_cmp_gt_i32_e64 s25, 0, v71
	v_ashrrev_i32_e32 v69, 31, v69
	v_xor_b32_e32 v68, s24, v68
	s_delay_alu instid0(VALU_DEP_4) | instskip(SKIP_1) | instid1(VALU_DEP_4)
	v_and_b32_e32 v70, v67, v72
	v_add_lshl_u32 v67, v2, v3, 2
	v_xor_b32_e32 v3, s25, v69
	s_delay_alu instid0(VALU_DEP_3) | instskip(SKIP_2) | instid1(VALU_DEP_1)
	v_and_b32_e32 v68, v70, v68
	ds_load_b32 v79, v67 offset:32
	; wave barrier
	v_and_b32_e32 v3, v68, v3
	v_mbcnt_lo_u32_b32 v80, v3, 0
	v_cmp_ne_u32_e64 s25, 0, v3
	s_delay_alu instid0(VALU_DEP_2) | instskip(NEXT) | instid1(VALU_DEP_1)
	v_cmp_eq_u32_e64 s24, 0, v80
	s_and_b32 s25, s25, s24
	s_delay_alu instid0(SALU_CYCLE_1)
	s_and_saveexec_b32 s24, s25
	s_cbranch_execz .LBB49_73
; %bb.72:
	s_waitcnt lgkmcnt(0)
	v_bcnt_u32_b32 v3, v3, v79
	ds_store_b32 v67, v3 offset:32
.LBB49_73:
	s_or_b32 exec_lo, exec_lo, s24
	v_xor_b32_e32 v46, 0xffffff80, v46
	; wave barrier
	s_delay_alu instid0(VALU_DEP_1) | instskip(NEXT) | instid1(VALU_DEP_1)
	v_and_b32_e32 v3, 0xff, v46
	v_lshrrev_b32_e32 v3, s60, v3
	s_delay_alu instid0(VALU_DEP_1) | instskip(NEXT) | instid1(VALU_DEP_1)
	v_and_b32_e32 v3, s68, v3
	v_and_b32_e32 v68, 1, v3
	v_lshlrev_b32_e32 v69, 30, v3
	v_lshlrev_b32_e32 v70, 29, v3
	;; [unrolled: 1-line block ×4, first 2 shown]
	v_add_co_u32 v68, s24, v68, -1
	s_delay_alu instid0(VALU_DEP_1)
	v_cndmask_b32_e64 v72, 0, 1, s24
	v_not_b32_e32 v76, v69
	v_cmp_gt_i32_e64 s25, 0, v69
	v_not_b32_e32 v69, v70
	v_lshlrev_b32_e32 v74, 26, v3
	v_cmp_ne_u32_e64 s24, 0, v72
	v_ashrrev_i32_e32 v76, 31, v76
	v_lshlrev_b32_e32 v75, 25, v3
	v_ashrrev_i32_e32 v69, 31, v69
	v_lshlrev_b32_e32 v72, 24, v3
	v_xor_b32_e32 v68, s24, v68
	v_cmp_gt_i32_e64 s24, 0, v70
	v_not_b32_e32 v70, v71
	v_xor_b32_e32 v76, s25, v76
	v_cmp_gt_i32_e64 s25, 0, v71
	v_and_b32_e32 v68, exec_lo, v68
	v_not_b32_e32 v71, v73
	v_ashrrev_i32_e32 v70, 31, v70
	v_xor_b32_e32 v69, s24, v69
	v_cmp_gt_i32_e64 s24, 0, v73
	v_and_b32_e32 v68, v68, v76
	v_not_b32_e32 v73, v74
	v_ashrrev_i32_e32 v71, 31, v71
	v_xor_b32_e32 v70, s25, v70
	v_cmp_gt_i32_e64 s25, 0, v74
	v_and_b32_e32 v68, v68, v69
	v_not_b32_e32 v69, v75
	v_ashrrev_i32_e32 v73, 31, v73
	v_xor_b32_e32 v71, s24, v71
	v_cmp_gt_i32_e64 s24, 0, v75
	v_and_b32_e32 v68, v68, v70
	v_not_b32_e32 v70, v72
	v_ashrrev_i32_e32 v69, 31, v69
	v_xor_b32_e32 v73, s25, v73
	v_mul_u32_u24_e32 v3, 9, v3
	v_and_b32_e32 v68, v68, v71
	v_cmp_gt_i32_e64 s25, 0, v72
	v_ashrrev_i32_e32 v70, 31, v70
	v_xor_b32_e32 v69, s24, v69
	s_delay_alu instid0(VALU_DEP_4) | instskip(SKIP_1) | instid1(VALU_DEP_4)
	v_and_b32_e32 v71, v68, v73
	v_add_lshl_u32 v68, v2, v3, 2
	v_xor_b32_e32 v3, s25, v70
	s_delay_alu instid0(VALU_DEP_3) | instskip(SKIP_2) | instid1(VALU_DEP_1)
	v_and_b32_e32 v69, v71, v69
	ds_load_b32 v81, v68 offset:32
	; wave barrier
	v_and_b32_e32 v3, v69, v3
	v_mbcnt_lo_u32_b32 v82, v3, 0
	v_cmp_ne_u32_e64 s25, 0, v3
	s_delay_alu instid0(VALU_DEP_2) | instskip(NEXT) | instid1(VALU_DEP_1)
	v_cmp_eq_u32_e64 s24, 0, v82
	s_and_b32 s25, s25, s24
	s_delay_alu instid0(SALU_CYCLE_1)
	s_and_saveexec_b32 s24, s25
	s_cbranch_execz .LBB49_75
; %bb.74:
	s_waitcnt lgkmcnt(0)
	v_bcnt_u32_b32 v3, v3, v81
	ds_store_b32 v68, v3 offset:32
.LBB49_75:
	s_or_b32 exec_lo, exec_lo, s24
	v_xor_b32_e32 v41, 0xffffff80, v41
	; wave barrier
	s_delay_alu instid0(VALU_DEP_1) | instskip(NEXT) | instid1(VALU_DEP_1)
	v_and_b32_e32 v3, 0xff, v41
	v_lshrrev_b32_e32 v3, s60, v3
	s_delay_alu instid0(VALU_DEP_1) | instskip(NEXT) | instid1(VALU_DEP_1)
	v_and_b32_e32 v3, s68, v3
	v_and_b32_e32 v69, 1, v3
	v_lshlrev_b32_e32 v70, 30, v3
	v_lshlrev_b32_e32 v71, 29, v3
	;; [unrolled: 1-line block ×4, first 2 shown]
	v_add_co_u32 v69, s24, v69, -1
	s_delay_alu instid0(VALU_DEP_1)
	v_cndmask_b32_e64 v73, 0, 1, s24
	v_not_b32_e32 v77, v70
	v_cmp_gt_i32_e64 s25, 0, v70
	v_not_b32_e32 v70, v71
	v_lshlrev_b32_e32 v75, 26, v3
	v_cmp_ne_u32_e64 s24, 0, v73
	v_ashrrev_i32_e32 v77, 31, v77
	v_lshlrev_b32_e32 v76, 25, v3
	v_ashrrev_i32_e32 v70, 31, v70
	v_lshlrev_b32_e32 v73, 24, v3
	v_xor_b32_e32 v69, s24, v69
	v_cmp_gt_i32_e64 s24, 0, v71
	v_not_b32_e32 v71, v72
	v_xor_b32_e32 v77, s25, v77
	v_cmp_gt_i32_e64 s25, 0, v72
	v_and_b32_e32 v69, exec_lo, v69
	v_not_b32_e32 v72, v74
	v_ashrrev_i32_e32 v71, 31, v71
	v_xor_b32_e32 v70, s24, v70
	v_cmp_gt_i32_e64 s24, 0, v74
	v_and_b32_e32 v69, v69, v77
	v_not_b32_e32 v74, v75
	v_ashrrev_i32_e32 v72, 31, v72
	v_xor_b32_e32 v71, s25, v71
	v_cmp_gt_i32_e64 s25, 0, v75
	v_and_b32_e32 v69, v69, v70
	;; [unrolled: 5-line block ×3, first 2 shown]
	v_not_b32_e32 v71, v73
	v_ashrrev_i32_e32 v70, 31, v70
	v_xor_b32_e32 v74, s25, v74
	v_mul_u32_u24_e32 v3, 9, v3
	v_and_b32_e32 v69, v69, v72
	v_cmp_gt_i32_e64 s25, 0, v73
	v_ashrrev_i32_e32 v71, 31, v71
	v_xor_b32_e32 v70, s24, v70
	s_delay_alu instid0(VALU_DEP_4) | instskip(SKIP_1) | instid1(VALU_DEP_4)
	v_and_b32_e32 v72, v69, v74
	v_add_lshl_u32 v69, v2, v3, 2
	v_xor_b32_e32 v3, s25, v71
	s_delay_alu instid0(VALU_DEP_3) | instskip(SKIP_2) | instid1(VALU_DEP_1)
	v_and_b32_e32 v70, v72, v70
	ds_load_b32 v84, v69 offset:32
	; wave barrier
	v_and_b32_e32 v3, v70, v3
	v_mbcnt_lo_u32_b32 v85, v3, 0
	v_cmp_ne_u32_e64 s25, 0, v3
	s_delay_alu instid0(VALU_DEP_2) | instskip(NEXT) | instid1(VALU_DEP_1)
	v_cmp_eq_u32_e64 s24, 0, v85
	s_and_b32 s25, s25, s24
	s_delay_alu instid0(SALU_CYCLE_1)
	s_and_saveexec_b32 s24, s25
	s_cbranch_execz .LBB49_77
; %bb.76:
	s_waitcnt lgkmcnt(0)
	v_bcnt_u32_b32 v3, v3, v84
	ds_store_b32 v69, v3 offset:32
.LBB49_77:
	s_or_b32 exec_lo, exec_lo, s24
	v_xor_b32_e32 v83, 0xffffff80, v9
	; wave barrier
	s_delay_alu instid0(VALU_DEP_1) | instskip(NEXT) | instid1(VALU_DEP_1)
	v_and_b32_e32 v3, 0xff, v83
	v_lshrrev_b32_e32 v3, s60, v3
	s_delay_alu instid0(VALU_DEP_1) | instskip(NEXT) | instid1(VALU_DEP_1)
	v_and_b32_e32 v3, s68, v3
	v_and_b32_e32 v9, 1, v3
	v_lshlrev_b32_e32 v70, 30, v3
	v_lshlrev_b32_e32 v71, 29, v3
	;; [unrolled: 1-line block ×4, first 2 shown]
	v_add_co_u32 v9, s24, v9, -1
	s_delay_alu instid0(VALU_DEP_1)
	v_cndmask_b32_e64 v73, 0, 1, s24
	v_not_b32_e32 v77, v70
	v_cmp_gt_i32_e64 s25, 0, v70
	v_not_b32_e32 v70, v71
	v_lshlrev_b32_e32 v75, 26, v3
	v_cmp_ne_u32_e64 s24, 0, v73
	v_ashrrev_i32_e32 v77, 31, v77
	v_lshlrev_b32_e32 v76, 25, v3
	v_ashrrev_i32_e32 v70, 31, v70
	v_lshlrev_b32_e32 v73, 24, v3
	v_xor_b32_e32 v9, s24, v9
	v_cmp_gt_i32_e64 s24, 0, v71
	v_not_b32_e32 v71, v72
	v_xor_b32_e32 v77, s25, v77
	v_cmp_gt_i32_e64 s25, 0, v72
	v_and_b32_e32 v9, exec_lo, v9
	v_not_b32_e32 v72, v74
	v_ashrrev_i32_e32 v71, 31, v71
	v_xor_b32_e32 v70, s24, v70
	v_cmp_gt_i32_e64 s24, 0, v74
	v_and_b32_e32 v9, v9, v77
	v_not_b32_e32 v74, v75
	v_ashrrev_i32_e32 v72, 31, v72
	v_xor_b32_e32 v71, s25, v71
	v_cmp_gt_i32_e64 s25, 0, v75
	v_and_b32_e32 v9, v9, v70
	;; [unrolled: 5-line block ×3, first 2 shown]
	v_not_b32_e32 v71, v73
	v_ashrrev_i32_e32 v70, 31, v70
	v_xor_b32_e32 v74, s25, v74
	v_mul_u32_u24_e32 v3, 9, v3
	v_and_b32_e32 v9, v9, v72
	v_cmp_gt_i32_e64 s25, 0, v73
	v_ashrrev_i32_e32 v71, 31, v71
	v_xor_b32_e32 v72, s24, v70
	v_add_lshl_u32 v70, v2, v3, 2
	v_and_b32_e32 v9, v9, v74
	s_delay_alu instid0(VALU_DEP_4) | instskip(SKIP_2) | instid1(VALU_DEP_1)
	v_xor_b32_e32 v3, s25, v71
	ds_load_b32 v87, v70 offset:32
	v_and_b32_e32 v9, v9, v72
	; wave barrier
	v_and_b32_e32 v3, v9, v3
	s_delay_alu instid0(VALU_DEP_1) | instskip(SKIP_1) | instid1(VALU_DEP_2)
	v_mbcnt_lo_u32_b32 v88, v3, 0
	v_cmp_ne_u32_e64 s25, 0, v3
	v_cmp_eq_u32_e64 s24, 0, v88
	s_delay_alu instid0(VALU_DEP_1) | instskip(NEXT) | instid1(SALU_CYCLE_1)
	s_and_b32 s25, s25, s24
	s_and_saveexec_b32 s24, s25
	s_cbranch_execz .LBB49_79
; %bb.78:
	s_waitcnt lgkmcnt(0)
	v_bcnt_u32_b32 v3, v3, v87
	ds_store_b32 v70, v3 offset:32
.LBB49_79:
	s_or_b32 exec_lo, exec_lo, s24
	v_xor_b32_e32 v86, 0xffffff80, v8
	; wave barrier
	s_delay_alu instid0(VALU_DEP_1) | instskip(NEXT) | instid1(VALU_DEP_1)
	v_and_b32_e32 v3, 0xff, v86
	v_lshrrev_b32_e32 v3, s60, v3
	s_delay_alu instid0(VALU_DEP_1) | instskip(NEXT) | instid1(VALU_DEP_1)
	v_and_b32_e32 v3, s68, v3
	v_and_b32_e32 v8, 1, v3
	v_lshlrev_b32_e32 v9, 30, v3
	v_lshlrev_b32_e32 v71, 29, v3
	;; [unrolled: 1-line block ×4, first 2 shown]
	v_add_co_u32 v8, s24, v8, -1
	s_delay_alu instid0(VALU_DEP_1)
	v_cndmask_b32_e64 v73, 0, 1, s24
	v_not_b32_e32 v77, v9
	v_cmp_gt_i32_e64 s25, 0, v9
	v_not_b32_e32 v9, v71
	v_lshlrev_b32_e32 v75, 26, v3
	v_cmp_ne_u32_e64 s24, 0, v73
	v_ashrrev_i32_e32 v77, 31, v77
	v_lshlrev_b32_e32 v76, 25, v3
	v_ashrrev_i32_e32 v9, 31, v9
	v_lshlrev_b32_e32 v73, 24, v3
	v_xor_b32_e32 v8, s24, v8
	v_cmp_gt_i32_e64 s24, 0, v71
	v_not_b32_e32 v71, v72
	v_xor_b32_e32 v77, s25, v77
	v_cmp_gt_i32_e64 s25, 0, v72
	v_and_b32_e32 v8, exec_lo, v8
	v_not_b32_e32 v72, v74
	v_ashrrev_i32_e32 v71, 31, v71
	v_xor_b32_e32 v9, s24, v9
	v_cmp_gt_i32_e64 s24, 0, v74
	v_and_b32_e32 v8, v8, v77
	v_not_b32_e32 v74, v75
	v_ashrrev_i32_e32 v72, 31, v72
	v_xor_b32_e32 v71, s25, v71
	v_cmp_gt_i32_e64 s25, 0, v75
	v_and_b32_e32 v8, v8, v9
	;; [unrolled: 5-line block ×3, first 2 shown]
	v_not_b32_e32 v71, v73
	v_ashrrev_i32_e32 v9, 31, v9
	v_xor_b32_e32 v74, s25, v74
	v_mul_u32_u24_e32 v3, 9, v3
	v_and_b32_e32 v8, v8, v72
	v_cmp_gt_i32_e64 s25, 0, v73
	v_ashrrev_i32_e32 v72, 31, v71
	v_xor_b32_e32 v9, s24, v9
	v_add_lshl_u32 v71, v2, v3, 2
	v_and_b32_e32 v8, v8, v74
	s_delay_alu instid0(VALU_DEP_4) | instskip(SKIP_2) | instid1(VALU_DEP_1)
	v_xor_b32_e32 v3, s25, v72
	ds_load_b32 v90, v71 offset:32
	v_and_b32_e32 v8, v8, v9
	; wave barrier
	v_and_b32_e32 v3, v8, v3
	s_delay_alu instid0(VALU_DEP_1) | instskip(SKIP_1) | instid1(VALU_DEP_2)
	v_mbcnt_lo_u32_b32 v91, v3, 0
	v_cmp_ne_u32_e64 s25, 0, v3
	v_cmp_eq_u32_e64 s24, 0, v91
	s_delay_alu instid0(VALU_DEP_1) | instskip(NEXT) | instid1(SALU_CYCLE_1)
	s_and_b32 s25, s25, s24
	s_and_saveexec_b32 s24, s25
	s_cbranch_execz .LBB49_81
; %bb.80:
	s_waitcnt lgkmcnt(0)
	v_bcnt_u32_b32 v3, v3, v90
	ds_store_b32 v71, v3 offset:32
.LBB49_81:
	s_or_b32 exec_lo, exec_lo, s24
	v_xor_b32_e32 v89, 0xffffff80, v7
	; wave barrier
	s_delay_alu instid0(VALU_DEP_1) | instskip(NEXT) | instid1(VALU_DEP_1)
	v_and_b32_e32 v3, 0xff, v89
	v_lshrrev_b32_e32 v3, s60, v3
	s_delay_alu instid0(VALU_DEP_1) | instskip(NEXT) | instid1(VALU_DEP_1)
	v_and_b32_e32 v3, s68, v3
	v_and_b32_e32 v7, 1, v3
	v_lshlrev_b32_e32 v8, 30, v3
	v_lshlrev_b32_e32 v9, 29, v3
	;; [unrolled: 1-line block ×4, first 2 shown]
	v_add_co_u32 v7, s24, v7, -1
	s_delay_alu instid0(VALU_DEP_1)
	v_cndmask_b32_e64 v73, 0, 1, s24
	v_not_b32_e32 v77, v8
	v_cmp_gt_i32_e64 s25, 0, v8
	v_not_b32_e32 v8, v9
	v_lshlrev_b32_e32 v75, 26, v3
	v_cmp_ne_u32_e64 s24, 0, v73
	v_ashrrev_i32_e32 v77, 31, v77
	v_lshlrev_b32_e32 v76, 25, v3
	v_ashrrev_i32_e32 v8, 31, v8
	v_lshlrev_b32_e32 v73, 24, v3
	v_xor_b32_e32 v7, s24, v7
	v_cmp_gt_i32_e64 s24, 0, v9
	v_not_b32_e32 v9, v72
	v_xor_b32_e32 v77, s25, v77
	v_cmp_gt_i32_e64 s25, 0, v72
	v_and_b32_e32 v7, exec_lo, v7
	v_not_b32_e32 v72, v74
	v_ashrrev_i32_e32 v9, 31, v9
	v_xor_b32_e32 v8, s24, v8
	v_cmp_gt_i32_e64 s24, 0, v74
	v_and_b32_e32 v7, v7, v77
	v_not_b32_e32 v74, v75
	v_ashrrev_i32_e32 v72, 31, v72
	v_xor_b32_e32 v9, s25, v9
	v_cmp_gt_i32_e64 s25, 0, v75
	v_and_b32_e32 v7, v7, v8
	;; [unrolled: 5-line block ×3, first 2 shown]
	v_not_b32_e32 v9, v73
	v_ashrrev_i32_e32 v8, 31, v8
	v_xor_b32_e32 v74, s25, v74
	v_mul_u32_u24_e32 v3, 9, v3
	v_and_b32_e32 v7, v7, v72
	v_cmp_gt_i32_e64 s25, 0, v73
	v_ashrrev_i32_e32 v9, 31, v9
	v_xor_b32_e32 v8, s24, v8
	v_add_lshl_u32 v72, v2, v3, 2
	v_and_b32_e32 v7, v7, v74
	s_delay_alu instid0(VALU_DEP_4) | instskip(SKIP_2) | instid1(VALU_DEP_1)
	v_xor_b32_e32 v3, s25, v9
	ds_load_b32 v93, v72 offset:32
	v_and_b32_e32 v7, v7, v8
	; wave barrier
	v_and_b32_e32 v3, v7, v3
	s_delay_alu instid0(VALU_DEP_1) | instskip(SKIP_1) | instid1(VALU_DEP_2)
	v_mbcnt_lo_u32_b32 v94, v3, 0
	v_cmp_ne_u32_e64 s25, 0, v3
	v_cmp_eq_u32_e64 s24, 0, v94
	s_delay_alu instid0(VALU_DEP_1) | instskip(NEXT) | instid1(SALU_CYCLE_1)
	s_and_b32 s25, s25, s24
	s_and_saveexec_b32 s24, s25
	s_cbranch_execz .LBB49_83
; %bb.82:
	s_waitcnt lgkmcnt(0)
	v_bcnt_u32_b32 v3, v3, v93
	ds_store_b32 v72, v3 offset:32
.LBB49_83:
	s_or_b32 exec_lo, exec_lo, s24
	v_xor_b32_e32 v92, 0xffffff80, v6
	; wave barrier
	s_delay_alu instid0(VALU_DEP_1) | instskip(NEXT) | instid1(VALU_DEP_1)
	v_and_b32_e32 v3, 0xff, v92
	v_lshrrev_b32_e32 v3, s60, v3
	s_delay_alu instid0(VALU_DEP_1) | instskip(NEXT) | instid1(VALU_DEP_1)
	v_and_b32_e32 v3, s68, v3
	v_and_b32_e32 v6, 1, v3
	v_lshlrev_b32_e32 v7, 30, v3
	v_lshlrev_b32_e32 v8, 29, v3
	;; [unrolled: 1-line block ×4, first 2 shown]
	v_add_co_u32 v6, s24, v6, -1
	s_delay_alu instid0(VALU_DEP_1)
	v_cndmask_b32_e64 v73, 0, 1, s24
	v_not_b32_e32 v77, v7
	v_cmp_gt_i32_e64 s25, 0, v7
	v_not_b32_e32 v7, v8
	v_lshlrev_b32_e32 v75, 26, v3
	v_cmp_ne_u32_e64 s24, 0, v73
	v_ashrrev_i32_e32 v77, 31, v77
	v_lshlrev_b32_e32 v76, 25, v3
	v_ashrrev_i32_e32 v7, 31, v7
	v_lshlrev_b32_e32 v73, 24, v3
	v_xor_b32_e32 v6, s24, v6
	v_cmp_gt_i32_e64 s24, 0, v8
	v_not_b32_e32 v8, v9
	v_xor_b32_e32 v77, s25, v77
	v_cmp_gt_i32_e64 s25, 0, v9
	v_and_b32_e32 v6, exec_lo, v6
	v_not_b32_e32 v9, v74
	v_ashrrev_i32_e32 v8, 31, v8
	v_xor_b32_e32 v7, s24, v7
	v_cmp_gt_i32_e64 s24, 0, v74
	v_and_b32_e32 v6, v6, v77
	v_not_b32_e32 v74, v75
	v_ashrrev_i32_e32 v9, 31, v9
	v_xor_b32_e32 v8, s25, v8
	v_cmp_gt_i32_e64 s25, 0, v75
	v_and_b32_e32 v6, v6, v7
	;; [unrolled: 5-line block ×3, first 2 shown]
	v_not_b32_e32 v8, v73
	v_ashrrev_i32_e32 v7, 31, v7
	v_xor_b32_e32 v74, s25, v74
	v_mul_u32_u24_e32 v3, 9, v3
	v_and_b32_e32 v6, v6, v9
	v_cmp_gt_i32_e64 s25, 0, v73
	v_ashrrev_i32_e32 v8, 31, v8
	v_xor_b32_e32 v7, s24, v7
	v_add_lshl_u32 v73, v2, v3, 2
	v_and_b32_e32 v6, v6, v74
	s_delay_alu instid0(VALU_DEP_4) | instskip(SKIP_2) | instid1(VALU_DEP_1)
	v_xor_b32_e32 v3, s25, v8
	ds_load_b32 v96, v73 offset:32
	v_and_b32_e32 v6, v6, v7
	; wave barrier
	v_and_b32_e32 v3, v6, v3
	s_delay_alu instid0(VALU_DEP_1) | instskip(SKIP_1) | instid1(VALU_DEP_2)
	v_mbcnt_lo_u32_b32 v97, v3, 0
	v_cmp_ne_u32_e64 s25, 0, v3
	v_cmp_eq_u32_e64 s24, 0, v97
	s_delay_alu instid0(VALU_DEP_1) | instskip(NEXT) | instid1(SALU_CYCLE_1)
	s_and_b32 s25, s25, s24
	s_and_saveexec_b32 s24, s25
	s_cbranch_execz .LBB49_85
; %bb.84:
	s_waitcnt lgkmcnt(0)
	v_bcnt_u32_b32 v3, v3, v96
	ds_store_b32 v73, v3 offset:32
.LBB49_85:
	s_or_b32 exec_lo, exec_lo, s24
	v_xor_b32_e32 v95, 0xffffff80, v5
	; wave barrier
	s_delay_alu instid0(VALU_DEP_1) | instskip(NEXT) | instid1(VALU_DEP_1)
	v_and_b32_e32 v3, 0xff, v95
	v_lshrrev_b32_e32 v3, s60, v3
	s_delay_alu instid0(VALU_DEP_1) | instskip(NEXT) | instid1(VALU_DEP_1)
	v_and_b32_e32 v3, s68, v3
	v_and_b32_e32 v5, 1, v3
	v_lshlrev_b32_e32 v6, 30, v3
	v_lshlrev_b32_e32 v7, 29, v3
	;; [unrolled: 1-line block ×4, first 2 shown]
	v_add_co_u32 v5, s24, v5, -1
	s_delay_alu instid0(VALU_DEP_1)
	v_cndmask_b32_e64 v9, 0, 1, s24
	v_not_b32_e32 v77, v6
	v_cmp_gt_i32_e64 s25, 0, v6
	v_not_b32_e32 v6, v7
	v_lshlrev_b32_e32 v75, 26, v3
	v_cmp_ne_u32_e64 s24, 0, v9
	v_ashrrev_i32_e32 v77, 31, v77
	v_lshlrev_b32_e32 v76, 25, v3
	v_ashrrev_i32_e32 v6, 31, v6
	v_lshlrev_b32_e32 v9, 24, v3
	v_xor_b32_e32 v5, s24, v5
	v_cmp_gt_i32_e64 s24, 0, v7
	v_not_b32_e32 v7, v8
	v_xor_b32_e32 v77, s25, v77
	v_cmp_gt_i32_e64 s25, 0, v8
	v_and_b32_e32 v5, exec_lo, v5
	v_not_b32_e32 v8, v74
	v_ashrrev_i32_e32 v7, 31, v7
	v_xor_b32_e32 v6, s24, v6
	v_cmp_gt_i32_e64 s24, 0, v74
	v_and_b32_e32 v5, v5, v77
	v_not_b32_e32 v74, v75
	v_ashrrev_i32_e32 v8, 31, v8
	v_xor_b32_e32 v7, s25, v7
	v_cmp_gt_i32_e64 s25, 0, v75
	v_and_b32_e32 v5, v5, v6
	;; [unrolled: 5-line block ×3, first 2 shown]
	v_not_b32_e32 v7, v9
	v_ashrrev_i32_e32 v6, 31, v6
	v_xor_b32_e32 v74, s25, v74
	v_mul_u32_u24_e32 v3, 9, v3
	v_and_b32_e32 v5, v5, v8
	v_cmp_gt_i32_e64 s25, 0, v9
	v_ashrrev_i32_e32 v7, 31, v7
	v_xor_b32_e32 v6, s24, v6
	s_delay_alu instid0(VALU_DEP_4) | instskip(SKIP_1) | instid1(VALU_DEP_4)
	v_and_b32_e32 v5, v5, v74
	v_add_lshl_u32 v74, v2, v3, 2
	v_xor_b32_e32 v3, s25, v7
	s_delay_alu instid0(VALU_DEP_3) | instskip(SKIP_2) | instid1(VALU_DEP_1)
	v_and_b32_e32 v5, v5, v6
	ds_load_b32 v99, v74 offset:32
	; wave barrier
	v_and_b32_e32 v3, v5, v3
	v_mbcnt_lo_u32_b32 v100, v3, 0
	v_cmp_ne_u32_e64 s25, 0, v3
	s_delay_alu instid0(VALU_DEP_2) | instskip(NEXT) | instid1(VALU_DEP_1)
	v_cmp_eq_u32_e64 s24, 0, v100
	s_and_b32 s25, s25, s24
	s_delay_alu instid0(SALU_CYCLE_1)
	s_and_saveexec_b32 s24, s25
	s_cbranch_execz .LBB49_87
; %bb.86:
	s_waitcnt lgkmcnt(0)
	v_bcnt_u32_b32 v3, v3, v99
	ds_store_b32 v74, v3 offset:32
.LBB49_87:
	s_or_b32 exec_lo, exec_lo, s24
	v_xor_b32_e32 v98, 0xffffff80, v4
	; wave barrier
	s_delay_alu instid0(VALU_DEP_1) | instskip(NEXT) | instid1(VALU_DEP_1)
	v_and_b32_e32 v3, 0xff, v98
	v_lshrrev_b32_e32 v3, s60, v3
	s_delay_alu instid0(VALU_DEP_1) | instskip(NEXT) | instid1(VALU_DEP_1)
	v_and_b32_e32 v3, s68, v3
	v_and_b32_e32 v4, 1, v3
	v_lshlrev_b32_e32 v5, 30, v3
	v_lshlrev_b32_e32 v6, 29, v3
	;; [unrolled: 1-line block ×4, first 2 shown]
	v_add_co_u32 v4, s24, v4, -1
	s_delay_alu instid0(VALU_DEP_1)
	v_cndmask_b32_e64 v8, 0, 1, s24
	v_not_b32_e32 v77, v5
	v_cmp_gt_i32_e64 s25, 0, v5
	v_not_b32_e32 v5, v6
	v_lshlrev_b32_e32 v75, 26, v3
	v_cmp_ne_u32_e64 s24, 0, v8
	v_ashrrev_i32_e32 v77, 31, v77
	v_lshlrev_b32_e32 v76, 25, v3
	v_ashrrev_i32_e32 v5, 31, v5
	v_lshlrev_b32_e32 v8, 24, v3
	v_xor_b32_e32 v4, s24, v4
	v_cmp_gt_i32_e64 s24, 0, v6
	v_not_b32_e32 v6, v7
	v_xor_b32_e32 v77, s25, v77
	v_cmp_gt_i32_e64 s25, 0, v7
	v_and_b32_e32 v4, exec_lo, v4
	v_not_b32_e32 v7, v9
	v_ashrrev_i32_e32 v6, 31, v6
	v_xor_b32_e32 v5, s24, v5
	v_cmp_gt_i32_e64 s24, 0, v9
	v_and_b32_e32 v4, v4, v77
	v_not_b32_e32 v9, v75
	v_ashrrev_i32_e32 v7, 31, v7
	v_xor_b32_e32 v6, s25, v6
	v_cmp_gt_i32_e64 s25, 0, v75
	v_and_b32_e32 v4, v4, v5
	;; [unrolled: 5-line block ×3, first 2 shown]
	v_not_b32_e32 v6, v8
	v_ashrrev_i32_e32 v5, 31, v5
	v_xor_b32_e32 v9, s25, v9
	v_mul_u32_u24_e32 v3, 9, v3
	v_and_b32_e32 v4, v4, v7
	v_cmp_gt_i32_e64 s25, 0, v8
	v_ashrrev_i32_e32 v6, 31, v6
	v_xor_b32_e32 v5, s24, v5
	v_add_lshl_u32 v75, v2, v3, 2
	v_and_b32_e32 v4, v4, v9
	v_add_nc_u32_e32 v76, 32, v15
	v_xor_b32_e32 v2, s25, v6
	ds_load_b32 v101, v75 offset:32
	v_and_b32_e32 v3, v4, v5
	; wave barrier
	s_delay_alu instid0(VALU_DEP_1) | instskip(NEXT) | instid1(VALU_DEP_1)
	v_and_b32_e32 v2, v3, v2
	v_mbcnt_lo_u32_b32 v102, v2, 0
	v_cmp_ne_u32_e64 s25, 0, v2
	s_delay_alu instid0(VALU_DEP_2) | instskip(NEXT) | instid1(VALU_DEP_1)
	v_cmp_eq_u32_e64 s24, 0, v102
	s_and_b32 s25, s25, s24
	s_delay_alu instid0(SALU_CYCLE_1)
	s_and_saveexec_b32 s24, s25
	s_cbranch_execz .LBB49_89
; %bb.88:
	s_waitcnt lgkmcnt(0)
	v_bcnt_u32_b32 v2, v2, v101
	ds_store_b32 v75, v2 offset:32
.LBB49_89:
	s_or_b32 exec_lo, exec_lo, s24
	; wave barrier
	s_waitcnt lgkmcnt(0)
	s_barrier
	buffer_gl0_inv
	ds_load_2addr_b32 v[8:9], v15 offset0:8 offset1:9
	ds_load_2addr_b32 v[6:7], v76 offset0:2 offset1:3
	;; [unrolled: 1-line block ×4, first 2 shown]
	ds_load_b32 v77, v76 offset:32
	v_min_u32_e32 v11, 0xe0, v11
	s_mov_b32 s25, exec_lo
	s_delay_alu instid0(VALU_DEP_1) | instskip(SKIP_3) | instid1(VALU_DEP_1)
	v_or_b32_e32 v105, 31, v11
	s_waitcnt lgkmcnt(3)
	v_add3_u32 v103, v9, v8, v6
	s_waitcnt lgkmcnt(2)
	v_add3_u32 v103, v103, v7, v4
	s_waitcnt lgkmcnt(1)
	s_delay_alu instid0(VALU_DEP_1) | instskip(SKIP_1) | instid1(VALU_DEP_1)
	v_add3_u32 v103, v103, v5, v2
	s_waitcnt lgkmcnt(0)
	v_add3_u32 v77, v103, v3, v77
	v_and_b32_e32 v103, 15, v51
	s_delay_alu instid0(VALU_DEP_2) | instskip(NEXT) | instid1(VALU_DEP_2)
	v_mov_b32_dpp v104, v77 row_shr:1 row_mask:0xf bank_mask:0xf
	v_cmp_ne_u32_e64 s24, 0, v103
	s_delay_alu instid0(VALU_DEP_1) | instskip(SKIP_1) | instid1(VALU_DEP_2)
	v_cndmask_b32_e64 v104, 0, v104, s24
	v_cmp_lt_u32_e64 s24, 1, v103
	v_add_nc_u32_e32 v77, v104, v77
	s_delay_alu instid0(VALU_DEP_1) | instskip(NEXT) | instid1(VALU_DEP_1)
	v_mov_b32_dpp v104, v77 row_shr:2 row_mask:0xf bank_mask:0xf
	v_cndmask_b32_e64 v104, 0, v104, s24
	v_cmp_lt_u32_e64 s24, 3, v103
	s_delay_alu instid0(VALU_DEP_2) | instskip(NEXT) | instid1(VALU_DEP_1)
	v_add_nc_u32_e32 v77, v77, v104
	v_mov_b32_dpp v104, v77 row_shr:4 row_mask:0xf bank_mask:0xf
	s_delay_alu instid0(VALU_DEP_1) | instskip(SKIP_1) | instid1(VALU_DEP_2)
	v_cndmask_b32_e64 v104, 0, v104, s24
	v_cmp_lt_u32_e64 s24, 7, v103
	v_add_nc_u32_e32 v77, v77, v104
	s_delay_alu instid0(VALU_DEP_1) | instskip(NEXT) | instid1(VALU_DEP_1)
	v_mov_b32_dpp v104, v77 row_shr:8 row_mask:0xf bank_mask:0xf
	v_cndmask_b32_e64 v103, 0, v104, s24
	v_bfe_i32 v104, v51, 4, 1
	s_delay_alu instid0(VALU_DEP_2) | instskip(SKIP_4) | instid1(VALU_DEP_2)
	v_add_nc_u32_e32 v103, v77, v103
	ds_swizzle_b32 v77, v103 offset:swizzle(BROADCAST,32,15)
	s_waitcnt lgkmcnt(0)
	v_and_b32_e32 v104, v104, v77
	v_lshrrev_b32_e32 v77, 5, v1
	v_add_nc_u32_e32 v11, v103, v104
	v_cmpx_eq_u32_e64 v105, v1
	s_cbranch_execz .LBB49_91
; %bb.90:
	s_delay_alu instid0(VALU_DEP_3)
	v_lshlrev_b32_e32 v103, 2, v77
	ds_store_b32 v103, v11
.LBB49_91:
	s_or_b32 exec_lo, exec_lo, s25
	s_delay_alu instid0(SALU_CYCLE_1)
	s_mov_b32 s25, exec_lo
	s_waitcnt lgkmcnt(0)
	s_barrier
	buffer_gl0_inv
	v_cmpx_gt_u32_e32 8, v1
	s_cbranch_execz .LBB49_93
; %bb.92:
	v_lshlrev_b32_e32 v103, 2, v1
	v_and_b32_e32 v105, 7, v51
	ds_load_b32 v104, v103
	v_cmp_ne_u32_e64 s24, 0, v105
	s_waitcnt lgkmcnt(0)
	v_mov_b32_dpp v106, v104 row_shr:1 row_mask:0xf bank_mask:0xf
	s_delay_alu instid0(VALU_DEP_1) | instskip(SKIP_1) | instid1(VALU_DEP_2)
	v_cndmask_b32_e64 v106, 0, v106, s24
	v_cmp_lt_u32_e64 s24, 1, v105
	v_add_nc_u32_e32 v104, v106, v104
	s_delay_alu instid0(VALU_DEP_1) | instskip(NEXT) | instid1(VALU_DEP_1)
	v_mov_b32_dpp v106, v104 row_shr:2 row_mask:0xf bank_mask:0xf
	v_cndmask_b32_e64 v106, 0, v106, s24
	v_cmp_lt_u32_e64 s24, 3, v105
	s_delay_alu instid0(VALU_DEP_2) | instskip(NEXT) | instid1(VALU_DEP_1)
	v_add_nc_u32_e32 v104, v104, v106
	v_mov_b32_dpp v106, v104 row_shr:4 row_mask:0xf bank_mask:0xf
	s_delay_alu instid0(VALU_DEP_1) | instskip(NEXT) | instid1(VALU_DEP_1)
	v_cndmask_b32_e64 v105, 0, v106, s24
	v_add_nc_u32_e32 v104, v104, v105
	ds_store_b32 v103, v104
.LBB49_93:
	s_or_b32 exec_lo, exec_lo, s25
	v_mov_b32_e32 v103, 0
	s_mov_b32 s25, exec_lo
	s_waitcnt lgkmcnt(0)
	s_barrier
	buffer_gl0_inv
	v_cmpx_lt_u32_e32 31, v1
	s_cbranch_execz .LBB49_95
; %bb.94:
	v_lshl_add_u32 v77, v77, 2, -4
	ds_load_b32 v103, v77
.LBB49_95:
	s_or_b32 exec_lo, exec_lo, s25
	v_add_nc_u32_e32 v77, -1, v51
	s_waitcnt lgkmcnt(0)
	v_add_nc_u32_e32 v11, v103, v11
	s_mov_b32 s25, 0
	s_mov_b32 s26, exec_lo
	v_cmp_gt_i32_e64 s24, 0, v77
	s_delay_alu instid0(VALU_DEP_1) | instskip(SKIP_1) | instid1(VALU_DEP_2)
	v_cndmask_b32_e64 v77, v77, v51, s24
	v_cmp_eq_u32_e64 s24, 0, v51
	v_lshlrev_b32_e32 v77, 2, v77
	ds_bpermute_b32 v11, v77, v11
	s_waitcnt lgkmcnt(0)
	v_cndmask_b32_e64 v11, v11, v103, s24
	v_cmp_ne_u32_e64 s24, 0, v1
	s_delay_alu instid0(VALU_DEP_1) | instskip(NEXT) | instid1(VALU_DEP_1)
	v_cndmask_b32_e64 v11, 0, v11, s24
	v_add_nc_u32_e32 v8, v11, v8
	s_delay_alu instid0(VALU_DEP_1) | instskip(NEXT) | instid1(VALU_DEP_1)
	v_add_nc_u32_e32 v9, v8, v9
	v_add_nc_u32_e32 v6, v9, v6
	s_delay_alu instid0(VALU_DEP_1) | instskip(NEXT) | instid1(VALU_DEP_1)
	v_add_nc_u32_e32 v7, v6, v7
	;; [unrolled: 3-line block ×3, first 2 shown]
	v_add_nc_u32_e32 v2, v5, v2
	s_delay_alu instid0(VALU_DEP_1)
	v_add_nc_u32_e32 v3, v2, v3
	ds_store_2addr_b32 v15, v11, v8 offset0:8 offset1:9
	ds_store_2addr_b32 v76, v9, v6 offset0:2 offset1:3
	;; [unrolled: 1-line block ×4, first 2 shown]
	ds_store_b32 v76, v3 offset:32
	v_mov_b32_e32 v2, 0x1600
	s_waitcnt lgkmcnt(0)
	s_barrier
	buffer_gl0_inv
	ds_load_b32 v4, v20 offset:32
	ds_load_b32 v5, v24 offset:32
	;; [unrolled: 1-line block ×23, first 2 shown]
	v_add_nc_u32_e32 v15, 1, v1
	s_delay_alu instid0(VALU_DEP_1)
	v_cmpx_ne_u32_e32 0x100, v15
	s_cbranch_execz .LBB49_97
; %bb.96:
	v_mul_u32_u24_e32 v2, 9, v15
	s_delay_alu instid0(VALU_DEP_1)
	v_lshlrev_b32_e32 v2, 2, v2
	ds_load_b32 v2, v2 offset:32
.LBB49_97:
	s_or_b32 exec_lo, exec_lo, s26
	s_waitcnt lgkmcnt(22)
	v_add3_u32 v76, v19, v18, v4
	s_waitcnt lgkmcnt(21)
	v_add3_u32 v75, v23, v22, v5
	v_lshl_add_u32 v4, s15, 8, v1
	v_mov_b32_e32 v5, 0
	s_waitcnt lgkmcnt(20)
	v_add3_u32 v74, v27, v26, v6
	s_waitcnt lgkmcnt(19)
	v_add3_u32 v73, v31, v30, v7
	;; [unrolled: 2-line block ×4, first 2 shown]
	v_lshlrev_b64 v[6:7], 2, v[4:5]
	s_waitcnt lgkmcnt(0)
	v_sub_nc_u32_e32 v52, v2, v3
	v_dual_mov_b32 v2, 0 :: v_dual_add_nc_u32 v77, v16, v14
	v_add3_u32 v72, v35, v34, v8
	v_add3_u32 v71, v39, v38, v9
	v_add_co_u32 v6, s24, s66, v6
	v_add3_u32 v70, v44, v43, v11
	v_add3_u32 v69, v49, v48, v20
	;; [unrolled: 1-line block ×13, first 2 shown]
	v_add_co_ci_u32_e64 v7, s24, s67, v7, s24
	v_or_b32_e32 v4, 2.0, v52
	s_mov_b32 s26, s63
	s_barrier
	buffer_gl0_inv
	ds_store_b8 v77, v12 offset:2048
	ds_store_b8 v76, v13 offset:2048
	;; [unrolled: 1-line block ×22, first 2 shown]
	s_waitcnt lgkmcnt(0)
	s_barrier
	buffer_gl0_inv
	global_store_b32 v[6:7], v4, off
                                        ; implicit-def: $sgpr24
	s_branch .LBB49_99
	.p2align	6
.LBB49_98:                              ;   in Loop: Header=BB49_99 Depth=1
	s_or_b32 exec_lo, exec_lo, s27
	v_and_b32_e32 v8, 0x3fffffff, v11
	v_cmp_eq_u32_e64 s24, 0x80000000, v4
	s_delay_alu instid0(VALU_DEP_2) | instskip(NEXT) | instid1(VALU_DEP_2)
	v_add_nc_u32_e32 v2, v8, v2
	s_and_b32 s27, exec_lo, s24
	s_delay_alu instid0(SALU_CYCLE_1) | instskip(NEXT) | instid1(SALU_CYCLE_1)
	s_or_b32 s25, s27, s25
	s_and_not1_b32 exec_lo, exec_lo, s25
	s_cbranch_execz .LBB49_105
.LBB49_99:                              ; =>This Loop Header: Depth=1
                                        ;     Child Loop BB49_102 Depth 2
	s_or_b32 s24, s24, exec_lo
	s_cmp_eq_u32 s26, 0
	s_cbranch_scc1 .LBB49_104
; %bb.100:                              ;   in Loop: Header=BB49_99 Depth=1
	s_add_i32 s26, s26, -1
	s_mov_b32 s27, exec_lo
	v_lshl_add_u32 v4, s26, 8, v1
	s_delay_alu instid0(VALU_DEP_1) | instskip(NEXT) | instid1(VALU_DEP_1)
	v_lshlrev_b64 v[8:9], 2, v[4:5]
	v_add_co_u32 v8, s24, s66, v8
	s_delay_alu instid0(VALU_DEP_1) | instskip(SKIP_3) | instid1(VALU_DEP_1)
	v_add_co_ci_u32_e64 v9, s24, s67, v9, s24
	global_load_b32 v11, v[8:9], off glc
	s_waitcnt vmcnt(0)
	v_and_b32_e32 v4, -2.0, v11
	v_cmpx_eq_u32_e32 0, v4
	s_cbranch_execz .LBB49_98
; %bb.101:                              ;   in Loop: Header=BB49_99 Depth=1
	s_mov_b32 s28, 0
.LBB49_102:                             ;   Parent Loop BB49_99 Depth=1
                                        ; =>  This Inner Loop Header: Depth=2
	global_load_b32 v11, v[8:9], off glc
	s_waitcnt vmcnt(0)
	v_and_b32_e32 v4, -2.0, v11
	s_delay_alu instid0(VALU_DEP_1) | instskip(NEXT) | instid1(VALU_DEP_1)
	v_cmp_ne_u32_e64 s24, 0, v4
	s_or_b32 s28, s24, s28
	s_delay_alu instid0(SALU_CYCLE_1)
	s_and_not1_b32 exec_lo, exec_lo, s28
	s_cbranch_execnz .LBB49_102
; %bb.103:                              ;   in Loop: Header=BB49_99 Depth=1
	s_or_b32 exec_lo, exec_lo, s28
	s_branch .LBB49_98
.LBB49_104:                             ;   in Loop: Header=BB49_99 Depth=1
                                        ; implicit-def: $sgpr26
	s_and_b32 s27, exec_lo, s24
	s_delay_alu instid0(SALU_CYCLE_1) | instskip(NEXT) | instid1(SALU_CYCLE_1)
	s_or_b32 s25, s27, s25
	s_and_not1_b32 exec_lo, exec_lo, s25
	s_cbranch_execnz .LBB49_99
.LBB49_105:
	s_or_b32 exec_lo, exec_lo, s25
	v_add_nc_u32_e32 v4, v2, v52
	v_lshlrev_b32_e32 v53, 3, v1
	s_delay_alu instid0(VALU_DEP_2)
	v_or_b32_e32 v4, 0x80000000, v4
	global_store_b32 v[6:7], v4, off
	v_sub_co_u32 v6, s24, v2, v3
	v_mov_b32_e32 v2, 0
	global_load_b64 v[4:5], v53, s[56:57]
	v_sub_co_ci_u32_e64 v7, null, 0, 0, s24
	s_waitcnt vmcnt(0)
	v_add_co_u32 v6, s24, v6, v4
	s_delay_alu instid0(VALU_DEP_1)
	v_add_co_ci_u32_e64 v7, s24, v7, v5, s24
	v_cmp_gt_u32_e64 s24, s47, v1
	v_mov_b32_e32 v4, v2
	ds_store_b64 v53, v[6:7]
	s_waitcnt lgkmcnt(0)
	s_waitcnt_vscnt null, 0x0
	s_barrier
	buffer_gl0_inv
	s_and_saveexec_b32 s26, s24
	s_cbranch_execz .LBB49_107
; %bb.106:
	ds_load_u8 v7, v1 offset:2048
	s_waitcnt lgkmcnt(0)
	v_and_b32_e32 v5, 0xff, v7
	v_xor_b32_e32 v7, 0x80, v7
	s_delay_alu instid0(VALU_DEP_2) | instskip(NEXT) | instid1(VALU_DEP_1)
	v_lshrrev_b32_e32 v5, s60, v5
	v_and_b32_e32 v5, s68, v5
	s_delay_alu instid0(VALU_DEP_1) | instskip(SKIP_3) | instid1(VALU_DEP_1)
	v_lshlrev_b32_e32 v5, 3, v5
	ds_load_b64 v[5:6], v5
	s_waitcnt lgkmcnt(0)
	v_add_co_u32 v5, s25, s50, v5
	v_add_co_ci_u32_e64 v6, s25, s51, v6, s25
	s_delay_alu instid0(VALU_DEP_2) | instskip(NEXT) | instid1(VALU_DEP_1)
	v_add_co_u32 v5, s25, v5, v1
	v_add_co_ci_u32_e64 v6, s25, 0, v6, s25
	global_store_b8 v[5:6], v7, off
.LBB49_107:
	s_or_b32 exec_lo, exec_lo, s26
	v_add_nc_u32_e32 v5, 0x100, v1
	s_delay_alu instid0(VALU_DEP_1) | instskip(NEXT) | instid1(VALU_DEP_1)
	v_cmp_gt_u32_e64 s25, s47, v5
	s_and_saveexec_b32 s27, s25
	s_cbranch_execz .LBB49_109
; %bb.108:
	ds_load_u8 v7, v1 offset:2304
	s_waitcnt lgkmcnt(0)
	v_and_b32_e32 v5, 0xff, v7
	v_xor_b32_e32 v7, 0x80, v7
	s_delay_alu instid0(VALU_DEP_2) | instskip(NEXT) | instid1(VALU_DEP_1)
	v_lshrrev_b32_e32 v5, s60, v5
	v_and_b32_e32 v5, s68, v5
	s_delay_alu instid0(VALU_DEP_1) | instskip(SKIP_3) | instid1(VALU_DEP_1)
	v_lshlrev_b32_e32 v5, 3, v5
	ds_load_b64 v[5:6], v5
	s_waitcnt lgkmcnt(0)
	v_add_co_u32 v5, s26, s50, v5
	v_add_co_ci_u32_e64 v6, s26, s51, v6, s26
	s_delay_alu instid0(VALU_DEP_2) | instskip(NEXT) | instid1(VALU_DEP_1)
	v_add_co_u32 v5, s26, v5, v1
	v_add_co_ci_u32_e64 v6, s26, 0, v6, s26
	global_store_b8 v[5:6], v7, off offset:256
.LBB49_109:
	s_or_b32 exec_lo, exec_lo, s27
	v_add_nc_u32_e32 v56, 0x200, v1
	s_delay_alu instid0(VALU_DEP_1) | instskip(NEXT) | instid1(VALU_DEP_1)
	v_cmp_gt_u32_e64 s26, s47, v56
	s_and_saveexec_b32 s28, s26
	s_cbranch_execz .LBB49_111
; %bb.110:
	ds_load_u8 v7, v1 offset:2560
	s_waitcnt lgkmcnt(0)
	v_and_b32_e32 v5, 0xff, v7
	v_xor_b32_e32 v7, 0x80, v7
	s_delay_alu instid0(VALU_DEP_2) | instskip(NEXT) | instid1(VALU_DEP_1)
	v_lshrrev_b32_e32 v5, s60, v5
	v_and_b32_e32 v5, s68, v5
	s_delay_alu instid0(VALU_DEP_1) | instskip(SKIP_3) | instid1(VALU_DEP_1)
	v_lshlrev_b32_e32 v5, 3, v5
	ds_load_b64 v[5:6], v5
	s_waitcnt lgkmcnt(0)
	v_add_co_u32 v5, s27, s50, v5
	v_add_co_ci_u32_e64 v6, s27, s51, v6, s27
	s_delay_alu instid0(VALU_DEP_2) | instskip(NEXT) | instid1(VALU_DEP_1)
	v_add_co_u32 v5, s27, v5, v1
	v_add_co_ci_u32_e64 v6, s27, 0, v6, s27
	global_store_b8 v[5:6], v7, off offset:512
.LBB49_111:
	;; [unrolled: 25-line block ×3, first 2 shown]
	s_or_b32 exec_lo, exec_lo, s29
	v_or_b32_e32 v78, 0x400, v1
	s_delay_alu instid0(VALU_DEP_1) | instskip(NEXT) | instid1(VALU_DEP_1)
	v_cmp_gt_u32_e64 s28, s47, v78
	s_and_saveexec_b32 s30, s28
	s_cbranch_execz .LBB49_115
; %bb.114:
	ds_load_u8 v7, v1 offset:3072
	s_waitcnt lgkmcnt(0)
	v_and_b32_e32 v5, 0xff, v7
	v_xor_b32_e32 v7, 0x80, v7
	s_delay_alu instid0(VALU_DEP_2) | instskip(NEXT) | instid1(VALU_DEP_1)
	v_lshrrev_b32_e32 v5, s60, v5
	v_and_b32_e32 v5, s68, v5
	s_delay_alu instid0(VALU_DEP_1) | instskip(SKIP_3) | instid1(VALU_DEP_1)
	v_lshlrev_b32_e32 v5, 3, v5
	ds_load_b64 v[5:6], v5
	s_waitcnt lgkmcnt(0)
	v_add_co_u32 v5, s29, s50, v5
	v_add_co_ci_u32_e64 v6, s29, s51, v6, s29
	s_delay_alu instid0(VALU_DEP_2) | instskip(NEXT) | instid1(VALU_DEP_1)
	v_add_co_u32 v5, s29, v5, v1
	v_add_co_ci_u32_e64 v6, s29, 0, v6, s29
	global_store_b8 v[5:6], v7, off offset:1024
.LBB49_115:
	s_or_b32 exec_lo, exec_lo, s30
	v_add_nc_u32_e32 v79, 0x500, v1
	s_delay_alu instid0(VALU_DEP_1) | instskip(NEXT) | instid1(VALU_DEP_1)
	v_cmp_gt_u32_e64 s29, s47, v79
	s_and_saveexec_b32 s31, s29
	s_cbranch_execz .LBB49_117
; %bb.116:
	ds_load_u8 v7, v1 offset:3328
	s_waitcnt lgkmcnt(0)
	v_and_b32_e32 v5, 0xff, v7
	v_xor_b32_e32 v7, 0x80, v7
	s_delay_alu instid0(VALU_DEP_2) | instskip(NEXT) | instid1(VALU_DEP_1)
	v_lshrrev_b32_e32 v5, s60, v5
	v_and_b32_e32 v5, s68, v5
	s_delay_alu instid0(VALU_DEP_1) | instskip(SKIP_3) | instid1(VALU_DEP_1)
	v_lshlrev_b32_e32 v5, 3, v5
	ds_load_b64 v[5:6], v5
	s_waitcnt lgkmcnt(0)
	v_add_co_u32 v5, s30, s50, v5
	v_add_co_ci_u32_e64 v6, s30, s51, v6, s30
	s_delay_alu instid0(VALU_DEP_2) | instskip(NEXT) | instid1(VALU_DEP_1)
	v_add_co_u32 v5, s30, v5, v1
	v_add_co_ci_u32_e64 v6, s30, 0, v6, s30
	global_store_b8 v[5:6], v7, off offset:1280
.LBB49_117:
	s_or_b32 exec_lo, exec_lo, s31
	v_add_nc_u32_e32 v80, 0x600, v1
	;; [unrolled: 25-line block ×3, first 2 shown]
	s_delay_alu instid0(VALU_DEP_1) | instskip(NEXT) | instid1(VALU_DEP_1)
	v_cmp_gt_u32_e64 s31, s47, v81
	s_and_saveexec_b32 s34, s31
	s_cbranch_execz .LBB49_121
; %bb.120:
	ds_load_u8 v7, v1 offset:3840
	s_waitcnt lgkmcnt(0)
	v_and_b32_e32 v5, 0xff, v7
	v_xor_b32_e32 v7, 0x80, v7
	s_delay_alu instid0(VALU_DEP_2) | instskip(NEXT) | instid1(VALU_DEP_1)
	v_lshrrev_b32_e32 v5, s60, v5
	v_and_b32_e32 v5, s68, v5
	s_delay_alu instid0(VALU_DEP_1) | instskip(SKIP_3) | instid1(VALU_DEP_1)
	v_lshlrev_b32_e32 v5, 3, v5
	ds_load_b64 v[5:6], v5
	s_waitcnt lgkmcnt(0)
	v_add_co_u32 v5, s33, s50, v5
	v_add_co_ci_u32_e64 v6, s33, s51, v6, s33
	s_delay_alu instid0(VALU_DEP_2) | instskip(NEXT) | instid1(VALU_DEP_1)
	v_add_co_u32 v5, s33, v5, v1
	v_add_co_ci_u32_e64 v6, s33, 0, v6, s33
	global_store_b8 v[5:6], v7, off offset:1792
.LBB49_121:
	s_or_b32 exec_lo, exec_lo, s34
	v_or_b32_e32 v82, 0x800, v1
	s_delay_alu instid0(VALU_DEP_1) | instskip(NEXT) | instid1(VALU_DEP_1)
	v_cmp_gt_u32_e64 s33, s47, v82
	s_and_saveexec_b32 s35, s33
	s_cbranch_execz .LBB49_123
; %bb.122:
	ds_load_u8 v7, v1 offset:4096
	s_waitcnt lgkmcnt(0)
	v_and_b32_e32 v5, 0xff, v7
	v_xor_b32_e32 v7, 0x80, v7
	s_delay_alu instid0(VALU_DEP_2) | instskip(NEXT) | instid1(VALU_DEP_1)
	v_lshrrev_b32_e32 v5, s60, v5
	v_and_b32_e32 v5, s68, v5
	s_delay_alu instid0(VALU_DEP_1) | instskip(SKIP_3) | instid1(VALU_DEP_1)
	v_lshlrev_b32_e32 v5, 3, v5
	ds_load_b64 v[5:6], v5
	s_waitcnt lgkmcnt(0)
	v_add_co_u32 v5, s34, s50, v5
	v_add_co_ci_u32_e64 v6, s34, s51, v6, s34
	s_delay_alu instid0(VALU_DEP_2) | instskip(NEXT) | instid1(VALU_DEP_1)
	v_add_co_u32 v5, s34, v5, v1
	v_add_co_ci_u32_e64 v6, s34, 0, v6, s34
	global_store_b8 v[5:6], v7, off offset:2048
.LBB49_123:
	s_or_b32 exec_lo, exec_lo, s35
	v_add_nc_u32_e32 v83, 0x900, v1
	s_delay_alu instid0(VALU_DEP_1) | instskip(NEXT) | instid1(VALU_DEP_1)
	v_cmp_gt_u32_e64 s34, s47, v83
	s_and_saveexec_b32 s36, s34
	s_cbranch_execz .LBB49_125
; %bb.124:
	ds_load_u8 v7, v1 offset:4352
	s_waitcnt lgkmcnt(0)
	v_and_b32_e32 v5, 0xff, v7
	v_xor_b32_e32 v7, 0x80, v7
	s_delay_alu instid0(VALU_DEP_2) | instskip(NEXT) | instid1(VALU_DEP_1)
	v_lshrrev_b32_e32 v5, s60, v5
	v_and_b32_e32 v5, s68, v5
	s_delay_alu instid0(VALU_DEP_1) | instskip(SKIP_3) | instid1(VALU_DEP_1)
	v_lshlrev_b32_e32 v5, 3, v5
	ds_load_b64 v[5:6], v5
	s_waitcnt lgkmcnt(0)
	v_add_co_u32 v5, s35, s50, v5
	v_add_co_ci_u32_e64 v6, s35, s51, v6, s35
	s_delay_alu instid0(VALU_DEP_2) | instskip(NEXT) | instid1(VALU_DEP_1)
	v_add_co_u32 v5, s35, v5, v1
	v_add_co_ci_u32_e64 v6, s35, 0, v6, s35
	global_store_b8 v[5:6], v7, off offset:2304
.LBB49_125:
	s_or_b32 exec_lo, exec_lo, s36
	v_add_nc_u32_e32 v84, 0xa00, v1
	;; [unrolled: 25-line block ×3, first 2 shown]
	s_delay_alu instid0(VALU_DEP_1) | instskip(NEXT) | instid1(VALU_DEP_1)
	v_cmp_gt_u32_e64 s36, s47, v85
	s_and_saveexec_b32 s38, s36
	s_cbranch_execz .LBB49_129
; %bb.128:
	ds_load_u8 v7, v1 offset:4864
	s_waitcnt lgkmcnt(0)
	v_and_b32_e32 v5, 0xff, v7
	v_xor_b32_e32 v7, 0x80, v7
	s_delay_alu instid0(VALU_DEP_2) | instskip(NEXT) | instid1(VALU_DEP_1)
	v_lshrrev_b32_e32 v5, s60, v5
	v_and_b32_e32 v5, s68, v5
	s_delay_alu instid0(VALU_DEP_1) | instskip(SKIP_3) | instid1(VALU_DEP_1)
	v_lshlrev_b32_e32 v5, 3, v5
	ds_load_b64 v[5:6], v5
	s_waitcnt lgkmcnt(0)
	v_add_co_u32 v5, s37, s50, v5
	v_add_co_ci_u32_e64 v6, s37, s51, v6, s37
	s_delay_alu instid0(VALU_DEP_2) | instskip(NEXT) | instid1(VALU_DEP_1)
	v_add_co_u32 v5, s37, v5, v1
	v_add_co_ci_u32_e64 v6, s37, 0, v6, s37
	global_store_b8 v[5:6], v7, off offset:2816
.LBB49_129:
	s_or_b32 exec_lo, exec_lo, s38
	v_or_b32_e32 v86, 0xc00, v1
	s_delay_alu instid0(VALU_DEP_1) | instskip(NEXT) | instid1(VALU_DEP_1)
	v_cmp_gt_u32_e64 s37, s47, v86
	s_and_saveexec_b32 s39, s37
	s_cbranch_execz .LBB49_131
; %bb.130:
	ds_load_u8 v7, v1 offset:5120
	s_waitcnt lgkmcnt(0)
	v_and_b32_e32 v5, 0xff, v7
	v_xor_b32_e32 v7, 0x80, v7
	s_delay_alu instid0(VALU_DEP_2) | instskip(NEXT) | instid1(VALU_DEP_1)
	v_lshrrev_b32_e32 v5, s60, v5
	v_and_b32_e32 v5, s68, v5
	s_delay_alu instid0(VALU_DEP_1) | instskip(SKIP_3) | instid1(VALU_DEP_1)
	v_lshlrev_b32_e32 v5, 3, v5
	ds_load_b64 v[5:6], v5
	s_waitcnt lgkmcnt(0)
	v_add_co_u32 v5, s38, s50, v5
	v_add_co_ci_u32_e64 v6, s38, s51, v6, s38
	s_delay_alu instid0(VALU_DEP_2) | instskip(NEXT) | instid1(VALU_DEP_1)
	v_add_co_u32 v5, s38, v5, v1
	v_add_co_ci_u32_e64 v6, s38, 0, v6, s38
	global_store_b8 v[5:6], v7, off offset:3072
.LBB49_131:
	s_or_b32 exec_lo, exec_lo, s39
	v_add_nc_u32_e32 v87, 0xd00, v1
	s_delay_alu instid0(VALU_DEP_1) | instskip(NEXT) | instid1(VALU_DEP_1)
	v_cmp_gt_u32_e64 s38, s47, v87
	s_and_saveexec_b32 s40, s38
	s_cbranch_execz .LBB49_133
; %bb.132:
	ds_load_u8 v7, v1 offset:5376
	s_waitcnt lgkmcnt(0)
	v_and_b32_e32 v5, 0xff, v7
	v_xor_b32_e32 v7, 0x80, v7
	s_delay_alu instid0(VALU_DEP_2) | instskip(NEXT) | instid1(VALU_DEP_1)
	v_lshrrev_b32_e32 v5, s60, v5
	v_and_b32_e32 v5, s68, v5
	s_delay_alu instid0(VALU_DEP_1) | instskip(SKIP_3) | instid1(VALU_DEP_1)
	v_lshlrev_b32_e32 v5, 3, v5
	ds_load_b64 v[5:6], v5
	s_waitcnt lgkmcnt(0)
	v_add_co_u32 v5, s39, s50, v5
	v_add_co_ci_u32_e64 v6, s39, s51, v6, s39
	s_delay_alu instid0(VALU_DEP_2) | instskip(NEXT) | instid1(VALU_DEP_1)
	v_add_co_u32 v5, s39, v5, v1
	v_add_co_ci_u32_e64 v6, s39, 0, v6, s39
	global_store_b8 v[5:6], v7, off offset:3328
.LBB49_133:
	s_or_b32 exec_lo, exec_lo, s40
	v_add_nc_u32_e32 v88, 0xe00, v1
	;; [unrolled: 25-line block ×3, first 2 shown]
	s_delay_alu instid0(VALU_DEP_1) | instskip(NEXT) | instid1(VALU_DEP_1)
	v_cmp_gt_u32_e64 s40, s47, v89
	s_and_saveexec_b32 s42, s40
	s_cbranch_execz .LBB49_137
; %bb.136:
	ds_load_u8 v7, v1 offset:5888
	s_waitcnt lgkmcnt(0)
	v_and_b32_e32 v5, 0xff, v7
	v_xor_b32_e32 v7, 0x80, v7
	s_delay_alu instid0(VALU_DEP_2) | instskip(NEXT) | instid1(VALU_DEP_1)
	v_lshrrev_b32_e32 v5, s60, v5
	v_and_b32_e32 v5, s68, v5
	s_delay_alu instid0(VALU_DEP_1) | instskip(SKIP_3) | instid1(VALU_DEP_1)
	v_lshlrev_b32_e32 v5, 3, v5
	ds_load_b64 v[5:6], v5
	s_waitcnt lgkmcnt(0)
	v_add_co_u32 v5, s41, s50, v5
	v_add_co_ci_u32_e64 v6, s41, s51, v6, s41
	s_delay_alu instid0(VALU_DEP_2) | instskip(NEXT) | instid1(VALU_DEP_1)
	v_add_co_u32 v5, s41, v5, v1
	v_add_co_ci_u32_e64 v6, s41, 0, v6, s41
	global_store_b8 v[5:6], v7, off offset:3840
.LBB49_137:
	s_or_b32 exec_lo, exec_lo, s42
	v_or_b32_e32 v90, 0x1000, v1
	s_delay_alu instid0(VALU_DEP_1) | instskip(NEXT) | instid1(VALU_DEP_1)
	v_cmp_gt_u32_e64 s41, s47, v90
	s_and_saveexec_b32 s43, s41
	s_cbranch_execz .LBB49_139
; %bb.138:
	ds_load_u8 v7, v1 offset:6144
	s_waitcnt lgkmcnt(0)
	v_and_b32_e32 v5, 0xff, v7
	v_xor_b32_e32 v7, 0x80, v7
	s_delay_alu instid0(VALU_DEP_2) | instskip(NEXT) | instid1(VALU_DEP_1)
	v_lshrrev_b32_e32 v5, s60, v5
	v_and_b32_e32 v5, s68, v5
	s_delay_alu instid0(VALU_DEP_1) | instskip(SKIP_3) | instid1(VALU_DEP_1)
	v_lshlrev_b32_e32 v5, 3, v5
	ds_load_b64 v[5:6], v5
	s_waitcnt lgkmcnt(0)
	v_add_co_u32 v5, s42, s50, v5
	v_add_co_ci_u32_e64 v6, s42, s51, v6, s42
	s_delay_alu instid0(VALU_DEP_2) | instskip(NEXT) | instid1(VALU_DEP_1)
	v_add_co_u32 v5, s42, v5, v90
	v_add_co_ci_u32_e64 v6, s42, 0, v6, s42
	global_store_b8 v[5:6], v7, off
.LBB49_139:
	s_or_b32 exec_lo, exec_lo, s43
	v_add_nc_u32_e32 v91, 0x1100, v1
	s_delay_alu instid0(VALU_DEP_1) | instskip(NEXT) | instid1(VALU_DEP_1)
	v_cmp_gt_u32_e64 s42, s47, v91
	s_and_saveexec_b32 s44, s42
	s_cbranch_execz .LBB49_141
; %bb.140:
	ds_load_u8 v7, v1 offset:6400
	s_waitcnt lgkmcnt(0)
	v_and_b32_e32 v5, 0xff, v7
	v_xor_b32_e32 v7, 0x80, v7
	s_delay_alu instid0(VALU_DEP_2) | instskip(NEXT) | instid1(VALU_DEP_1)
	v_lshrrev_b32_e32 v5, s60, v5
	v_and_b32_e32 v5, s68, v5
	s_delay_alu instid0(VALU_DEP_1) | instskip(SKIP_3) | instid1(VALU_DEP_1)
	v_lshlrev_b32_e32 v5, 3, v5
	ds_load_b64 v[5:6], v5
	s_waitcnt lgkmcnt(0)
	v_add_co_u32 v5, s43, s50, v5
	v_add_co_ci_u32_e64 v6, s43, s51, v6, s43
	s_delay_alu instid0(VALU_DEP_2) | instskip(NEXT) | instid1(VALU_DEP_1)
	v_add_co_u32 v5, s43, v5, v91
	v_add_co_ci_u32_e64 v6, s43, 0, v6, s43
	global_store_b8 v[5:6], v7, off
.LBB49_141:
	s_or_b32 exec_lo, exec_lo, s44
	v_add_nc_u32_e32 v92, 0x1200, v1
	;; [unrolled: 25-line block ×3, first 2 shown]
	s_delay_alu instid0(VALU_DEP_1) | instskip(NEXT) | instid1(VALU_DEP_1)
	v_cmp_gt_u32_e64 s44, s47, v93
	s_and_saveexec_b32 s46, s44
	s_cbranch_execz .LBB49_145
; %bb.144:
	ds_load_u8 v7, v1 offset:6912
	s_waitcnt lgkmcnt(0)
	v_and_b32_e32 v5, 0xff, v7
	v_xor_b32_e32 v7, 0x80, v7
	s_delay_alu instid0(VALU_DEP_2) | instskip(NEXT) | instid1(VALU_DEP_1)
	v_lshrrev_b32_e32 v5, s60, v5
	v_and_b32_e32 v5, s68, v5
	s_delay_alu instid0(VALU_DEP_1) | instskip(SKIP_3) | instid1(VALU_DEP_1)
	v_lshlrev_b32_e32 v5, 3, v5
	ds_load_b64 v[5:6], v5
	s_waitcnt lgkmcnt(0)
	v_add_co_u32 v5, s45, s50, v5
	v_add_co_ci_u32_e64 v6, s45, s51, v6, s45
	s_delay_alu instid0(VALU_DEP_2) | instskip(NEXT) | instid1(VALU_DEP_1)
	v_add_co_u32 v5, s45, v5, v93
	v_add_co_ci_u32_e64 v6, s45, 0, v6, s45
	global_store_b8 v[5:6], v7, off
.LBB49_145:
	s_or_b32 exec_lo, exec_lo, s46
	v_or_b32_e32 v94, 0x1400, v1
	s_delay_alu instid0(VALU_DEP_1) | instskip(NEXT) | instid1(VALU_DEP_1)
	v_cmp_gt_u32_e64 s45, s47, v94
	s_and_saveexec_b32 s69, s45
	s_cbranch_execz .LBB49_147
; %bb.146:
	ds_load_u8 v7, v1 offset:7168
	s_waitcnt lgkmcnt(0)
	v_and_b32_e32 v5, 0xff, v7
	v_xor_b32_e32 v7, 0x80, v7
	s_delay_alu instid0(VALU_DEP_2) | instskip(NEXT) | instid1(VALU_DEP_1)
	v_lshrrev_b32_e32 v5, s60, v5
	v_and_b32_e32 v5, s68, v5
	s_delay_alu instid0(VALU_DEP_1) | instskip(SKIP_3) | instid1(VALU_DEP_1)
	v_lshlrev_b32_e32 v5, 3, v5
	ds_load_b64 v[5:6], v5
	s_waitcnt lgkmcnt(0)
	v_add_co_u32 v5, s46, s50, v5
	v_add_co_ci_u32_e64 v6, s46, s51, v6, s46
	s_delay_alu instid0(VALU_DEP_2) | instskip(NEXT) | instid1(VALU_DEP_1)
	v_add_co_u32 v5, s46, v5, v94
	v_add_co_ci_u32_e64 v6, s46, 0, v6, s46
	global_store_b8 v[5:6], v7, off
.LBB49_147:
	s_or_b32 exec_lo, exec_lo, s69
	v_add_nc_u32_e32 v95, 0x1500, v1
	s_delay_alu instid0(VALU_DEP_1) | instskip(NEXT) | instid1(VALU_DEP_1)
	v_cmp_gt_u32_e64 s46, s47, v95
	s_and_saveexec_b32 s69, s46
	s_cbranch_execz .LBB49_149
; %bb.148:
	ds_load_u8 v7, v1 offset:7424
	s_waitcnt lgkmcnt(0)
	v_and_b32_e32 v5, 0xff, v7
	v_xor_b32_e32 v7, 0x80, v7
	s_delay_alu instid0(VALU_DEP_2) | instskip(NEXT) | instid1(VALU_DEP_1)
	v_lshrrev_b32_e32 v5, s60, v5
	v_and_b32_e32 v5, s68, v5
	s_delay_alu instid0(VALU_DEP_1) | instskip(SKIP_3) | instid1(VALU_DEP_1)
	v_lshlrev_b32_e32 v5, 3, v5
	ds_load_b64 v[5:6], v5
	s_waitcnt lgkmcnt(0)
	v_add_co_u32 v5, s47, s50, v5
	v_add_co_ci_u32_e64 v6, s47, s51, v6, s47
	s_delay_alu instid0(VALU_DEP_2) | instskip(NEXT) | instid1(VALU_DEP_1)
	v_add_co_u32 v5, s47, v5, v95
	v_add_co_ci_u32_e64 v6, s47, 0, v6, s47
	global_store_b8 v[5:6], v7, off
.LBB49_149:
	s_or_b32 exec_lo, exec_lo, s69
	v_lshlrev_b32_e32 v5, 3, v51
	s_lshl_b64 s[70:71], s[64:65], 3
	v_lshlrev_b32_e32 v6, 3, v10
	s_add_u32 s47, s52, s70
	s_addc_u32 s65, s53, s71
	v_add_co_u32 v5, s47, s47, v5
	s_delay_alu instid0(VALU_DEP_1) | instskip(NEXT) | instid1(VALU_DEP_2)
	v_add_co_ci_u32_e64 v7, null, s65, 0, s47
	v_add_co_u32 v49, s47, v5, v6
	s_delay_alu instid0(VALU_DEP_1) | instskip(SKIP_1) | instid1(SALU_CYCLE_1)
	v_add_co_ci_u32_e64 v50, s47, 0, v7, s47
                                        ; implicit-def: $vgpr5_vgpr6
	s_and_saveexec_b32 s47, vcc_lo
	s_xor_b32 s47, exec_lo, s47
	s_cbranch_execnz .LBB49_283
; %bb.150:
	s_or_b32 exec_lo, exec_lo, s47
                                        ; implicit-def: $vgpr7_vgpr8
	s_and_saveexec_b32 s47, s2
	s_cbranch_execnz .LBB49_284
.LBB49_151:
	s_or_b32 exec_lo, exec_lo, s47
                                        ; implicit-def: $vgpr9_vgpr10
	s_and_saveexec_b32 s2, s3
	s_cbranch_execnz .LBB49_285
.LBB49_152:
	s_or_b32 exec_lo, exec_lo, s2
                                        ; implicit-def: $vgpr11_vgpr12
	s_and_saveexec_b32 s2, s4
	s_cbranch_execnz .LBB49_286
.LBB49_153:
	s_or_b32 exec_lo, exec_lo, s2
                                        ; implicit-def: $vgpr13_vgpr14
	s_and_saveexec_b32 s2, s5
	s_cbranch_execnz .LBB49_287
.LBB49_154:
	s_or_b32 exec_lo, exec_lo, s2
                                        ; implicit-def: $vgpr15_vgpr16
	s_and_saveexec_b32 s2, s6
	s_cbranch_execnz .LBB49_288
.LBB49_155:
	s_or_b32 exec_lo, exec_lo, s2
                                        ; implicit-def: $vgpr17_vgpr18
	s_and_saveexec_b32 s2, s7
	s_cbranch_execnz .LBB49_289
.LBB49_156:
	s_or_b32 exec_lo, exec_lo, s2
                                        ; implicit-def: $vgpr19_vgpr20
	s_and_saveexec_b32 s2, s8
	s_cbranch_execnz .LBB49_290
.LBB49_157:
	s_or_b32 exec_lo, exec_lo, s2
                                        ; implicit-def: $vgpr21_vgpr22
	s_and_saveexec_b32 s2, s9
	s_cbranch_execnz .LBB49_291
.LBB49_158:
	s_or_b32 exec_lo, exec_lo, s2
                                        ; implicit-def: $vgpr23_vgpr24
	s_and_saveexec_b32 s2, s10
	s_cbranch_execnz .LBB49_292
.LBB49_159:
	s_or_b32 exec_lo, exec_lo, s2
                                        ; implicit-def: $vgpr25_vgpr26
	s_and_saveexec_b32 s2, s11
	s_cbranch_execnz .LBB49_293
.LBB49_160:
	s_or_b32 exec_lo, exec_lo, s2
                                        ; implicit-def: $vgpr27_vgpr28
	s_and_saveexec_b32 s2, s12
	s_cbranch_execnz .LBB49_294
.LBB49_161:
	s_or_b32 exec_lo, exec_lo, s2
                                        ; implicit-def: $vgpr29_vgpr30
	s_and_saveexec_b32 s2, s13
	s_cbranch_execnz .LBB49_295
.LBB49_162:
	s_or_b32 exec_lo, exec_lo, s2
                                        ; implicit-def: $vgpr31_vgpr32
	s_and_saveexec_b32 s2, s14
	s_cbranch_execnz .LBB49_296
.LBB49_163:
	s_or_b32 exec_lo, exec_lo, s2
                                        ; implicit-def: $vgpr33_vgpr34
	s_and_saveexec_b32 s2, s16
	s_cbranch_execnz .LBB49_297
.LBB49_164:
	s_or_b32 exec_lo, exec_lo, s2
                                        ; implicit-def: $vgpr35_vgpr36
	s_and_saveexec_b32 s2, s18
	s_cbranch_execnz .LBB49_298
.LBB49_165:
	s_or_b32 exec_lo, exec_lo, s2
                                        ; implicit-def: $vgpr37_vgpr38
	s_and_saveexec_b32 s2, s23
	s_cbranch_execnz .LBB49_299
.LBB49_166:
	s_or_b32 exec_lo, exec_lo, s2
                                        ; implicit-def: $vgpr39_vgpr40
	s_and_saveexec_b32 s2, s21
	s_cbranch_execnz .LBB49_300
.LBB49_167:
	s_or_b32 exec_lo, exec_lo, s2
                                        ; implicit-def: $vgpr41_vgpr42
	s_and_saveexec_b32 s2, s22
	s_cbranch_execnz .LBB49_301
.LBB49_168:
	s_or_b32 exec_lo, exec_lo, s2
                                        ; implicit-def: $vgpr43_vgpr44
	s_and_saveexec_b32 s2, s19
	s_cbranch_execnz .LBB49_302
.LBB49_169:
	s_or_b32 exec_lo, exec_lo, s2
                                        ; implicit-def: $vgpr45_vgpr46
	s_and_saveexec_b32 s2, s20
	s_cbranch_execnz .LBB49_303
.LBB49_170:
	s_or_b32 exec_lo, exec_lo, s2
                                        ; implicit-def: $vgpr47_vgpr48
	s_and_saveexec_b32 s2, s17
	s_cbranch_execnz .LBB49_304
.LBB49_171:
	s_or_b32 exec_lo, exec_lo, s2
                                        ; implicit-def: $vgpr115
	s_and_saveexec_b32 s2, s24
	s_cbranch_execnz .LBB49_305
.LBB49_172:
	s_or_b32 exec_lo, exec_lo, s2
                                        ; implicit-def: $vgpr114
	s_and_saveexec_b32 s2, s25
	s_cbranch_execnz .LBB49_306
.LBB49_173:
	s_or_b32 exec_lo, exec_lo, s2
                                        ; implicit-def: $vgpr113
	s_and_saveexec_b32 s2, s26
	s_cbranch_execnz .LBB49_307
.LBB49_174:
	s_or_b32 exec_lo, exec_lo, s2
                                        ; implicit-def: $vgpr112
	s_and_saveexec_b32 s2, s27
	s_cbranch_execnz .LBB49_308
.LBB49_175:
	s_or_b32 exec_lo, exec_lo, s2
                                        ; implicit-def: $vgpr111
	s_and_saveexec_b32 s2, s28
	s_cbranch_execnz .LBB49_309
.LBB49_176:
	s_or_b32 exec_lo, exec_lo, s2
                                        ; implicit-def: $vgpr110
	s_and_saveexec_b32 s2, s29
	s_cbranch_execnz .LBB49_310
.LBB49_177:
	s_or_b32 exec_lo, exec_lo, s2
                                        ; implicit-def: $vgpr109
	s_and_saveexec_b32 s2, s30
	s_cbranch_execnz .LBB49_311
.LBB49_178:
	s_or_b32 exec_lo, exec_lo, s2
                                        ; implicit-def: $vgpr108
	s_and_saveexec_b32 s2, s31
	s_cbranch_execnz .LBB49_312
.LBB49_179:
	s_or_b32 exec_lo, exec_lo, s2
                                        ; implicit-def: $vgpr107
	s_and_saveexec_b32 s2, s33
	s_cbranch_execnz .LBB49_313
.LBB49_180:
	s_or_b32 exec_lo, exec_lo, s2
                                        ; implicit-def: $vgpr106
	s_and_saveexec_b32 s2, s34
	s_cbranch_execnz .LBB49_314
.LBB49_181:
	s_or_b32 exec_lo, exec_lo, s2
                                        ; implicit-def: $vgpr105
	s_and_saveexec_b32 s2, s35
	s_cbranch_execnz .LBB49_315
.LBB49_182:
	s_or_b32 exec_lo, exec_lo, s2
                                        ; implicit-def: $vgpr104
	s_and_saveexec_b32 s2, s36
	s_cbranch_execnz .LBB49_316
.LBB49_183:
	s_or_b32 exec_lo, exec_lo, s2
                                        ; implicit-def: $vgpr103
	s_and_saveexec_b32 s2, s37
	s_cbranch_execnz .LBB49_317
.LBB49_184:
	s_or_b32 exec_lo, exec_lo, s2
                                        ; implicit-def: $vgpr102
	s_and_saveexec_b32 s2, s38
	s_cbranch_execnz .LBB49_318
.LBB49_185:
	s_or_b32 exec_lo, exec_lo, s2
                                        ; implicit-def: $vgpr101
	s_and_saveexec_b32 s2, s39
	s_cbranch_execnz .LBB49_319
.LBB49_186:
	s_or_b32 exec_lo, exec_lo, s2
                                        ; implicit-def: $vgpr100
	s_and_saveexec_b32 s2, s40
	s_cbranch_execnz .LBB49_320
.LBB49_187:
	s_or_b32 exec_lo, exec_lo, s2
                                        ; implicit-def: $vgpr99
	s_and_saveexec_b32 s2, s41
	s_cbranch_execnz .LBB49_321
.LBB49_188:
	s_or_b32 exec_lo, exec_lo, s2
                                        ; implicit-def: $vgpr98
	s_and_saveexec_b32 s2, s42
	s_cbranch_execnz .LBB49_322
.LBB49_189:
	s_or_b32 exec_lo, exec_lo, s2
                                        ; implicit-def: $vgpr97
	s_and_saveexec_b32 s2, s43
	s_cbranch_execnz .LBB49_323
.LBB49_190:
	s_or_b32 exec_lo, exec_lo, s2
                                        ; implicit-def: $vgpr96
	s_and_saveexec_b32 s2, s44
	s_cbranch_execnz .LBB49_324
.LBB49_191:
	s_or_b32 exec_lo, exec_lo, s2
                                        ; implicit-def: $vgpr50
	s_and_saveexec_b32 s2, s45
	s_cbranch_execnz .LBB49_325
.LBB49_192:
	s_or_b32 exec_lo, exec_lo, s2
                                        ; implicit-def: $vgpr49
	s_and_saveexec_b32 s2, s46
	s_cbranch_execz .LBB49_194
.LBB49_193:
	ds_load_u8 v49, v1 offset:7424
	s_waitcnt lgkmcnt(0)
	v_lshrrev_b32_e32 v49, s60, v49
	s_delay_alu instid0(VALU_DEP_1)
	v_and_b32_e32 v49, s68, v49
.LBB49_194:
	s_or_b32 exec_lo, exec_lo, s2
	v_lshlrev_b32_e32 v77, 3, v77
	v_lshlrev_b32_e32 v76, 3, v76
	s_waitcnt vmcnt(0)
	s_waitcnt_vscnt null, 0x0
	s_barrier
	buffer_gl0_inv
	ds_store_b64 v77, v[5:6] offset:2048
	ds_store_b64 v76, v[7:8] offset:2048
	v_lshlrev_b32_e32 v5, 3, v75
	v_lshlrev_b32_e32 v6, 3, v74
	v_lshlrev_b32_e32 v7, 3, v73
	v_lshlrev_b32_e32 v8, 3, v72
	v_lshlrev_b32_e32 v71, 3, v71
	ds_store_b64 v5, v[9:10] offset:2048
	ds_store_b64 v6, v[11:12] offset:2048
	ds_store_b64 v7, v[13:14] offset:2048
	ds_store_b64 v8, v[15:16] offset:2048
	ds_store_b64 v71, v[17:18] offset:2048
	v_lshlrev_b32_e32 v5, 3, v70
	v_lshlrev_b32_e32 v6, 3, v69
	v_lshlrev_b32_e32 v7, 3, v68
	v_lshlrev_b32_e32 v8, 3, v67
	v_lshlrev_b32_e32 v9, 3, v66
	ds_store_b64 v5, v[19:20] offset:2048
	ds_store_b64 v6, v[21:22] offset:2048
	ds_store_b64 v7, v[23:24] offset:2048
	;; [unrolled: 10-line block ×4, first 2 shown]
	ds_store_b64 v8, v[45:46] offset:2048
	ds_store_b64 v9, v[47:48] offset:2048
	s_waitcnt lgkmcnt(0)
	s_barrier
	buffer_gl0_inv
	s_and_saveexec_b32 s2, s24
	s_cbranch_execnz .LBB49_326
; %bb.195:
	s_or_b32 exec_lo, exec_lo, s2
	s_and_saveexec_b32 s2, s25
	s_cbranch_execnz .LBB49_327
.LBB49_196:
	s_or_b32 exec_lo, exec_lo, s2
	s_and_saveexec_b32 s2, s26
	s_cbranch_execnz .LBB49_328
.LBB49_197:
	s_or_b32 exec_lo, exec_lo, s2
	s_and_saveexec_b32 s2, s27
	s_cbranch_execnz .LBB49_329
.LBB49_198:
	s_or_b32 exec_lo, exec_lo, s2
	s_and_saveexec_b32 s2, s28
	s_cbranch_execnz .LBB49_330
.LBB49_199:
	s_or_b32 exec_lo, exec_lo, s2
	s_and_saveexec_b32 s2, s29
	s_cbranch_execnz .LBB49_331
.LBB49_200:
	s_or_b32 exec_lo, exec_lo, s2
	s_and_saveexec_b32 s2, s30
	s_cbranch_execnz .LBB49_332
.LBB49_201:
	s_or_b32 exec_lo, exec_lo, s2
	s_and_saveexec_b32 s2, s31
	s_cbranch_execnz .LBB49_333
.LBB49_202:
	s_or_b32 exec_lo, exec_lo, s2
	s_and_saveexec_b32 s2, s33
	s_cbranch_execnz .LBB49_334
.LBB49_203:
	s_or_b32 exec_lo, exec_lo, s2
	s_and_saveexec_b32 s2, s34
	s_cbranch_execnz .LBB49_335
.LBB49_204:
	s_or_b32 exec_lo, exec_lo, s2
	s_and_saveexec_b32 s2, s35
	s_cbranch_execnz .LBB49_336
.LBB49_205:
	s_or_b32 exec_lo, exec_lo, s2
	s_and_saveexec_b32 s2, s36
	s_cbranch_execnz .LBB49_337
.LBB49_206:
	s_or_b32 exec_lo, exec_lo, s2
	s_and_saveexec_b32 s2, s37
	s_cbranch_execnz .LBB49_338
.LBB49_207:
	s_or_b32 exec_lo, exec_lo, s2
	s_and_saveexec_b32 s2, s38
	s_cbranch_execnz .LBB49_339
.LBB49_208:
	s_or_b32 exec_lo, exec_lo, s2
	s_and_saveexec_b32 s2, s39
	s_cbranch_execnz .LBB49_340
.LBB49_209:
	s_or_b32 exec_lo, exec_lo, s2
	s_and_saveexec_b32 s2, s40
	s_cbranch_execnz .LBB49_341
.LBB49_210:
	s_or_b32 exec_lo, exec_lo, s2
	s_and_saveexec_b32 s2, s41
	s_cbranch_execnz .LBB49_342
.LBB49_211:
	s_or_b32 exec_lo, exec_lo, s2
	s_and_saveexec_b32 s2, s42
	s_cbranch_execnz .LBB49_343
.LBB49_212:
	s_or_b32 exec_lo, exec_lo, s2
	s_and_saveexec_b32 s2, s43
	s_cbranch_execnz .LBB49_344
.LBB49_213:
	s_or_b32 exec_lo, exec_lo, s2
	s_and_saveexec_b32 s2, s44
	s_cbranch_execnz .LBB49_345
.LBB49_214:
	s_or_b32 exec_lo, exec_lo, s2
	s_and_saveexec_b32 s2, s45
	s_cbranch_execnz .LBB49_346
.LBB49_215:
	s_or_b32 exec_lo, exec_lo, s2
	s_and_saveexec_b32 s2, s46
	s_cbranch_execz .LBB49_217
.LBB49_216:
	v_lshlrev_b32_e32 v5, 3, v49
	v_lshlrev_b32_e32 v7, 3, v1
	;; [unrolled: 1-line block ×3, first 2 shown]
	ds_load_b64 v[5:6], v5
	ds_load_b64 v[7:8], v7 offset:45056
	s_waitcnt lgkmcnt(1)
	v_lshlrev_b64 v[5:6], 3, v[5:6]
	s_delay_alu instid0(VALU_DEP_1) | instskip(NEXT) | instid1(VALU_DEP_2)
	v_add_co_u32 v5, vcc_lo, s54, v5
	v_add_co_ci_u32_e32 v6, vcc_lo, s55, v6, vcc_lo
	s_delay_alu instid0(VALU_DEP_2) | instskip(NEXT) | instid1(VALU_DEP_2)
	v_add_co_u32 v5, vcc_lo, v5, v9
	v_add_co_ci_u32_e32 v6, vcc_lo, 0, v6, vcc_lo
	s_waitcnt lgkmcnt(0)
	global_store_b64 v[5:6], v[7:8], off
.LBB49_217:
	s_or_b32 exec_lo, exec_lo, s2
	s_add_i32 s62, s62, -1
	s_delay_alu instid0(SALU_CYCLE_1)
	s_cmp_eq_u32 s15, s62
	s_cselect_b32 s2, -1, 0
	s_branch .LBB49_280
.LBB49_218:
	s_mov_b32 s2, 0
                                        ; implicit-def: $vgpr53
                                        ; implicit-def: $vgpr3_vgpr4
                                        ; implicit-def: $vgpr52
	s_cbranch_execz .LBB49_280
; %bb.219:
	v_dual_mov_b32 v15, 0 :: v_dual_and_b32 v12, 0xe0, v1
	s_add_u32 s2, s48, s64
	s_addc_u32 s3, s49, 0
	v_add_co_u32 v2, s2, s2, v51
	s_delay_alu instid0(VALU_DEP_2) | instskip(SKIP_3) | instid1(VALU_DEP_4)
	v_mul_u32_u24_e32 v10, 22, v12
	v_add_co_ci_u32_e64 v3, null, s3, 0, s2
	v_bfe_u32 v14, v0, 10, 10
	v_bfe_u32 v0, v0, 20, 10
	v_add_co_u32 v2, vcc_lo, v2, v10
	s_delay_alu instid0(VALU_DEP_4)
	v_add_co_ci_u32_e32 v3, vcc_lo, 0, v3, vcc_lo
	s_mov_b32 s65, 0
	global_load_u8 v11, v[2:3], off
	s_clause 0x1
	s_load_b32 s3, s[0:1], 0x5c
	s_load_b32 s2, s[0:1], 0x50
	s_add_u32 s0, s0, 0x50
	s_addc_u32 s1, s1, 0
	s_waitcnt lgkmcnt(0)
	s_lshr_b32 s3, s3, 16
	s_cmp_lt_u32 s15, s2
	v_mad_u32_u24 v0, v0, s3, v14
	s_cselect_b32 s4, 12, 18
	s_delay_alu instid0(SALU_CYCLE_1)
	s_add_u32 s0, s0, s4
	s_addc_u32 s1, s1, 0
	global_load_u16 v13, v15, s[0:1]
	s_clause 0x14
	global_load_u8 v17, v[2:3], off offset:32
	global_load_u8 v16, v[2:3], off offset:64
	;; [unrolled: 1-line block ×21, first 2 shown]
	s_lshl_b32 s0, -1, s61
	s_delay_alu instid0(SALU_CYCLE_1) | instskip(SKIP_2) | instid1(VALU_DEP_1)
	s_not_b32 s1, s0
	s_waitcnt vmcnt(22)
	v_xor_b32_e32 v11, 0x80, v11
	v_lshrrev_b32_e32 v3, s60, v11
	s_delay_alu instid0(VALU_DEP_1) | instskip(NEXT) | instid1(VALU_DEP_1)
	v_and_b32_e32 v3, s1, v3
	v_and_b32_e32 v18, 1, v3
	v_lshlrev_b32_e32 v19, 30, v3
	v_lshlrev_b32_e32 v21, 29, v3
	;; [unrolled: 1-line block ×4, first 2 shown]
	v_add_co_u32 v18, s0, v18, -1
	s_delay_alu instid0(VALU_DEP_1)
	v_cndmask_b32_e64 v23, 0, 1, s0
	v_not_b32_e32 v29, v19
	v_cmp_gt_i32_e64 s0, 0, v19
	v_not_b32_e32 v19, v21
	v_lshlrev_b32_e32 v26, 26, v3
	v_cmp_ne_u32_e32 vcc_lo, 0, v23
	v_ashrrev_i32_e32 v29, 31, v29
	v_lshlrev_b32_e32 v27, 25, v3
	v_ashrrev_i32_e32 v19, 31, v19
	v_lshlrev_b32_e32 v23, 24, v3
	v_xor_b32_e32 v18, vcc_lo, v18
	v_cmp_gt_i32_e32 vcc_lo, 0, v21
	v_not_b32_e32 v21, v22
	v_xor_b32_e32 v29, s0, v29
	v_cmp_gt_i32_e64 s0, 0, v22
	v_and_b32_e32 v18, exec_lo, v18
	v_not_b32_e32 v22, v25
	v_ashrrev_i32_e32 v21, 31, v21
	v_xor_b32_e32 v19, vcc_lo, v19
	v_cmp_gt_i32_e32 vcc_lo, 0, v25
	v_and_b32_e32 v18, v18, v29
	v_not_b32_e32 v25, v26
	v_ashrrev_i32_e32 v22, 31, v22
	v_xor_b32_e32 v21, s0, v21
	v_cmp_gt_i32_e64 s0, 0, v26
	v_and_b32_e32 v18, v18, v19
	v_not_b32_e32 v19, v27
	v_ashrrev_i32_e32 v25, 31, v25
	v_xor_b32_e32 v22, vcc_lo, v22
	v_cmp_gt_i32_e32 vcc_lo, 0, v27
	v_and_b32_e32 v18, v18, v21
	v_not_b32_e32 v21, v23
	v_ashrrev_i32_e32 v19, 31, v19
	v_xor_b32_e32 v25, s0, v25
	v_cmp_gt_i32_e64 s0, 0, v23
	v_and_b32_e32 v18, v18, v22
	v_ashrrev_i32_e32 v21, 31, v21
	v_xor_b32_e32 v19, vcc_lo, v19
	v_mul_u32_u24_e32 v22, 9, v1
	s_delay_alu instid0(VALU_DEP_4) | instskip(NEXT) | instid1(VALU_DEP_4)
	v_and_b32_e32 v18, v18, v25
	v_xor_b32_e32 v21, s0, v21
	s_delay_alu instid0(VALU_DEP_3)
	v_lshlrev_b32_e32 v14, 2, v22
	ds_store_2addr_b32 v14, v15, v15 offset0:8 offset1:9
	ds_store_2addr_b32 v14, v15, v15 offset0:10 offset1:11
	;; [unrolled: 1-line block ×4, first 2 shown]
	v_and_b32_e32 v23, v18, v19
	s_waitcnt vmcnt(0)
	v_mad_u64_u32 v[18:19], null, v0, v13, v[1:2]
	ds_store_b32 v14, v15 offset:64
	v_mul_u32_u24_e32 v15, 9, v3
	v_and_b32_e32 v0, v23, v21
	s_waitcnt lgkmcnt(0)
	s_waitcnt_vscnt null, 0x0
	s_barrier
	buffer_gl0_inv
	v_lshrrev_b32_e32 v3, 5, v18
	v_mbcnt_lo_u32_b32 v13, v0, 0
	v_cmp_ne_u32_e64 s0, 0, v0
	; wave barrier
	s_delay_alu instid0(VALU_DEP_3) | instskip(NEXT) | instid1(VALU_DEP_3)
	v_add_lshl_u32 v15, v3, v15, 2
	v_cmp_eq_u32_e32 vcc_lo, 0, v13
	s_delay_alu instid0(VALU_DEP_3) | instskip(NEXT) | instid1(SALU_CYCLE_1)
	s_and_b32 s3, s0, vcc_lo
	s_and_saveexec_b32 s0, s3
	s_cbranch_execz .LBB49_221
; %bb.220:
	v_bcnt_u32_b32 v0, v0, 0
	ds_store_b32 v15, v0 offset:32
.LBB49_221:
	s_or_b32 exec_lo, exec_lo, s0
	v_xor_b32_e32 v0, 0xffffff80, v17
	; wave barrier
	s_delay_alu instid0(VALU_DEP_1) | instskip(NEXT) | instid1(VALU_DEP_1)
	v_and_b32_e32 v17, 0xff, v0
	v_lshrrev_b32_e32 v17, s60, v17
	s_delay_alu instid0(VALU_DEP_1) | instskip(NEXT) | instid1(VALU_DEP_1)
	v_and_b32_e32 v17, s1, v17
	v_and_b32_e32 v18, 1, v17
	v_lshlrev_b32_e32 v19, 30, v17
	v_lshlrev_b32_e32 v21, 29, v17
	;; [unrolled: 1-line block ×4, first 2 shown]
	v_add_co_u32 v18, s0, v18, -1
	s_delay_alu instid0(VALU_DEP_1)
	v_cndmask_b32_e64 v23, 0, 1, s0
	v_not_b32_e32 v29, v19
	v_cmp_gt_i32_e64 s0, 0, v19
	v_not_b32_e32 v19, v21
	v_lshlrev_b32_e32 v26, 26, v17
	v_cmp_ne_u32_e32 vcc_lo, 0, v23
	v_ashrrev_i32_e32 v29, 31, v29
	v_lshlrev_b32_e32 v27, 25, v17
	v_ashrrev_i32_e32 v19, 31, v19
	v_lshlrev_b32_e32 v23, 24, v17
	v_xor_b32_e32 v18, vcc_lo, v18
	v_cmp_gt_i32_e32 vcc_lo, 0, v21
	v_not_b32_e32 v21, v22
	v_xor_b32_e32 v29, s0, v29
	v_cmp_gt_i32_e64 s0, 0, v22
	v_and_b32_e32 v18, exec_lo, v18
	v_not_b32_e32 v22, v25
	v_ashrrev_i32_e32 v21, 31, v21
	v_xor_b32_e32 v19, vcc_lo, v19
	v_cmp_gt_i32_e32 vcc_lo, 0, v25
	v_and_b32_e32 v18, v18, v29
	v_not_b32_e32 v25, v26
	v_ashrrev_i32_e32 v22, 31, v22
	v_xor_b32_e32 v21, s0, v21
	v_cmp_gt_i32_e64 s0, 0, v26
	v_and_b32_e32 v18, v18, v19
	v_not_b32_e32 v19, v27
	v_ashrrev_i32_e32 v25, 31, v25
	v_xor_b32_e32 v22, vcc_lo, v22
	v_cmp_gt_i32_e32 vcc_lo, 0, v27
	v_and_b32_e32 v18, v18, v21
	v_not_b32_e32 v21, v23
	v_ashrrev_i32_e32 v19, 31, v19
	v_xor_b32_e32 v25, s0, v25
	v_mul_u32_u24_e32 v17, 9, v17
	v_and_b32_e32 v18, v18, v22
	v_cmp_gt_i32_e64 s0, 0, v23
	v_ashrrev_i32_e32 v21, 31, v21
	v_xor_b32_e32 v22, vcc_lo, v19
	v_add_lshl_u32 v19, v3, v17, 2
	v_and_b32_e32 v18, v18, v25
	s_delay_alu instid0(VALU_DEP_4) | instskip(SKIP_2) | instid1(VALU_DEP_1)
	v_xor_b32_e32 v21, s0, v21
	ds_load_b32 v17, v19 offset:32
	v_and_b32_e32 v18, v18, v22
	; wave barrier
	v_and_b32_e32 v21, v18, v21
	s_delay_alu instid0(VALU_DEP_1) | instskip(SKIP_1) | instid1(VALU_DEP_2)
	v_mbcnt_lo_u32_b32 v18, v21, 0
	v_cmp_ne_u32_e64 s0, 0, v21
	v_cmp_eq_u32_e32 vcc_lo, 0, v18
	s_delay_alu instid0(VALU_DEP_2) | instskip(NEXT) | instid1(SALU_CYCLE_1)
	s_and_b32 s3, s0, vcc_lo
	s_and_saveexec_b32 s0, s3
	s_cbranch_execz .LBB49_223
; %bb.222:
	s_waitcnt lgkmcnt(0)
	v_bcnt_u32_b32 v21, v21, v17
	ds_store_b32 v19, v21 offset:32
.LBB49_223:
	s_or_b32 exec_lo, exec_lo, s0
	v_xor_b32_e32 v16, 0xffffff80, v16
	; wave barrier
	s_delay_alu instid0(VALU_DEP_1) | instskip(NEXT) | instid1(VALU_DEP_1)
	v_and_b32_e32 v21, 0xff, v16
	v_lshrrev_b32_e32 v21, s60, v21
	s_delay_alu instid0(VALU_DEP_1) | instskip(NEXT) | instid1(VALU_DEP_1)
	v_and_b32_e32 v21, s1, v21
	v_and_b32_e32 v22, 1, v21
	v_lshlrev_b32_e32 v23, 30, v21
	v_lshlrev_b32_e32 v25, 29, v21
	;; [unrolled: 1-line block ×4, first 2 shown]
	v_add_co_u32 v22, s0, v22, -1
	s_delay_alu instid0(VALU_DEP_1)
	v_cndmask_b32_e64 v27, 0, 1, s0
	v_not_b32_e32 v33, v23
	v_cmp_gt_i32_e64 s0, 0, v23
	v_not_b32_e32 v23, v25
	v_lshlrev_b32_e32 v30, 26, v21
	v_cmp_ne_u32_e32 vcc_lo, 0, v27
	v_ashrrev_i32_e32 v33, 31, v33
	v_lshlrev_b32_e32 v31, 25, v21
	v_ashrrev_i32_e32 v23, 31, v23
	v_lshlrev_b32_e32 v27, 24, v21
	v_xor_b32_e32 v22, vcc_lo, v22
	v_cmp_gt_i32_e32 vcc_lo, 0, v25
	v_not_b32_e32 v25, v26
	v_xor_b32_e32 v33, s0, v33
	v_cmp_gt_i32_e64 s0, 0, v26
	v_and_b32_e32 v22, exec_lo, v22
	v_not_b32_e32 v26, v29
	v_ashrrev_i32_e32 v25, 31, v25
	v_xor_b32_e32 v23, vcc_lo, v23
	v_cmp_gt_i32_e32 vcc_lo, 0, v29
	v_and_b32_e32 v22, v22, v33
	v_not_b32_e32 v29, v30
	v_ashrrev_i32_e32 v26, 31, v26
	v_xor_b32_e32 v25, s0, v25
	v_cmp_gt_i32_e64 s0, 0, v30
	v_and_b32_e32 v22, v22, v23
	v_not_b32_e32 v23, v31
	v_ashrrev_i32_e32 v29, 31, v29
	v_xor_b32_e32 v26, vcc_lo, v26
	v_cmp_gt_i32_e32 vcc_lo, 0, v31
	v_and_b32_e32 v22, v22, v25
	v_not_b32_e32 v25, v27
	v_ashrrev_i32_e32 v23, 31, v23
	v_xor_b32_e32 v29, s0, v29
	v_mul_u32_u24_e32 v21, 9, v21
	v_and_b32_e32 v22, v22, v26
	v_cmp_gt_i32_e64 s0, 0, v27
	v_ashrrev_i32_e32 v25, 31, v25
	v_xor_b32_e32 v26, vcc_lo, v23
	v_add_lshl_u32 v23, v3, v21, 2
	v_and_b32_e32 v22, v22, v29
	s_delay_alu instid0(VALU_DEP_4) | instskip(SKIP_2) | instid1(VALU_DEP_1)
	v_xor_b32_e32 v25, s0, v25
	ds_load_b32 v21, v23 offset:32
	v_and_b32_e32 v22, v22, v26
	; wave barrier
	v_and_b32_e32 v25, v22, v25
	s_delay_alu instid0(VALU_DEP_1) | instskip(SKIP_1) | instid1(VALU_DEP_2)
	v_mbcnt_lo_u32_b32 v22, v25, 0
	v_cmp_ne_u32_e64 s0, 0, v25
	v_cmp_eq_u32_e32 vcc_lo, 0, v22
	s_delay_alu instid0(VALU_DEP_2) | instskip(NEXT) | instid1(SALU_CYCLE_1)
	s_and_b32 s3, s0, vcc_lo
	s_and_saveexec_b32 s0, s3
	s_cbranch_execz .LBB49_225
; %bb.224:
	s_waitcnt lgkmcnt(0)
	v_bcnt_u32_b32 v25, v25, v21
	ds_store_b32 v23, v25 offset:32
.LBB49_225:
	s_or_b32 exec_lo, exec_lo, s0
	v_xor_b32_e32 v20, 0xffffff80, v20
	; wave barrier
	s_delay_alu instid0(VALU_DEP_1) | instskip(NEXT) | instid1(VALU_DEP_1)
	v_and_b32_e32 v25, 0xff, v20
	v_lshrrev_b32_e32 v25, s60, v25
	s_delay_alu instid0(VALU_DEP_1) | instskip(NEXT) | instid1(VALU_DEP_1)
	v_and_b32_e32 v25, s1, v25
	v_and_b32_e32 v26, 1, v25
	v_lshlrev_b32_e32 v27, 30, v25
	v_lshlrev_b32_e32 v29, 29, v25
	;; [unrolled: 1-line block ×4, first 2 shown]
	v_add_co_u32 v26, s0, v26, -1
	s_delay_alu instid0(VALU_DEP_1)
	v_cndmask_b32_e64 v31, 0, 1, s0
	v_not_b32_e32 v37, v27
	v_cmp_gt_i32_e64 s0, 0, v27
	v_not_b32_e32 v27, v29
	v_lshlrev_b32_e32 v34, 26, v25
	v_cmp_ne_u32_e32 vcc_lo, 0, v31
	v_ashrrev_i32_e32 v37, 31, v37
	v_lshlrev_b32_e32 v35, 25, v25
	v_ashrrev_i32_e32 v27, 31, v27
	v_lshlrev_b32_e32 v31, 24, v25
	v_xor_b32_e32 v26, vcc_lo, v26
	v_cmp_gt_i32_e32 vcc_lo, 0, v29
	v_not_b32_e32 v29, v30
	v_xor_b32_e32 v37, s0, v37
	v_cmp_gt_i32_e64 s0, 0, v30
	v_and_b32_e32 v26, exec_lo, v26
	v_not_b32_e32 v30, v33
	v_ashrrev_i32_e32 v29, 31, v29
	v_xor_b32_e32 v27, vcc_lo, v27
	v_cmp_gt_i32_e32 vcc_lo, 0, v33
	v_and_b32_e32 v26, v26, v37
	v_not_b32_e32 v33, v34
	v_ashrrev_i32_e32 v30, 31, v30
	v_xor_b32_e32 v29, s0, v29
	v_cmp_gt_i32_e64 s0, 0, v34
	v_and_b32_e32 v26, v26, v27
	v_not_b32_e32 v27, v35
	v_ashrrev_i32_e32 v33, 31, v33
	v_xor_b32_e32 v30, vcc_lo, v30
	v_cmp_gt_i32_e32 vcc_lo, 0, v35
	v_and_b32_e32 v26, v26, v29
	v_not_b32_e32 v29, v31
	v_ashrrev_i32_e32 v27, 31, v27
	v_xor_b32_e32 v33, s0, v33
	v_mul_u32_u24_e32 v25, 9, v25
	v_and_b32_e32 v26, v26, v30
	v_cmp_gt_i32_e64 s0, 0, v31
	v_ashrrev_i32_e32 v29, 31, v29
	v_xor_b32_e32 v30, vcc_lo, v27
	v_add_lshl_u32 v27, v3, v25, 2
	v_and_b32_e32 v26, v26, v33
	s_delay_alu instid0(VALU_DEP_4) | instskip(SKIP_2) | instid1(VALU_DEP_1)
	v_xor_b32_e32 v29, s0, v29
	ds_load_b32 v25, v27 offset:32
	v_and_b32_e32 v26, v26, v30
	; wave barrier
	v_and_b32_e32 v29, v26, v29
	s_delay_alu instid0(VALU_DEP_1) | instskip(SKIP_1) | instid1(VALU_DEP_2)
	v_mbcnt_lo_u32_b32 v26, v29, 0
	v_cmp_ne_u32_e64 s0, 0, v29
	v_cmp_eq_u32_e32 vcc_lo, 0, v26
	s_delay_alu instid0(VALU_DEP_2) | instskip(NEXT) | instid1(SALU_CYCLE_1)
	s_and_b32 s3, s0, vcc_lo
	s_and_saveexec_b32 s0, s3
	s_cbranch_execz .LBB49_227
; %bb.226:
	s_waitcnt lgkmcnt(0)
	v_bcnt_u32_b32 v29, v29, v25
	ds_store_b32 v27, v29 offset:32
.LBB49_227:
	s_or_b32 exec_lo, exec_lo, s0
	v_xor_b32_e32 v24, 0xffffff80, v24
	; wave barrier
	s_delay_alu instid0(VALU_DEP_1) | instskip(NEXT) | instid1(VALU_DEP_1)
	v_and_b32_e32 v29, 0xff, v24
	v_lshrrev_b32_e32 v29, s60, v29
	s_delay_alu instid0(VALU_DEP_1) | instskip(NEXT) | instid1(VALU_DEP_1)
	v_and_b32_e32 v29, s1, v29
	v_and_b32_e32 v30, 1, v29
	v_lshlrev_b32_e32 v31, 30, v29
	v_lshlrev_b32_e32 v33, 29, v29
	;; [unrolled: 1-line block ×4, first 2 shown]
	v_add_co_u32 v30, s0, v30, -1
	s_delay_alu instid0(VALU_DEP_1)
	v_cndmask_b32_e64 v35, 0, 1, s0
	v_not_b32_e32 v41, v31
	v_cmp_gt_i32_e64 s0, 0, v31
	v_not_b32_e32 v31, v33
	v_lshlrev_b32_e32 v38, 26, v29
	v_cmp_ne_u32_e32 vcc_lo, 0, v35
	v_ashrrev_i32_e32 v41, 31, v41
	v_lshlrev_b32_e32 v39, 25, v29
	v_ashrrev_i32_e32 v31, 31, v31
	v_lshlrev_b32_e32 v35, 24, v29
	v_xor_b32_e32 v30, vcc_lo, v30
	v_cmp_gt_i32_e32 vcc_lo, 0, v33
	v_not_b32_e32 v33, v34
	v_xor_b32_e32 v41, s0, v41
	v_cmp_gt_i32_e64 s0, 0, v34
	v_and_b32_e32 v30, exec_lo, v30
	v_not_b32_e32 v34, v37
	v_ashrrev_i32_e32 v33, 31, v33
	v_xor_b32_e32 v31, vcc_lo, v31
	v_cmp_gt_i32_e32 vcc_lo, 0, v37
	v_and_b32_e32 v30, v30, v41
	v_not_b32_e32 v37, v38
	v_ashrrev_i32_e32 v34, 31, v34
	v_xor_b32_e32 v33, s0, v33
	v_cmp_gt_i32_e64 s0, 0, v38
	v_and_b32_e32 v30, v30, v31
	v_not_b32_e32 v31, v39
	v_ashrrev_i32_e32 v37, 31, v37
	v_xor_b32_e32 v34, vcc_lo, v34
	v_cmp_gt_i32_e32 vcc_lo, 0, v39
	v_and_b32_e32 v30, v30, v33
	v_not_b32_e32 v33, v35
	v_ashrrev_i32_e32 v31, 31, v31
	v_xor_b32_e32 v37, s0, v37
	v_mul_u32_u24_e32 v29, 9, v29
	v_and_b32_e32 v30, v30, v34
	v_cmp_gt_i32_e64 s0, 0, v35
	v_ashrrev_i32_e32 v33, 31, v33
	v_xor_b32_e32 v34, vcc_lo, v31
	v_add_lshl_u32 v31, v3, v29, 2
	v_and_b32_e32 v30, v30, v37
	s_delay_alu instid0(VALU_DEP_4) | instskip(SKIP_2) | instid1(VALU_DEP_1)
	v_xor_b32_e32 v33, s0, v33
	ds_load_b32 v29, v31 offset:32
	v_and_b32_e32 v30, v30, v34
	; wave barrier
	v_and_b32_e32 v33, v30, v33
	s_delay_alu instid0(VALU_DEP_1) | instskip(SKIP_1) | instid1(VALU_DEP_2)
	v_mbcnt_lo_u32_b32 v30, v33, 0
	v_cmp_ne_u32_e64 s0, 0, v33
	v_cmp_eq_u32_e32 vcc_lo, 0, v30
	s_delay_alu instid0(VALU_DEP_2) | instskip(NEXT) | instid1(SALU_CYCLE_1)
	s_and_b32 s3, s0, vcc_lo
	s_and_saveexec_b32 s0, s3
	s_cbranch_execz .LBB49_229
; %bb.228:
	s_waitcnt lgkmcnt(0)
	v_bcnt_u32_b32 v33, v33, v29
	ds_store_b32 v31, v33 offset:32
.LBB49_229:
	s_or_b32 exec_lo, exec_lo, s0
	v_xor_b32_e32 v28, 0xffffff80, v28
	; wave barrier
	s_delay_alu instid0(VALU_DEP_1) | instskip(NEXT) | instid1(VALU_DEP_1)
	v_and_b32_e32 v33, 0xff, v28
	v_lshrrev_b32_e32 v33, s60, v33
	s_delay_alu instid0(VALU_DEP_1) | instskip(NEXT) | instid1(VALU_DEP_1)
	v_and_b32_e32 v33, s1, v33
	v_and_b32_e32 v34, 1, v33
	v_lshlrev_b32_e32 v35, 30, v33
	v_lshlrev_b32_e32 v37, 29, v33
	;; [unrolled: 1-line block ×4, first 2 shown]
	v_add_co_u32 v34, s0, v34, -1
	s_delay_alu instid0(VALU_DEP_1)
	v_cndmask_b32_e64 v39, 0, 1, s0
	v_not_b32_e32 v45, v35
	v_cmp_gt_i32_e64 s0, 0, v35
	v_not_b32_e32 v35, v37
	v_lshlrev_b32_e32 v42, 26, v33
	v_cmp_ne_u32_e32 vcc_lo, 0, v39
	v_ashrrev_i32_e32 v45, 31, v45
	v_lshlrev_b32_e32 v43, 25, v33
	v_ashrrev_i32_e32 v35, 31, v35
	v_lshlrev_b32_e32 v39, 24, v33
	v_xor_b32_e32 v34, vcc_lo, v34
	v_cmp_gt_i32_e32 vcc_lo, 0, v37
	v_not_b32_e32 v37, v38
	v_xor_b32_e32 v45, s0, v45
	v_cmp_gt_i32_e64 s0, 0, v38
	v_and_b32_e32 v34, exec_lo, v34
	v_not_b32_e32 v38, v41
	v_ashrrev_i32_e32 v37, 31, v37
	v_xor_b32_e32 v35, vcc_lo, v35
	v_cmp_gt_i32_e32 vcc_lo, 0, v41
	v_and_b32_e32 v34, v34, v45
	v_not_b32_e32 v41, v42
	v_ashrrev_i32_e32 v38, 31, v38
	v_xor_b32_e32 v37, s0, v37
	v_cmp_gt_i32_e64 s0, 0, v42
	v_and_b32_e32 v34, v34, v35
	v_not_b32_e32 v35, v43
	v_ashrrev_i32_e32 v41, 31, v41
	v_xor_b32_e32 v38, vcc_lo, v38
	v_cmp_gt_i32_e32 vcc_lo, 0, v43
	v_and_b32_e32 v34, v34, v37
	v_not_b32_e32 v37, v39
	v_ashrrev_i32_e32 v35, 31, v35
	v_xor_b32_e32 v41, s0, v41
	v_mul_u32_u24_e32 v33, 9, v33
	v_and_b32_e32 v34, v34, v38
	v_cmp_gt_i32_e64 s0, 0, v39
	v_ashrrev_i32_e32 v37, 31, v37
	v_xor_b32_e32 v38, vcc_lo, v35
	v_add_lshl_u32 v35, v3, v33, 2
	v_and_b32_e32 v34, v34, v41
	s_delay_alu instid0(VALU_DEP_4) | instskip(SKIP_2) | instid1(VALU_DEP_1)
	v_xor_b32_e32 v37, s0, v37
	ds_load_b32 v33, v35 offset:32
	v_and_b32_e32 v34, v34, v38
	; wave barrier
	v_and_b32_e32 v37, v34, v37
	s_delay_alu instid0(VALU_DEP_1) | instskip(SKIP_1) | instid1(VALU_DEP_2)
	v_mbcnt_lo_u32_b32 v34, v37, 0
	v_cmp_ne_u32_e64 s0, 0, v37
	v_cmp_eq_u32_e32 vcc_lo, 0, v34
	s_delay_alu instid0(VALU_DEP_2) | instskip(NEXT) | instid1(SALU_CYCLE_1)
	s_and_b32 s3, s0, vcc_lo
	s_and_saveexec_b32 s0, s3
	s_cbranch_execz .LBB49_231
; %bb.230:
	s_waitcnt lgkmcnt(0)
	v_bcnt_u32_b32 v37, v37, v33
	ds_store_b32 v35, v37 offset:32
.LBB49_231:
	s_or_b32 exec_lo, exec_lo, s0
	v_xor_b32_e32 v32, 0xffffff80, v32
	; wave barrier
	s_delay_alu instid0(VALU_DEP_1) | instskip(NEXT) | instid1(VALU_DEP_1)
	v_and_b32_e32 v37, 0xff, v32
	v_lshrrev_b32_e32 v37, s60, v37
	s_delay_alu instid0(VALU_DEP_1) | instskip(NEXT) | instid1(VALU_DEP_1)
	v_and_b32_e32 v37, s1, v37
	v_and_b32_e32 v38, 1, v37
	v_lshlrev_b32_e32 v39, 30, v37
	v_lshlrev_b32_e32 v41, 29, v37
	;; [unrolled: 1-line block ×4, first 2 shown]
	v_add_co_u32 v38, s0, v38, -1
	s_delay_alu instid0(VALU_DEP_1)
	v_cndmask_b32_e64 v43, 0, 1, s0
	v_not_b32_e32 v50, v39
	v_cmp_gt_i32_e64 s0, 0, v39
	v_not_b32_e32 v39, v41
	v_lshlrev_b32_e32 v46, 26, v37
	v_cmp_ne_u32_e32 vcc_lo, 0, v43
	v_ashrrev_i32_e32 v50, 31, v50
	v_lshlrev_b32_e32 v47, 25, v37
	v_ashrrev_i32_e32 v39, 31, v39
	v_lshlrev_b32_e32 v43, 24, v37
	v_xor_b32_e32 v38, vcc_lo, v38
	v_cmp_gt_i32_e32 vcc_lo, 0, v41
	v_not_b32_e32 v41, v42
	v_xor_b32_e32 v50, s0, v50
	v_cmp_gt_i32_e64 s0, 0, v42
	v_and_b32_e32 v38, exec_lo, v38
	v_not_b32_e32 v42, v45
	v_ashrrev_i32_e32 v41, 31, v41
	v_xor_b32_e32 v39, vcc_lo, v39
	v_cmp_gt_i32_e32 vcc_lo, 0, v45
	v_and_b32_e32 v38, v38, v50
	v_not_b32_e32 v45, v46
	v_ashrrev_i32_e32 v42, 31, v42
	v_xor_b32_e32 v41, s0, v41
	v_cmp_gt_i32_e64 s0, 0, v46
	v_and_b32_e32 v38, v38, v39
	v_not_b32_e32 v39, v47
	v_ashrrev_i32_e32 v45, 31, v45
	v_xor_b32_e32 v42, vcc_lo, v42
	v_cmp_gt_i32_e32 vcc_lo, 0, v47
	v_and_b32_e32 v38, v38, v41
	v_not_b32_e32 v41, v43
	v_ashrrev_i32_e32 v39, 31, v39
	v_xor_b32_e32 v45, s0, v45
	v_mul_u32_u24_e32 v37, 9, v37
	v_and_b32_e32 v38, v38, v42
	v_cmp_gt_i32_e64 s0, 0, v43
	v_ashrrev_i32_e32 v41, 31, v41
	v_xor_b32_e32 v42, vcc_lo, v39
	v_add_lshl_u32 v39, v3, v37, 2
	v_and_b32_e32 v38, v38, v45
	s_delay_alu instid0(VALU_DEP_4) | instskip(SKIP_2) | instid1(VALU_DEP_1)
	v_xor_b32_e32 v41, s0, v41
	ds_load_b32 v37, v39 offset:32
	v_and_b32_e32 v38, v38, v42
	; wave barrier
	v_and_b32_e32 v41, v38, v41
	s_delay_alu instid0(VALU_DEP_1) | instskip(SKIP_1) | instid1(VALU_DEP_2)
	v_mbcnt_lo_u32_b32 v38, v41, 0
	v_cmp_ne_u32_e64 s0, 0, v41
	v_cmp_eq_u32_e32 vcc_lo, 0, v38
	s_delay_alu instid0(VALU_DEP_2) | instskip(NEXT) | instid1(SALU_CYCLE_1)
	s_and_b32 s3, s0, vcc_lo
	s_and_saveexec_b32 s0, s3
	s_cbranch_execz .LBB49_233
; %bb.232:
	s_waitcnt lgkmcnt(0)
	v_bcnt_u32_b32 v41, v41, v37
	ds_store_b32 v39, v41 offset:32
.LBB49_233:
	s_or_b32 exec_lo, exec_lo, s0
	v_xor_b32_e32 v36, 0xffffff80, v36
	; wave barrier
	s_delay_alu instid0(VALU_DEP_1) | instskip(NEXT) | instid1(VALU_DEP_1)
	v_and_b32_e32 v41, 0xff, v36
	v_lshrrev_b32_e32 v41, s60, v41
	s_delay_alu instid0(VALU_DEP_1) | instskip(NEXT) | instid1(VALU_DEP_1)
	v_and_b32_e32 v41, s1, v41
	v_and_b32_e32 v42, 1, v41
	v_lshlrev_b32_e32 v43, 30, v41
	v_lshlrev_b32_e32 v45, 29, v41
	;; [unrolled: 1-line block ×4, first 2 shown]
	v_add_co_u32 v42, s0, v42, -1
	s_delay_alu instid0(VALU_DEP_1)
	v_cndmask_b32_e64 v47, 0, 1, s0
	v_not_b32_e32 v56, v43
	v_cmp_gt_i32_e64 s0, 0, v43
	v_not_b32_e32 v43, v45
	v_lshlrev_b32_e32 v52, 26, v41
	v_cmp_ne_u32_e32 vcc_lo, 0, v47
	v_ashrrev_i32_e32 v56, 31, v56
	v_lshlrev_b32_e32 v53, 25, v41
	v_ashrrev_i32_e32 v43, 31, v43
	v_lshlrev_b32_e32 v47, 24, v41
	v_xor_b32_e32 v42, vcc_lo, v42
	v_cmp_gt_i32_e32 vcc_lo, 0, v45
	v_not_b32_e32 v45, v46
	v_xor_b32_e32 v56, s0, v56
	v_cmp_gt_i32_e64 s0, 0, v46
	v_and_b32_e32 v42, exec_lo, v42
	v_not_b32_e32 v46, v50
	v_ashrrev_i32_e32 v45, 31, v45
	v_xor_b32_e32 v43, vcc_lo, v43
	v_cmp_gt_i32_e32 vcc_lo, 0, v50
	v_and_b32_e32 v42, v42, v56
	v_not_b32_e32 v50, v52
	v_ashrrev_i32_e32 v46, 31, v46
	v_xor_b32_e32 v45, s0, v45
	v_cmp_gt_i32_e64 s0, 0, v52
	v_and_b32_e32 v42, v42, v43
	v_not_b32_e32 v43, v53
	v_ashrrev_i32_e32 v50, 31, v50
	v_xor_b32_e32 v46, vcc_lo, v46
	v_cmp_gt_i32_e32 vcc_lo, 0, v53
	v_and_b32_e32 v42, v42, v45
	v_not_b32_e32 v45, v47
	v_ashrrev_i32_e32 v43, 31, v43
	v_xor_b32_e32 v50, s0, v50
	v_mul_u32_u24_e32 v41, 9, v41
	v_and_b32_e32 v42, v42, v46
	v_cmp_gt_i32_e64 s0, 0, v47
	v_ashrrev_i32_e32 v45, 31, v45
	v_xor_b32_e32 v46, vcc_lo, v43
	v_add_lshl_u32 v43, v3, v41, 2
	v_and_b32_e32 v42, v42, v50
	s_delay_alu instid0(VALU_DEP_4) | instskip(SKIP_2) | instid1(VALU_DEP_1)
	v_xor_b32_e32 v45, s0, v45
	ds_load_b32 v41, v43 offset:32
	v_and_b32_e32 v42, v42, v46
	; wave barrier
	v_and_b32_e32 v45, v42, v45
	s_delay_alu instid0(VALU_DEP_1) | instskip(SKIP_1) | instid1(VALU_DEP_2)
	v_mbcnt_lo_u32_b32 v42, v45, 0
	v_cmp_ne_u32_e64 s0, 0, v45
	v_cmp_eq_u32_e32 vcc_lo, 0, v42
	s_delay_alu instid0(VALU_DEP_2) | instskip(NEXT) | instid1(SALU_CYCLE_1)
	s_and_b32 s3, s0, vcc_lo
	s_and_saveexec_b32 s0, s3
	s_cbranch_execz .LBB49_235
; %bb.234:
	s_waitcnt lgkmcnt(0)
	v_bcnt_u32_b32 v45, v45, v41
	ds_store_b32 v43, v45 offset:32
.LBB49_235:
	s_or_b32 exec_lo, exec_lo, s0
	v_xor_b32_e32 v40, 0xffffff80, v40
	; wave barrier
	s_delay_alu instid0(VALU_DEP_1) | instskip(NEXT) | instid1(VALU_DEP_1)
	v_and_b32_e32 v45, 0xff, v40
	v_lshrrev_b32_e32 v45, s60, v45
	s_delay_alu instid0(VALU_DEP_1) | instskip(NEXT) | instid1(VALU_DEP_1)
	v_and_b32_e32 v45, s1, v45
	v_and_b32_e32 v46, 1, v45
	v_lshlrev_b32_e32 v47, 30, v45
	v_lshlrev_b32_e32 v50, 29, v45
	;; [unrolled: 1-line block ×4, first 2 shown]
	v_add_co_u32 v46, s0, v46, -1
	s_delay_alu instid0(VALU_DEP_1)
	v_cndmask_b32_e64 v53, 0, 1, s0
	v_not_b32_e32 v60, v47
	v_cmp_gt_i32_e64 s0, 0, v47
	v_not_b32_e32 v47, v50
	v_lshlrev_b32_e32 v57, 26, v45
	v_cmp_ne_u32_e32 vcc_lo, 0, v53
	v_ashrrev_i32_e32 v60, 31, v60
	v_lshlrev_b32_e32 v58, 25, v45
	v_ashrrev_i32_e32 v47, 31, v47
	v_lshlrev_b32_e32 v53, 24, v45
	v_xor_b32_e32 v46, vcc_lo, v46
	v_cmp_gt_i32_e32 vcc_lo, 0, v50
	v_not_b32_e32 v50, v52
	v_xor_b32_e32 v60, s0, v60
	v_cmp_gt_i32_e64 s0, 0, v52
	v_and_b32_e32 v46, exec_lo, v46
	v_not_b32_e32 v52, v56
	v_ashrrev_i32_e32 v50, 31, v50
	v_xor_b32_e32 v47, vcc_lo, v47
	v_cmp_gt_i32_e32 vcc_lo, 0, v56
	v_and_b32_e32 v46, v46, v60
	v_not_b32_e32 v56, v57
	v_ashrrev_i32_e32 v52, 31, v52
	v_xor_b32_e32 v50, s0, v50
	v_cmp_gt_i32_e64 s0, 0, v57
	v_and_b32_e32 v46, v46, v47
	v_not_b32_e32 v47, v58
	v_ashrrev_i32_e32 v56, 31, v56
	v_xor_b32_e32 v52, vcc_lo, v52
	v_cmp_gt_i32_e32 vcc_lo, 0, v58
	v_and_b32_e32 v46, v46, v50
	v_not_b32_e32 v50, v53
	v_ashrrev_i32_e32 v47, 31, v47
	v_xor_b32_e32 v56, s0, v56
	v_mul_u32_u24_e32 v45, 9, v45
	v_and_b32_e32 v46, v46, v52
	v_cmp_gt_i32_e64 s0, 0, v53
	v_ashrrev_i32_e32 v50, 31, v50
	v_xor_b32_e32 v52, vcc_lo, v47
	v_add_lshl_u32 v47, v3, v45, 2
	v_and_b32_e32 v46, v46, v56
	s_delay_alu instid0(VALU_DEP_4) | instskip(SKIP_2) | instid1(VALU_DEP_1)
	v_xor_b32_e32 v50, s0, v50
	ds_load_b32 v45, v47 offset:32
	v_and_b32_e32 v46, v46, v52
	; wave barrier
	v_and_b32_e32 v50, v46, v50
	s_delay_alu instid0(VALU_DEP_1) | instskip(SKIP_1) | instid1(VALU_DEP_2)
	v_mbcnt_lo_u32_b32 v46, v50, 0
	v_cmp_ne_u32_e64 s0, 0, v50
	v_cmp_eq_u32_e32 vcc_lo, 0, v46
	s_delay_alu instid0(VALU_DEP_2) | instskip(NEXT) | instid1(SALU_CYCLE_1)
	s_and_b32 s3, s0, vcc_lo
	s_and_saveexec_b32 s0, s3
	s_cbranch_execz .LBB49_237
; %bb.236:
	s_waitcnt lgkmcnt(0)
	v_bcnt_u32_b32 v50, v50, v45
	ds_store_b32 v47, v50 offset:32
.LBB49_237:
	s_or_b32 exec_lo, exec_lo, s0
	v_xor_b32_e32 v44, 0xffffff80, v44
	; wave barrier
	s_delay_alu instid0(VALU_DEP_1) | instskip(NEXT) | instid1(VALU_DEP_1)
	v_and_b32_e32 v50, 0xff, v44
	v_lshrrev_b32_e32 v50, s60, v50
	s_delay_alu instid0(VALU_DEP_1) | instskip(NEXT) | instid1(VALU_DEP_1)
	v_and_b32_e32 v50, s1, v50
	v_and_b32_e32 v52, 1, v50
	v_lshlrev_b32_e32 v53, 30, v50
	v_lshlrev_b32_e32 v56, 29, v50
	;; [unrolled: 1-line block ×4, first 2 shown]
	v_add_co_u32 v52, s0, v52, -1
	s_delay_alu instid0(VALU_DEP_1)
	v_cndmask_b32_e64 v58, 0, 1, s0
	v_not_b32_e32 v63, v53
	v_cmp_gt_i32_e64 s0, 0, v53
	v_not_b32_e32 v53, v56
	v_lshlrev_b32_e32 v61, 26, v50
	v_cmp_ne_u32_e32 vcc_lo, 0, v58
	v_ashrrev_i32_e32 v63, 31, v63
	v_lshlrev_b32_e32 v62, 25, v50
	v_ashrrev_i32_e32 v53, 31, v53
	v_lshlrev_b32_e32 v58, 24, v50
	v_xor_b32_e32 v52, vcc_lo, v52
	v_cmp_gt_i32_e32 vcc_lo, 0, v56
	v_not_b32_e32 v56, v57
	v_xor_b32_e32 v63, s0, v63
	v_cmp_gt_i32_e64 s0, 0, v57
	v_and_b32_e32 v52, exec_lo, v52
	v_not_b32_e32 v57, v60
	v_ashrrev_i32_e32 v56, 31, v56
	v_xor_b32_e32 v53, vcc_lo, v53
	v_cmp_gt_i32_e32 vcc_lo, 0, v60
	v_and_b32_e32 v52, v52, v63
	v_not_b32_e32 v60, v61
	v_ashrrev_i32_e32 v57, 31, v57
	v_xor_b32_e32 v56, s0, v56
	v_cmp_gt_i32_e64 s0, 0, v61
	v_and_b32_e32 v52, v52, v53
	v_not_b32_e32 v53, v62
	v_ashrrev_i32_e32 v60, 31, v60
	v_xor_b32_e32 v57, vcc_lo, v57
	v_cmp_gt_i32_e32 vcc_lo, 0, v62
	v_and_b32_e32 v52, v52, v56
	v_not_b32_e32 v56, v58
	v_ashrrev_i32_e32 v53, 31, v53
	v_xor_b32_e32 v60, s0, v60
	v_mul_u32_u24_e32 v50, 9, v50
	v_and_b32_e32 v52, v52, v57
	v_cmp_gt_i32_e64 s0, 0, v58
	v_ashrrev_i32_e32 v56, 31, v56
	v_xor_b32_e32 v57, vcc_lo, v53
	v_add_lshl_u32 v53, v3, v50, 2
	v_and_b32_e32 v52, v52, v60
	s_delay_alu instid0(VALU_DEP_4) | instskip(SKIP_2) | instid1(VALU_DEP_1)
	v_xor_b32_e32 v56, s0, v56
	ds_load_b32 v50, v53 offset:32
	v_and_b32_e32 v52, v52, v57
	; wave barrier
	v_and_b32_e32 v56, v52, v56
	s_delay_alu instid0(VALU_DEP_1) | instskip(SKIP_1) | instid1(VALU_DEP_2)
	v_mbcnt_lo_u32_b32 v52, v56, 0
	v_cmp_ne_u32_e64 s0, 0, v56
	v_cmp_eq_u32_e32 vcc_lo, 0, v52
	s_delay_alu instid0(VALU_DEP_2) | instskip(NEXT) | instid1(SALU_CYCLE_1)
	s_and_b32 s3, s0, vcc_lo
	s_and_saveexec_b32 s0, s3
	s_cbranch_execz .LBB49_239
; %bb.238:
	s_waitcnt lgkmcnt(0)
	v_bcnt_u32_b32 v56, v56, v50
	ds_store_b32 v53, v56 offset:32
.LBB49_239:
	s_or_b32 exec_lo, exec_lo, s0
	v_xor_b32_e32 v49, 0xffffff80, v49
	; wave barrier
	s_delay_alu instid0(VALU_DEP_1) | instskip(NEXT) | instid1(VALU_DEP_1)
	v_and_b32_e32 v56, 0xff, v49
	v_lshrrev_b32_e32 v56, s60, v56
	s_delay_alu instid0(VALU_DEP_1) | instskip(NEXT) | instid1(VALU_DEP_1)
	v_and_b32_e32 v56, s1, v56
	v_and_b32_e32 v57, 1, v56
	v_lshlrev_b32_e32 v58, 30, v56
	v_lshlrev_b32_e32 v60, 29, v56
	;; [unrolled: 1-line block ×4, first 2 shown]
	v_add_co_u32 v57, s0, v57, -1
	s_delay_alu instid0(VALU_DEP_1)
	v_cndmask_b32_e64 v62, 0, 1, s0
	v_not_b32_e32 v66, v58
	v_cmp_gt_i32_e64 s0, 0, v58
	v_not_b32_e32 v58, v60
	v_lshlrev_b32_e32 v64, 26, v56
	v_cmp_ne_u32_e32 vcc_lo, 0, v62
	v_ashrrev_i32_e32 v66, 31, v66
	v_lshlrev_b32_e32 v65, 25, v56
	v_ashrrev_i32_e32 v58, 31, v58
	v_lshlrev_b32_e32 v62, 24, v56
	v_xor_b32_e32 v57, vcc_lo, v57
	v_cmp_gt_i32_e32 vcc_lo, 0, v60
	v_not_b32_e32 v60, v61
	v_xor_b32_e32 v66, s0, v66
	v_cmp_gt_i32_e64 s0, 0, v61
	v_and_b32_e32 v57, exec_lo, v57
	v_not_b32_e32 v61, v63
	v_ashrrev_i32_e32 v60, 31, v60
	v_xor_b32_e32 v58, vcc_lo, v58
	v_cmp_gt_i32_e32 vcc_lo, 0, v63
	v_and_b32_e32 v57, v57, v66
	v_not_b32_e32 v63, v64
	v_ashrrev_i32_e32 v61, 31, v61
	v_xor_b32_e32 v60, s0, v60
	v_cmp_gt_i32_e64 s0, 0, v64
	v_and_b32_e32 v57, v57, v58
	v_not_b32_e32 v58, v65
	v_ashrrev_i32_e32 v63, 31, v63
	v_xor_b32_e32 v61, vcc_lo, v61
	v_cmp_gt_i32_e32 vcc_lo, 0, v65
	v_and_b32_e32 v57, v57, v60
	v_not_b32_e32 v60, v62
	v_ashrrev_i32_e32 v58, 31, v58
	v_xor_b32_e32 v63, s0, v63
	v_mul_u32_u24_e32 v56, 9, v56
	v_and_b32_e32 v57, v57, v61
	v_cmp_gt_i32_e64 s0, 0, v62
	v_ashrrev_i32_e32 v60, 31, v60
	v_xor_b32_e32 v61, vcc_lo, v58
	v_add_lshl_u32 v58, v3, v56, 2
	v_and_b32_e32 v57, v57, v63
	s_delay_alu instid0(VALU_DEP_4) | instskip(SKIP_2) | instid1(VALU_DEP_1)
	v_xor_b32_e32 v60, s0, v60
	ds_load_b32 v56, v58 offset:32
	v_and_b32_e32 v57, v57, v61
	; wave barrier
	v_and_b32_e32 v60, v57, v60
	s_delay_alu instid0(VALU_DEP_1) | instskip(SKIP_1) | instid1(VALU_DEP_2)
	v_mbcnt_lo_u32_b32 v57, v60, 0
	v_cmp_ne_u32_e64 s0, 0, v60
	v_cmp_eq_u32_e32 vcc_lo, 0, v57
	s_delay_alu instid0(VALU_DEP_2) | instskip(NEXT) | instid1(SALU_CYCLE_1)
	s_and_b32 s3, s0, vcc_lo
	s_and_saveexec_b32 s0, s3
	s_cbranch_execz .LBB49_241
; %bb.240:
	s_waitcnt lgkmcnt(0)
	v_bcnt_u32_b32 v60, v60, v56
	ds_store_b32 v58, v60 offset:32
.LBB49_241:
	s_or_b32 exec_lo, exec_lo, s0
	v_xor_b32_e32 v55, 0xffffff80, v55
	; wave barrier
	s_delay_alu instid0(VALU_DEP_1) | instskip(NEXT) | instid1(VALU_DEP_1)
	v_and_b32_e32 v60, 0xff, v55
	v_lshrrev_b32_e32 v60, s60, v60
	s_delay_alu instid0(VALU_DEP_1) | instskip(NEXT) | instid1(VALU_DEP_1)
	v_and_b32_e32 v60, s1, v60
	v_and_b32_e32 v61, 1, v60
	v_lshlrev_b32_e32 v62, 30, v60
	v_lshlrev_b32_e32 v63, 29, v60
	v_lshlrev_b32_e32 v64, 28, v60
	v_lshlrev_b32_e32 v66, 27, v60
	v_add_co_u32 v61, s0, v61, -1
	s_delay_alu instid0(VALU_DEP_1)
	v_cndmask_b32_e64 v65, 0, 1, s0
	v_not_b32_e32 v69, v62
	v_cmp_gt_i32_e64 s0, 0, v62
	v_not_b32_e32 v62, v63
	v_lshlrev_b32_e32 v67, 26, v60
	v_cmp_ne_u32_e32 vcc_lo, 0, v65
	v_ashrrev_i32_e32 v69, 31, v69
	v_lshlrev_b32_e32 v68, 25, v60
	v_ashrrev_i32_e32 v62, 31, v62
	v_lshlrev_b32_e32 v65, 24, v60
	v_xor_b32_e32 v61, vcc_lo, v61
	v_cmp_gt_i32_e32 vcc_lo, 0, v63
	v_not_b32_e32 v63, v64
	v_xor_b32_e32 v69, s0, v69
	v_cmp_gt_i32_e64 s0, 0, v64
	v_and_b32_e32 v61, exec_lo, v61
	v_not_b32_e32 v64, v66
	v_ashrrev_i32_e32 v63, 31, v63
	v_xor_b32_e32 v62, vcc_lo, v62
	v_cmp_gt_i32_e32 vcc_lo, 0, v66
	v_and_b32_e32 v61, v61, v69
	v_not_b32_e32 v66, v67
	v_ashrrev_i32_e32 v64, 31, v64
	v_xor_b32_e32 v63, s0, v63
	v_cmp_gt_i32_e64 s0, 0, v67
	v_and_b32_e32 v61, v61, v62
	v_not_b32_e32 v62, v68
	v_ashrrev_i32_e32 v66, 31, v66
	v_xor_b32_e32 v64, vcc_lo, v64
	v_cmp_gt_i32_e32 vcc_lo, 0, v68
	v_and_b32_e32 v61, v61, v63
	v_not_b32_e32 v63, v65
	v_ashrrev_i32_e32 v62, 31, v62
	v_xor_b32_e32 v66, s0, v66
	v_mul_u32_u24_e32 v60, 9, v60
	v_and_b32_e32 v61, v61, v64
	v_cmp_gt_i32_e64 s0, 0, v65
	v_ashrrev_i32_e32 v63, 31, v63
	v_xor_b32_e32 v64, vcc_lo, v62
	v_add_lshl_u32 v62, v3, v60, 2
	v_and_b32_e32 v61, v61, v66
	s_delay_alu instid0(VALU_DEP_4) | instskip(SKIP_2) | instid1(VALU_DEP_1)
	v_xor_b32_e32 v63, s0, v63
	ds_load_b32 v60, v62 offset:32
	v_and_b32_e32 v61, v61, v64
	; wave barrier
	v_and_b32_e32 v63, v61, v63
	s_delay_alu instid0(VALU_DEP_1) | instskip(SKIP_1) | instid1(VALU_DEP_2)
	v_mbcnt_lo_u32_b32 v61, v63, 0
	v_cmp_ne_u32_e64 s0, 0, v63
	v_cmp_eq_u32_e32 vcc_lo, 0, v61
	s_delay_alu instid0(VALU_DEP_2) | instskip(NEXT) | instid1(SALU_CYCLE_1)
	s_and_b32 s3, s0, vcc_lo
	s_and_saveexec_b32 s0, s3
	s_cbranch_execz .LBB49_243
; %bb.242:
	s_waitcnt lgkmcnt(0)
	v_bcnt_u32_b32 v63, v63, v60
	ds_store_b32 v62, v63 offset:32
.LBB49_243:
	s_or_b32 exec_lo, exec_lo, s0
	v_xor_b32_e32 v59, 0xffffff80, v59
	; wave barrier
	s_delay_alu instid0(VALU_DEP_1) | instskip(NEXT) | instid1(VALU_DEP_1)
	v_and_b32_e32 v63, 0xff, v59
	v_lshrrev_b32_e32 v63, s60, v63
	s_delay_alu instid0(VALU_DEP_1) | instskip(NEXT) | instid1(VALU_DEP_1)
	v_and_b32_e32 v63, s1, v63
	v_and_b32_e32 v64, 1, v63
	v_lshlrev_b32_e32 v65, 30, v63
	v_lshlrev_b32_e32 v66, 29, v63
	;; [unrolled: 1-line block ×4, first 2 shown]
	v_add_co_u32 v64, s0, v64, -1
	s_delay_alu instid0(VALU_DEP_1)
	v_cndmask_b32_e64 v68, 0, 1, s0
	v_not_b32_e32 v72, v65
	v_cmp_gt_i32_e64 s0, 0, v65
	v_not_b32_e32 v65, v66
	v_lshlrev_b32_e32 v70, 26, v63
	v_cmp_ne_u32_e32 vcc_lo, 0, v68
	v_ashrrev_i32_e32 v72, 31, v72
	v_lshlrev_b32_e32 v71, 25, v63
	v_ashrrev_i32_e32 v65, 31, v65
	v_lshlrev_b32_e32 v68, 24, v63
	v_xor_b32_e32 v64, vcc_lo, v64
	v_cmp_gt_i32_e32 vcc_lo, 0, v66
	v_not_b32_e32 v66, v67
	v_xor_b32_e32 v72, s0, v72
	v_cmp_gt_i32_e64 s0, 0, v67
	v_and_b32_e32 v64, exec_lo, v64
	v_not_b32_e32 v67, v69
	v_ashrrev_i32_e32 v66, 31, v66
	v_xor_b32_e32 v65, vcc_lo, v65
	v_cmp_gt_i32_e32 vcc_lo, 0, v69
	v_and_b32_e32 v64, v64, v72
	v_not_b32_e32 v69, v70
	v_ashrrev_i32_e32 v67, 31, v67
	v_xor_b32_e32 v66, s0, v66
	v_cmp_gt_i32_e64 s0, 0, v70
	v_and_b32_e32 v64, v64, v65
	v_not_b32_e32 v65, v71
	v_ashrrev_i32_e32 v69, 31, v69
	v_xor_b32_e32 v67, vcc_lo, v67
	v_cmp_gt_i32_e32 vcc_lo, 0, v71
	v_and_b32_e32 v64, v64, v66
	v_not_b32_e32 v66, v68
	v_ashrrev_i32_e32 v65, 31, v65
	v_xor_b32_e32 v69, s0, v69
	v_mul_u32_u24_e32 v63, 9, v63
	v_and_b32_e32 v64, v64, v67
	v_cmp_gt_i32_e64 s0, 0, v68
	v_ashrrev_i32_e32 v66, 31, v66
	v_xor_b32_e32 v67, vcc_lo, v65
	v_add_lshl_u32 v65, v3, v63, 2
	v_and_b32_e32 v64, v64, v69
	s_delay_alu instid0(VALU_DEP_4) | instskip(SKIP_2) | instid1(VALU_DEP_1)
	v_xor_b32_e32 v66, s0, v66
	ds_load_b32 v63, v65 offset:32
	v_and_b32_e32 v64, v64, v67
	; wave barrier
	v_and_b32_e32 v66, v64, v66
	s_delay_alu instid0(VALU_DEP_1) | instskip(SKIP_1) | instid1(VALU_DEP_2)
	v_mbcnt_lo_u32_b32 v64, v66, 0
	v_cmp_ne_u32_e64 s0, 0, v66
	v_cmp_eq_u32_e32 vcc_lo, 0, v64
	s_delay_alu instid0(VALU_DEP_2) | instskip(NEXT) | instid1(SALU_CYCLE_1)
	s_and_b32 s3, s0, vcc_lo
	s_and_saveexec_b32 s0, s3
	s_cbranch_execz .LBB49_245
; %bb.244:
	s_waitcnt lgkmcnt(0)
	v_bcnt_u32_b32 v66, v66, v63
	ds_store_b32 v65, v66 offset:32
.LBB49_245:
	s_or_b32 exec_lo, exec_lo, s0
	v_xor_b32_e32 v54, 0xffffff80, v54
	; wave barrier
	s_delay_alu instid0(VALU_DEP_1) | instskip(NEXT) | instid1(VALU_DEP_1)
	v_and_b32_e32 v66, 0xff, v54
	v_lshrrev_b32_e32 v66, s60, v66
	s_delay_alu instid0(VALU_DEP_1) | instskip(NEXT) | instid1(VALU_DEP_1)
	v_and_b32_e32 v66, s1, v66
	v_and_b32_e32 v67, 1, v66
	v_lshlrev_b32_e32 v68, 30, v66
	v_lshlrev_b32_e32 v69, 29, v66
	;; [unrolled: 1-line block ×4, first 2 shown]
	v_add_co_u32 v67, s0, v67, -1
	s_delay_alu instid0(VALU_DEP_1)
	v_cndmask_b32_e64 v71, 0, 1, s0
	v_not_b32_e32 v75, v68
	v_cmp_gt_i32_e64 s0, 0, v68
	v_not_b32_e32 v68, v69
	v_lshlrev_b32_e32 v73, 26, v66
	v_cmp_ne_u32_e32 vcc_lo, 0, v71
	v_ashrrev_i32_e32 v75, 31, v75
	v_lshlrev_b32_e32 v74, 25, v66
	v_ashrrev_i32_e32 v68, 31, v68
	v_lshlrev_b32_e32 v71, 24, v66
	v_xor_b32_e32 v67, vcc_lo, v67
	v_cmp_gt_i32_e32 vcc_lo, 0, v69
	v_not_b32_e32 v69, v70
	v_xor_b32_e32 v75, s0, v75
	v_cmp_gt_i32_e64 s0, 0, v70
	v_and_b32_e32 v67, exec_lo, v67
	v_not_b32_e32 v70, v72
	v_ashrrev_i32_e32 v69, 31, v69
	v_xor_b32_e32 v68, vcc_lo, v68
	v_cmp_gt_i32_e32 vcc_lo, 0, v72
	v_and_b32_e32 v67, v67, v75
	v_not_b32_e32 v72, v73
	v_ashrrev_i32_e32 v70, 31, v70
	v_xor_b32_e32 v69, s0, v69
	v_cmp_gt_i32_e64 s0, 0, v73
	v_and_b32_e32 v67, v67, v68
	v_not_b32_e32 v68, v74
	v_ashrrev_i32_e32 v72, 31, v72
	v_xor_b32_e32 v70, vcc_lo, v70
	v_cmp_gt_i32_e32 vcc_lo, 0, v74
	v_and_b32_e32 v67, v67, v69
	v_not_b32_e32 v69, v71
	v_ashrrev_i32_e32 v68, 31, v68
	v_xor_b32_e32 v72, s0, v72
	v_mul_u32_u24_e32 v66, 9, v66
	v_and_b32_e32 v67, v67, v70
	v_cmp_gt_i32_e64 s0, 0, v71
	v_ashrrev_i32_e32 v69, 31, v69
	v_xor_b32_e32 v70, vcc_lo, v68
	v_add_lshl_u32 v68, v3, v66, 2
	v_and_b32_e32 v67, v67, v72
	s_delay_alu instid0(VALU_DEP_4) | instskip(SKIP_2) | instid1(VALU_DEP_1)
	v_xor_b32_e32 v69, s0, v69
	ds_load_b32 v66, v68 offset:32
	v_and_b32_e32 v67, v67, v70
	; wave barrier
	v_and_b32_e32 v69, v67, v69
	s_delay_alu instid0(VALU_DEP_1) | instskip(SKIP_1) | instid1(VALU_DEP_2)
	v_mbcnt_lo_u32_b32 v67, v69, 0
	v_cmp_ne_u32_e64 s0, 0, v69
	v_cmp_eq_u32_e32 vcc_lo, 0, v67
	s_delay_alu instid0(VALU_DEP_2) | instskip(NEXT) | instid1(SALU_CYCLE_1)
	s_and_b32 s3, s0, vcc_lo
	s_and_saveexec_b32 s0, s3
	s_cbranch_execz .LBB49_247
; %bb.246:
	s_waitcnt lgkmcnt(0)
	v_bcnt_u32_b32 v69, v69, v66
	ds_store_b32 v68, v69 offset:32
.LBB49_247:
	s_or_b32 exec_lo, exec_lo, s0
	v_xor_b32_e32 v48, 0xffffff80, v48
	; wave barrier
	s_delay_alu instid0(VALU_DEP_1) | instskip(NEXT) | instid1(VALU_DEP_1)
	v_and_b32_e32 v69, 0xff, v48
	v_lshrrev_b32_e32 v69, s60, v69
	s_delay_alu instid0(VALU_DEP_1) | instskip(NEXT) | instid1(VALU_DEP_1)
	v_and_b32_e32 v69, s1, v69
	v_and_b32_e32 v70, 1, v69
	v_lshlrev_b32_e32 v71, 30, v69
	v_lshlrev_b32_e32 v72, 29, v69
	;; [unrolled: 1-line block ×4, first 2 shown]
	v_add_co_u32 v70, s0, v70, -1
	s_delay_alu instid0(VALU_DEP_1)
	v_cndmask_b32_e64 v74, 0, 1, s0
	v_not_b32_e32 v78, v71
	v_cmp_gt_i32_e64 s0, 0, v71
	v_not_b32_e32 v71, v72
	v_lshlrev_b32_e32 v76, 26, v69
	v_cmp_ne_u32_e32 vcc_lo, 0, v74
	v_ashrrev_i32_e32 v78, 31, v78
	v_lshlrev_b32_e32 v77, 25, v69
	v_ashrrev_i32_e32 v71, 31, v71
	v_lshlrev_b32_e32 v74, 24, v69
	v_xor_b32_e32 v70, vcc_lo, v70
	v_cmp_gt_i32_e32 vcc_lo, 0, v72
	v_not_b32_e32 v72, v73
	v_xor_b32_e32 v78, s0, v78
	v_cmp_gt_i32_e64 s0, 0, v73
	v_and_b32_e32 v70, exec_lo, v70
	v_not_b32_e32 v73, v75
	v_ashrrev_i32_e32 v72, 31, v72
	v_xor_b32_e32 v71, vcc_lo, v71
	v_cmp_gt_i32_e32 vcc_lo, 0, v75
	v_and_b32_e32 v70, v70, v78
	v_not_b32_e32 v75, v76
	v_ashrrev_i32_e32 v73, 31, v73
	v_xor_b32_e32 v72, s0, v72
	v_cmp_gt_i32_e64 s0, 0, v76
	v_and_b32_e32 v70, v70, v71
	v_not_b32_e32 v71, v77
	v_ashrrev_i32_e32 v75, 31, v75
	v_xor_b32_e32 v73, vcc_lo, v73
	v_cmp_gt_i32_e32 vcc_lo, 0, v77
	v_and_b32_e32 v70, v70, v72
	v_not_b32_e32 v72, v74
	v_ashrrev_i32_e32 v71, 31, v71
	v_xor_b32_e32 v75, s0, v75
	v_mul_u32_u24_e32 v69, 9, v69
	v_and_b32_e32 v70, v70, v73
	v_cmp_gt_i32_e64 s0, 0, v74
	v_ashrrev_i32_e32 v73, 31, v72
	v_xor_b32_e32 v71, vcc_lo, v71
	v_add_lshl_u32 v72, v3, v69, 2
	v_and_b32_e32 v70, v70, v75
	s_delay_alu instid0(VALU_DEP_4) | instskip(NEXT) | instid1(VALU_DEP_2)
	v_xor_b32_e32 v69, s0, v73
	v_and_b32_e32 v71, v70, v71
	ds_load_b32 v70, v72 offset:32
	; wave barrier
	v_and_b32_e32 v69, v71, v69
	s_delay_alu instid0(VALU_DEP_1) | instskip(SKIP_1) | instid1(VALU_DEP_2)
	v_mbcnt_lo_u32_b32 v71, v69, 0
	v_cmp_ne_u32_e64 s0, 0, v69
	v_cmp_eq_u32_e32 vcc_lo, 0, v71
	s_delay_alu instid0(VALU_DEP_2) | instskip(NEXT) | instid1(SALU_CYCLE_1)
	s_and_b32 s3, s0, vcc_lo
	s_and_saveexec_b32 s0, s3
	s_cbranch_execz .LBB49_249
; %bb.248:
	s_waitcnt lgkmcnt(0)
	v_bcnt_u32_b32 v69, v69, v70
	ds_store_b32 v72, v69 offset:32
.LBB49_249:
	s_or_b32 exec_lo, exec_lo, s0
	v_xor_b32_e32 v69, 0xffffff80, v9
	; wave barrier
	s_delay_alu instid0(VALU_DEP_1) | instskip(NEXT) | instid1(VALU_DEP_1)
	v_and_b32_e32 v9, 0xff, v69
	v_lshrrev_b32_e32 v9, s60, v9
	s_delay_alu instid0(VALU_DEP_1) | instskip(NEXT) | instid1(VALU_DEP_1)
	v_and_b32_e32 v9, s1, v9
	v_and_b32_e32 v73, 1, v9
	v_lshlrev_b32_e32 v74, 30, v9
	v_lshlrev_b32_e32 v75, 29, v9
	;; [unrolled: 1-line block ×4, first 2 shown]
	v_add_co_u32 v73, s0, v73, -1
	s_delay_alu instid0(VALU_DEP_1)
	v_cndmask_b32_e64 v77, 0, 1, s0
	v_not_b32_e32 v81, v74
	v_cmp_gt_i32_e64 s0, 0, v74
	v_not_b32_e32 v74, v75
	v_lshlrev_b32_e32 v79, 26, v9
	v_cmp_ne_u32_e32 vcc_lo, 0, v77
	v_ashrrev_i32_e32 v81, 31, v81
	v_lshlrev_b32_e32 v80, 25, v9
	v_ashrrev_i32_e32 v74, 31, v74
	v_lshlrev_b32_e32 v77, 24, v9
	v_xor_b32_e32 v73, vcc_lo, v73
	v_cmp_gt_i32_e32 vcc_lo, 0, v75
	v_not_b32_e32 v75, v76
	v_xor_b32_e32 v81, s0, v81
	v_cmp_gt_i32_e64 s0, 0, v76
	v_and_b32_e32 v73, exec_lo, v73
	v_not_b32_e32 v76, v78
	v_ashrrev_i32_e32 v75, 31, v75
	v_xor_b32_e32 v74, vcc_lo, v74
	v_cmp_gt_i32_e32 vcc_lo, 0, v78
	v_and_b32_e32 v73, v73, v81
	v_not_b32_e32 v78, v79
	v_ashrrev_i32_e32 v76, 31, v76
	v_xor_b32_e32 v75, s0, v75
	v_cmp_gt_i32_e64 s0, 0, v79
	v_and_b32_e32 v73, v73, v74
	v_not_b32_e32 v74, v80
	v_ashrrev_i32_e32 v78, 31, v78
	v_xor_b32_e32 v76, vcc_lo, v76
	v_cmp_gt_i32_e32 vcc_lo, 0, v80
	v_and_b32_e32 v73, v73, v75
	v_not_b32_e32 v75, v77
	v_ashrrev_i32_e32 v74, 31, v74
	v_xor_b32_e32 v78, s0, v78
	v_mul_u32_u24_e32 v9, 9, v9
	v_and_b32_e32 v73, v73, v76
	v_cmp_gt_i32_e64 s0, 0, v77
	v_ashrrev_i32_e32 v75, 31, v75
	v_xor_b32_e32 v74, vcc_lo, v74
	v_add_lshl_u32 v76, v3, v9, 2
	v_and_b32_e32 v73, v73, v78
	s_delay_alu instid0(VALU_DEP_4) | instskip(NEXT) | instid1(VALU_DEP_2)
	v_xor_b32_e32 v9, s0, v75
	v_and_b32_e32 v73, v73, v74
	ds_load_b32 v74, v76 offset:32
	; wave barrier
	v_and_b32_e32 v9, v73, v9
	s_delay_alu instid0(VALU_DEP_1) | instskip(SKIP_1) | instid1(VALU_DEP_2)
	v_mbcnt_lo_u32_b32 v75, v9, 0
	v_cmp_ne_u32_e64 s0, 0, v9
	v_cmp_eq_u32_e32 vcc_lo, 0, v75
	s_delay_alu instid0(VALU_DEP_2) | instskip(NEXT) | instid1(SALU_CYCLE_1)
	s_and_b32 s3, s0, vcc_lo
	s_and_saveexec_b32 s0, s3
	s_cbranch_execz .LBB49_251
; %bb.250:
	s_waitcnt lgkmcnt(0)
	v_bcnt_u32_b32 v9, v9, v74
	ds_store_b32 v76, v9 offset:32
.LBB49_251:
	s_or_b32 exec_lo, exec_lo, s0
	v_xor_b32_e32 v73, 0xffffff80, v8
	; wave barrier
	s_delay_alu instid0(VALU_DEP_1) | instskip(NEXT) | instid1(VALU_DEP_1)
	v_and_b32_e32 v8, 0xff, v73
	v_lshrrev_b32_e32 v8, s60, v8
	s_delay_alu instid0(VALU_DEP_1) | instskip(NEXT) | instid1(VALU_DEP_1)
	v_and_b32_e32 v8, s1, v8
	v_and_b32_e32 v9, 1, v8
	v_lshlrev_b32_e32 v77, 30, v8
	v_lshlrev_b32_e32 v78, 29, v8
	;; [unrolled: 1-line block ×4, first 2 shown]
	v_add_co_u32 v9, s0, v9, -1
	s_delay_alu instid0(VALU_DEP_1)
	v_cndmask_b32_e64 v80, 0, 1, s0
	v_not_b32_e32 v84, v77
	v_cmp_gt_i32_e64 s0, 0, v77
	v_not_b32_e32 v77, v78
	v_lshlrev_b32_e32 v82, 26, v8
	v_cmp_ne_u32_e32 vcc_lo, 0, v80
	v_ashrrev_i32_e32 v84, 31, v84
	v_lshlrev_b32_e32 v83, 25, v8
	v_ashrrev_i32_e32 v77, 31, v77
	v_lshlrev_b32_e32 v80, 24, v8
	v_xor_b32_e32 v9, vcc_lo, v9
	v_cmp_gt_i32_e32 vcc_lo, 0, v78
	v_not_b32_e32 v78, v79
	v_xor_b32_e32 v84, s0, v84
	v_cmp_gt_i32_e64 s0, 0, v79
	v_and_b32_e32 v9, exec_lo, v9
	v_not_b32_e32 v79, v81
	v_ashrrev_i32_e32 v78, 31, v78
	v_xor_b32_e32 v77, vcc_lo, v77
	v_cmp_gt_i32_e32 vcc_lo, 0, v81
	v_and_b32_e32 v9, v9, v84
	v_not_b32_e32 v81, v82
	v_ashrrev_i32_e32 v79, 31, v79
	v_xor_b32_e32 v78, s0, v78
	v_cmp_gt_i32_e64 s0, 0, v82
	v_and_b32_e32 v9, v9, v77
	v_not_b32_e32 v77, v83
	v_ashrrev_i32_e32 v81, 31, v81
	v_xor_b32_e32 v79, vcc_lo, v79
	v_cmp_gt_i32_e32 vcc_lo, 0, v83
	v_and_b32_e32 v9, v9, v78
	v_not_b32_e32 v78, v80
	v_ashrrev_i32_e32 v77, 31, v77
	v_xor_b32_e32 v81, s0, v81
	v_mul_u32_u24_e32 v8, 9, v8
	v_and_b32_e32 v9, v9, v79
	v_cmp_gt_i32_e64 s0, 0, v80
	v_ashrrev_i32_e32 v78, 31, v78
	v_xor_b32_e32 v77, vcc_lo, v77
	v_add_lshl_u32 v80, v3, v8, 2
	v_and_b32_e32 v9, v9, v81
	s_delay_alu instid0(VALU_DEP_4) | instskip(SKIP_2) | instid1(VALU_DEP_1)
	v_xor_b32_e32 v8, s0, v78
	ds_load_b32 v78, v80 offset:32
	v_and_b32_e32 v9, v9, v77
	; wave barrier
	v_and_b32_e32 v8, v9, v8
	s_delay_alu instid0(VALU_DEP_1) | instskip(SKIP_1) | instid1(VALU_DEP_2)
	v_mbcnt_lo_u32_b32 v79, v8, 0
	v_cmp_ne_u32_e64 s0, 0, v8
	v_cmp_eq_u32_e32 vcc_lo, 0, v79
	s_delay_alu instid0(VALU_DEP_2) | instskip(NEXT) | instid1(SALU_CYCLE_1)
	s_and_b32 s3, s0, vcc_lo
	s_and_saveexec_b32 s0, s3
	s_cbranch_execz .LBB49_253
; %bb.252:
	s_waitcnt lgkmcnt(0)
	v_bcnt_u32_b32 v8, v8, v78
	ds_store_b32 v80, v8 offset:32
.LBB49_253:
	s_or_b32 exec_lo, exec_lo, s0
	v_xor_b32_e32 v77, 0xffffff80, v7
	; wave barrier
	s_delay_alu instid0(VALU_DEP_1) | instskip(NEXT) | instid1(VALU_DEP_1)
	v_and_b32_e32 v7, 0xff, v77
	v_lshrrev_b32_e32 v7, s60, v7
	s_delay_alu instid0(VALU_DEP_1) | instskip(NEXT) | instid1(VALU_DEP_1)
	v_and_b32_e32 v7, s1, v7
	v_and_b32_e32 v8, 1, v7
	v_lshlrev_b32_e32 v9, 30, v7
	v_lshlrev_b32_e32 v81, 29, v7
	;; [unrolled: 1-line block ×4, first 2 shown]
	v_add_co_u32 v8, s0, v8, -1
	s_delay_alu instid0(VALU_DEP_1)
	v_cndmask_b32_e64 v83, 0, 1, s0
	v_not_b32_e32 v87, v9
	v_cmp_gt_i32_e64 s0, 0, v9
	v_not_b32_e32 v9, v81
	v_lshlrev_b32_e32 v85, 26, v7
	v_cmp_ne_u32_e32 vcc_lo, 0, v83
	v_ashrrev_i32_e32 v87, 31, v87
	v_lshlrev_b32_e32 v86, 25, v7
	v_ashrrev_i32_e32 v9, 31, v9
	v_lshlrev_b32_e32 v83, 24, v7
	v_xor_b32_e32 v8, vcc_lo, v8
	v_cmp_gt_i32_e32 vcc_lo, 0, v81
	v_not_b32_e32 v81, v82
	v_xor_b32_e32 v87, s0, v87
	v_cmp_gt_i32_e64 s0, 0, v82
	v_and_b32_e32 v8, exec_lo, v8
	v_not_b32_e32 v82, v84
	v_ashrrev_i32_e32 v81, 31, v81
	v_xor_b32_e32 v9, vcc_lo, v9
	v_cmp_gt_i32_e32 vcc_lo, 0, v84
	v_and_b32_e32 v8, v8, v87
	v_not_b32_e32 v84, v85
	v_ashrrev_i32_e32 v82, 31, v82
	v_xor_b32_e32 v81, s0, v81
	v_cmp_gt_i32_e64 s0, 0, v85
	v_and_b32_e32 v8, v8, v9
	v_not_b32_e32 v9, v86
	v_ashrrev_i32_e32 v84, 31, v84
	v_xor_b32_e32 v82, vcc_lo, v82
	v_cmp_gt_i32_e32 vcc_lo, 0, v86
	v_and_b32_e32 v8, v8, v81
	v_not_b32_e32 v81, v83
	v_ashrrev_i32_e32 v9, 31, v9
	v_xor_b32_e32 v84, s0, v84
	v_mul_u32_u24_e32 v7, 9, v7
	v_and_b32_e32 v8, v8, v82
	v_cmp_gt_i32_e64 s0, 0, v83
	v_ashrrev_i32_e32 v81, 31, v81
	v_xor_b32_e32 v9, vcc_lo, v9
	s_delay_alu instid0(VALU_DEP_4) | instskip(SKIP_1) | instid1(VALU_DEP_4)
	v_and_b32_e32 v8, v8, v84
	v_add_lshl_u32 v84, v3, v7, 2
	v_xor_b32_e32 v7, s0, v81
	s_delay_alu instid0(VALU_DEP_3) | instskip(SKIP_2) | instid1(VALU_DEP_1)
	v_and_b32_e32 v8, v8, v9
	ds_load_b32 v82, v84 offset:32
	; wave barrier
	v_and_b32_e32 v7, v8, v7
	v_mbcnt_lo_u32_b32 v83, v7, 0
	v_cmp_ne_u32_e64 s0, 0, v7
	s_delay_alu instid0(VALU_DEP_2) | instskip(NEXT) | instid1(VALU_DEP_2)
	v_cmp_eq_u32_e32 vcc_lo, 0, v83
	s_and_b32 s3, s0, vcc_lo
	s_delay_alu instid0(SALU_CYCLE_1)
	s_and_saveexec_b32 s0, s3
	s_cbranch_execz .LBB49_255
; %bb.254:
	s_waitcnt lgkmcnt(0)
	v_bcnt_u32_b32 v7, v7, v82
	ds_store_b32 v84, v7 offset:32
.LBB49_255:
	s_or_b32 exec_lo, exec_lo, s0
	v_xor_b32_e32 v81, 0xffffff80, v6
	; wave barrier
	s_delay_alu instid0(VALU_DEP_1) | instskip(NEXT) | instid1(VALU_DEP_1)
	v_and_b32_e32 v6, 0xff, v81
	v_lshrrev_b32_e32 v6, s60, v6
	s_delay_alu instid0(VALU_DEP_1) | instskip(NEXT) | instid1(VALU_DEP_1)
	v_and_b32_e32 v6, s1, v6
	v_and_b32_e32 v7, 1, v6
	v_lshlrev_b32_e32 v8, 30, v6
	v_lshlrev_b32_e32 v9, 29, v6
	;; [unrolled: 1-line block ×4, first 2 shown]
	v_add_co_u32 v7, s0, v7, -1
	s_delay_alu instid0(VALU_DEP_1)
	v_cndmask_b32_e64 v86, 0, 1, s0
	v_not_b32_e32 v90, v8
	v_cmp_gt_i32_e64 s0, 0, v8
	v_not_b32_e32 v8, v9
	v_lshlrev_b32_e32 v88, 26, v6
	v_cmp_ne_u32_e32 vcc_lo, 0, v86
	v_ashrrev_i32_e32 v90, 31, v90
	v_lshlrev_b32_e32 v89, 25, v6
	v_ashrrev_i32_e32 v8, 31, v8
	v_lshlrev_b32_e32 v86, 24, v6
	v_xor_b32_e32 v7, vcc_lo, v7
	v_cmp_gt_i32_e32 vcc_lo, 0, v9
	v_not_b32_e32 v9, v85
	v_xor_b32_e32 v90, s0, v90
	v_cmp_gt_i32_e64 s0, 0, v85
	v_and_b32_e32 v7, exec_lo, v7
	v_not_b32_e32 v85, v87
	v_ashrrev_i32_e32 v9, 31, v9
	v_xor_b32_e32 v8, vcc_lo, v8
	v_cmp_gt_i32_e32 vcc_lo, 0, v87
	v_and_b32_e32 v7, v7, v90
	v_not_b32_e32 v87, v88
	v_ashrrev_i32_e32 v85, 31, v85
	v_xor_b32_e32 v9, s0, v9
	v_cmp_gt_i32_e64 s0, 0, v88
	v_and_b32_e32 v7, v7, v8
	v_not_b32_e32 v8, v89
	v_ashrrev_i32_e32 v87, 31, v87
	v_xor_b32_e32 v85, vcc_lo, v85
	v_cmp_gt_i32_e32 vcc_lo, 0, v89
	v_and_b32_e32 v7, v7, v9
	v_not_b32_e32 v9, v86
	v_ashrrev_i32_e32 v8, 31, v8
	v_xor_b32_e32 v87, s0, v87
	v_mul_u32_u24_e32 v6, 9, v6
	v_and_b32_e32 v7, v7, v85
	v_cmp_gt_i32_e64 s0, 0, v86
	v_ashrrev_i32_e32 v9, 31, v9
	v_xor_b32_e32 v8, vcc_lo, v8
	v_add_lshl_u32 v88, v3, v6, 2
	v_and_b32_e32 v7, v7, v87
	s_delay_alu instid0(VALU_DEP_4) | instskip(SKIP_2) | instid1(VALU_DEP_1)
	v_xor_b32_e32 v6, s0, v9
	ds_load_b32 v86, v88 offset:32
	v_and_b32_e32 v7, v7, v8
	; wave barrier
	v_and_b32_e32 v6, v7, v6
	s_delay_alu instid0(VALU_DEP_1) | instskip(SKIP_1) | instid1(VALU_DEP_2)
	v_mbcnt_lo_u32_b32 v87, v6, 0
	v_cmp_ne_u32_e64 s0, 0, v6
	v_cmp_eq_u32_e32 vcc_lo, 0, v87
	s_delay_alu instid0(VALU_DEP_2) | instskip(NEXT) | instid1(SALU_CYCLE_1)
	s_and_b32 s3, s0, vcc_lo
	s_and_saveexec_b32 s0, s3
	s_cbranch_execz .LBB49_257
; %bb.256:
	s_waitcnt lgkmcnt(0)
	v_bcnt_u32_b32 v6, v6, v86
	ds_store_b32 v88, v6 offset:32
.LBB49_257:
	s_or_b32 exec_lo, exec_lo, s0
	v_xor_b32_e32 v85, 0xffffff80, v5
	; wave barrier
	s_delay_alu instid0(VALU_DEP_1) | instskip(NEXT) | instid1(VALU_DEP_1)
	v_and_b32_e32 v5, 0xff, v85
	v_lshrrev_b32_e32 v5, s60, v5
	s_delay_alu instid0(VALU_DEP_1) | instskip(NEXT) | instid1(VALU_DEP_1)
	v_and_b32_e32 v5, s1, v5
	v_and_b32_e32 v6, 1, v5
	v_lshlrev_b32_e32 v7, 30, v5
	v_lshlrev_b32_e32 v8, 29, v5
	;; [unrolled: 1-line block ×4, first 2 shown]
	v_add_co_u32 v6, s0, v6, -1
	s_delay_alu instid0(VALU_DEP_1)
	v_cndmask_b32_e64 v89, 0, 1, s0
	v_not_b32_e32 v93, v7
	v_cmp_gt_i32_e64 s0, 0, v7
	v_not_b32_e32 v7, v8
	v_lshlrev_b32_e32 v91, 26, v5
	v_cmp_ne_u32_e32 vcc_lo, 0, v89
	v_ashrrev_i32_e32 v93, 31, v93
	v_lshlrev_b32_e32 v92, 25, v5
	v_ashrrev_i32_e32 v7, 31, v7
	v_lshlrev_b32_e32 v89, 24, v5
	v_xor_b32_e32 v6, vcc_lo, v6
	v_cmp_gt_i32_e32 vcc_lo, 0, v8
	v_not_b32_e32 v8, v9
	v_xor_b32_e32 v93, s0, v93
	v_cmp_gt_i32_e64 s0, 0, v9
	v_and_b32_e32 v6, exec_lo, v6
	v_not_b32_e32 v9, v90
	v_ashrrev_i32_e32 v8, 31, v8
	v_xor_b32_e32 v7, vcc_lo, v7
	v_cmp_gt_i32_e32 vcc_lo, 0, v90
	v_and_b32_e32 v6, v6, v93
	v_not_b32_e32 v90, v91
	v_ashrrev_i32_e32 v9, 31, v9
	v_xor_b32_e32 v8, s0, v8
	v_cmp_gt_i32_e64 s0, 0, v91
	v_and_b32_e32 v6, v6, v7
	v_not_b32_e32 v7, v92
	v_ashrrev_i32_e32 v90, 31, v90
	v_xor_b32_e32 v9, vcc_lo, v9
	v_cmp_gt_i32_e32 vcc_lo, 0, v92
	v_and_b32_e32 v6, v6, v8
	v_not_b32_e32 v8, v89
	v_ashrrev_i32_e32 v7, 31, v7
	v_xor_b32_e32 v90, s0, v90
	v_mul_u32_u24_e32 v5, 9, v5
	v_and_b32_e32 v6, v6, v9
	v_cmp_gt_i32_e64 s0, 0, v89
	v_ashrrev_i32_e32 v8, 31, v8
	v_xor_b32_e32 v7, vcc_lo, v7
	v_add_lshl_u32 v92, v3, v5, 2
	v_and_b32_e32 v6, v6, v90
	s_delay_alu instid0(VALU_DEP_4) | instskip(SKIP_2) | instid1(VALU_DEP_1)
	v_xor_b32_e32 v5, s0, v8
	ds_load_b32 v90, v92 offset:32
	v_and_b32_e32 v6, v6, v7
	; wave barrier
	v_and_b32_e32 v5, v6, v5
	s_delay_alu instid0(VALU_DEP_1) | instskip(SKIP_1) | instid1(VALU_DEP_2)
	v_mbcnt_lo_u32_b32 v91, v5, 0
	v_cmp_ne_u32_e64 s0, 0, v5
	v_cmp_eq_u32_e32 vcc_lo, 0, v91
	s_delay_alu instid0(VALU_DEP_2) | instskip(NEXT) | instid1(SALU_CYCLE_1)
	s_and_b32 s3, s0, vcc_lo
	s_and_saveexec_b32 s0, s3
	s_cbranch_execz .LBB49_259
; %bb.258:
	s_waitcnt lgkmcnt(0)
	v_bcnt_u32_b32 v5, v5, v90
	ds_store_b32 v92, v5 offset:32
.LBB49_259:
	s_or_b32 exec_lo, exec_lo, s0
	v_xor_b32_e32 v89, 0xffffff80, v4
	; wave barrier
	s_delay_alu instid0(VALU_DEP_1) | instskip(NEXT) | instid1(VALU_DEP_1)
	v_and_b32_e32 v4, 0xff, v89
	v_lshrrev_b32_e32 v4, s60, v4
	s_delay_alu instid0(VALU_DEP_1) | instskip(NEXT) | instid1(VALU_DEP_1)
	v_and_b32_e32 v4, s1, v4
	v_and_b32_e32 v5, 1, v4
	v_lshlrev_b32_e32 v6, 30, v4
	v_lshlrev_b32_e32 v7, 29, v4
	;; [unrolled: 1-line block ×4, first 2 shown]
	v_add_co_u32 v5, s0, v5, -1
	s_delay_alu instid0(VALU_DEP_1)
	v_cndmask_b32_e64 v9, 0, 1, s0
	v_not_b32_e32 v96, v6
	v_cmp_gt_i32_e64 s0, 0, v6
	v_not_b32_e32 v6, v7
	v_lshlrev_b32_e32 v94, 26, v4
	v_cmp_ne_u32_e32 vcc_lo, 0, v9
	v_ashrrev_i32_e32 v96, 31, v96
	v_lshlrev_b32_e32 v95, 25, v4
	v_ashrrev_i32_e32 v6, 31, v6
	v_lshlrev_b32_e32 v9, 24, v4
	v_xor_b32_e32 v5, vcc_lo, v5
	v_cmp_gt_i32_e32 vcc_lo, 0, v7
	v_not_b32_e32 v7, v8
	v_xor_b32_e32 v96, s0, v96
	v_cmp_gt_i32_e64 s0, 0, v8
	v_and_b32_e32 v5, exec_lo, v5
	v_not_b32_e32 v8, v93
	v_ashrrev_i32_e32 v7, 31, v7
	v_xor_b32_e32 v6, vcc_lo, v6
	v_cmp_gt_i32_e32 vcc_lo, 0, v93
	v_and_b32_e32 v5, v5, v96
	v_not_b32_e32 v93, v94
	v_ashrrev_i32_e32 v8, 31, v8
	v_xor_b32_e32 v7, s0, v7
	v_cmp_gt_i32_e64 s0, 0, v94
	v_and_b32_e32 v5, v5, v6
	v_not_b32_e32 v6, v95
	v_ashrrev_i32_e32 v93, 31, v93
	v_xor_b32_e32 v8, vcc_lo, v8
	v_cmp_gt_i32_e32 vcc_lo, 0, v95
	v_and_b32_e32 v5, v5, v7
	v_not_b32_e32 v7, v9
	v_ashrrev_i32_e32 v6, 31, v6
	v_xor_b32_e32 v93, s0, v93
	v_mul_u32_u24_e32 v4, 9, v4
	v_and_b32_e32 v5, v5, v8
	v_cmp_gt_i32_e64 s0, 0, v9
	v_ashrrev_i32_e32 v7, 31, v7
	v_xor_b32_e32 v6, vcc_lo, v6
	v_add_lshl_u32 v96, v3, v4, 2
	v_and_b32_e32 v5, v5, v93
	s_delay_alu instid0(VALU_DEP_4) | instskip(SKIP_2) | instid1(VALU_DEP_1)
	v_xor_b32_e32 v4, s0, v7
	ds_load_b32 v94, v96 offset:32
	v_and_b32_e32 v5, v5, v6
	; wave barrier
	v_and_b32_e32 v4, v5, v4
	s_delay_alu instid0(VALU_DEP_1) | instskip(SKIP_1) | instid1(VALU_DEP_2)
	v_mbcnt_lo_u32_b32 v95, v4, 0
	v_cmp_ne_u32_e64 s0, 0, v4
	v_cmp_eq_u32_e32 vcc_lo, 0, v95
	s_delay_alu instid0(VALU_DEP_2) | instskip(NEXT) | instid1(SALU_CYCLE_1)
	s_and_b32 s3, s0, vcc_lo
	s_and_saveexec_b32 s0, s3
	s_cbranch_execz .LBB49_261
; %bb.260:
	s_waitcnt lgkmcnt(0)
	v_bcnt_u32_b32 v4, v4, v94
	ds_store_b32 v96, v4 offset:32
.LBB49_261:
	s_or_b32 exec_lo, exec_lo, s0
	v_xor_b32_e32 v93, 0xffffff80, v2
	; wave barrier
	v_add_nc_u32_e32 v100, 32, v14
	s_delay_alu instid0(VALU_DEP_2) | instskip(NEXT) | instid1(VALU_DEP_1)
	v_and_b32_e32 v2, 0xff, v93
	v_lshrrev_b32_e32 v2, s60, v2
	s_delay_alu instid0(VALU_DEP_1) | instskip(NEXT) | instid1(VALU_DEP_1)
	v_and_b32_e32 v2, s1, v2
	v_and_b32_e32 v4, 1, v2
	v_lshlrev_b32_e32 v5, 30, v2
	v_lshlrev_b32_e32 v6, 29, v2
	;; [unrolled: 1-line block ×4, first 2 shown]
	v_add_co_u32 v4, s0, v4, -1
	s_delay_alu instid0(VALU_DEP_1)
	v_cndmask_b32_e64 v8, 0, 1, s0
	v_not_b32_e32 v99, v5
	v_cmp_gt_i32_e64 s0, 0, v5
	v_not_b32_e32 v5, v6
	v_lshlrev_b32_e32 v97, 26, v2
	v_cmp_ne_u32_e32 vcc_lo, 0, v8
	v_ashrrev_i32_e32 v99, 31, v99
	v_lshlrev_b32_e32 v98, 25, v2
	v_ashrrev_i32_e32 v5, 31, v5
	v_lshlrev_b32_e32 v8, 24, v2
	v_xor_b32_e32 v4, vcc_lo, v4
	v_cmp_gt_i32_e32 vcc_lo, 0, v6
	v_not_b32_e32 v6, v7
	v_xor_b32_e32 v99, s0, v99
	v_cmp_gt_i32_e64 s0, 0, v7
	v_and_b32_e32 v4, exec_lo, v4
	v_not_b32_e32 v7, v9
	v_ashrrev_i32_e32 v6, 31, v6
	v_xor_b32_e32 v5, vcc_lo, v5
	v_cmp_gt_i32_e32 vcc_lo, 0, v9
	v_and_b32_e32 v4, v4, v99
	v_not_b32_e32 v9, v97
	v_ashrrev_i32_e32 v7, 31, v7
	v_xor_b32_e32 v6, s0, v6
	v_cmp_gt_i32_e64 s0, 0, v97
	v_and_b32_e32 v4, v4, v5
	v_not_b32_e32 v5, v98
	v_ashrrev_i32_e32 v9, 31, v9
	v_xor_b32_e32 v7, vcc_lo, v7
	v_cmp_gt_i32_e32 vcc_lo, 0, v98
	v_and_b32_e32 v4, v4, v6
	v_not_b32_e32 v6, v8
	v_ashrrev_i32_e32 v5, 31, v5
	v_xor_b32_e32 v9, s0, v9
	v_mul_u32_u24_e32 v2, 9, v2
	v_and_b32_e32 v4, v4, v7
	v_cmp_gt_i32_e64 s0, 0, v8
	v_ashrrev_i32_e32 v6, 31, v6
	v_xor_b32_e32 v5, vcc_lo, v5
	v_add_lshl_u32 v99, v3, v2, 2
	v_and_b32_e32 v4, v4, v9
	s_delay_alu instid0(VALU_DEP_4) | instskip(SKIP_2) | instid1(VALU_DEP_1)
	v_xor_b32_e32 v2, s0, v6
	ds_load_b32 v97, v99 offset:32
	v_and_b32_e32 v3, v4, v5
	; wave barrier
	v_and_b32_e32 v2, v3, v2
	s_delay_alu instid0(VALU_DEP_1) | instskip(SKIP_1) | instid1(VALU_DEP_2)
	v_mbcnt_lo_u32_b32 v98, v2, 0
	v_cmp_ne_u32_e64 s0, 0, v2
	v_cmp_eq_u32_e32 vcc_lo, 0, v98
	s_delay_alu instid0(VALU_DEP_2) | instskip(NEXT) | instid1(SALU_CYCLE_1)
	s_and_b32 s3, s0, vcc_lo
	s_and_saveexec_b32 s0, s3
	s_cbranch_execz .LBB49_263
; %bb.262:
	s_waitcnt lgkmcnt(0)
	v_bcnt_u32_b32 v2, v2, v97
	ds_store_b32 v99, v2 offset:32
.LBB49_263:
	s_or_b32 exec_lo, exec_lo, s0
	; wave barrier
	s_waitcnt lgkmcnt(0)
	s_barrier
	buffer_gl0_inv
	ds_load_2addr_b32 v[8:9], v14 offset0:8 offset1:9
	ds_load_2addr_b32 v[6:7], v100 offset0:2 offset1:3
	;; [unrolled: 1-line block ×4, first 2 shown]
	ds_load_b32 v101, v100 offset:32
	v_min_u32_e32 v12, 0xe0, v12
	s_mov_b32 s0, exec_lo
	s_delay_alu instid0(VALU_DEP_1) | instskip(SKIP_3) | instid1(VALU_DEP_1)
	v_or_b32_e32 v104, 31, v12
	s_waitcnt lgkmcnt(3)
	v_add3_u32 v102, v9, v8, v6
	s_waitcnt lgkmcnt(2)
	v_add3_u32 v102, v102, v7, v4
	s_waitcnt lgkmcnt(1)
	s_delay_alu instid0(VALU_DEP_1) | instskip(SKIP_1) | instid1(VALU_DEP_1)
	v_add3_u32 v102, v102, v5, v2
	s_waitcnt lgkmcnt(0)
	v_add3_u32 v101, v102, v3, v101
	v_and_b32_e32 v102, 15, v51
	s_delay_alu instid0(VALU_DEP_2) | instskip(NEXT) | instid1(VALU_DEP_2)
	v_mov_b32_dpp v103, v101 row_shr:1 row_mask:0xf bank_mask:0xf
	v_cmp_ne_u32_e32 vcc_lo, 0, v102
	s_delay_alu instid0(VALU_DEP_2) | instskip(SKIP_1) | instid1(VALU_DEP_2)
	v_cndmask_b32_e32 v103, 0, v103, vcc_lo
	v_cmp_lt_u32_e32 vcc_lo, 1, v102
	v_add_nc_u32_e32 v101, v103, v101
	s_delay_alu instid0(VALU_DEP_1) | instskip(NEXT) | instid1(VALU_DEP_1)
	v_mov_b32_dpp v103, v101 row_shr:2 row_mask:0xf bank_mask:0xf
	v_cndmask_b32_e32 v103, 0, v103, vcc_lo
	v_cmp_lt_u32_e32 vcc_lo, 3, v102
	s_delay_alu instid0(VALU_DEP_2) | instskip(NEXT) | instid1(VALU_DEP_1)
	v_add_nc_u32_e32 v101, v101, v103
	v_mov_b32_dpp v103, v101 row_shr:4 row_mask:0xf bank_mask:0xf
	s_delay_alu instid0(VALU_DEP_1) | instskip(SKIP_1) | instid1(VALU_DEP_2)
	v_cndmask_b32_e32 v103, 0, v103, vcc_lo
	v_cmp_lt_u32_e32 vcc_lo, 7, v102
	v_add_nc_u32_e32 v101, v101, v103
	s_delay_alu instid0(VALU_DEP_1) | instskip(NEXT) | instid1(VALU_DEP_1)
	v_mov_b32_dpp v103, v101 row_shr:8 row_mask:0xf bank_mask:0xf
	v_cndmask_b32_e32 v102, 0, v103, vcc_lo
	v_bfe_i32 v103, v51, 4, 1
	s_delay_alu instid0(VALU_DEP_2) | instskip(SKIP_4) | instid1(VALU_DEP_2)
	v_add_nc_u32_e32 v102, v101, v102
	ds_swizzle_b32 v101, v102 offset:swizzle(BROADCAST,32,15)
	s_waitcnt lgkmcnt(0)
	v_and_b32_e32 v103, v103, v101
	v_lshrrev_b32_e32 v101, 5, v1
	v_add_nc_u32_e32 v12, v102, v103
	v_cmpx_eq_u32_e64 v104, v1
	s_cbranch_execz .LBB49_265
; %bb.264:
	s_delay_alu instid0(VALU_DEP_3)
	v_lshlrev_b32_e32 v102, 2, v101
	ds_store_b32 v102, v12
.LBB49_265:
	s_or_b32 exec_lo, exec_lo, s0
	s_delay_alu instid0(SALU_CYCLE_1)
	s_mov_b32 s0, exec_lo
	s_waitcnt lgkmcnt(0)
	s_barrier
	buffer_gl0_inv
	v_cmpx_gt_u32_e32 8, v1
	s_cbranch_execz .LBB49_267
; %bb.266:
	v_lshlrev_b32_e32 v102, 2, v1
	ds_load_b32 v103, v102
	s_waitcnt lgkmcnt(0)
	v_mov_b32_dpp v105, v103 row_shr:1 row_mask:0xf bank_mask:0xf
	v_and_b32_e32 v104, 7, v51
	s_delay_alu instid0(VALU_DEP_1) | instskip(NEXT) | instid1(VALU_DEP_3)
	v_cmp_ne_u32_e32 vcc_lo, 0, v104
	v_cndmask_b32_e32 v105, 0, v105, vcc_lo
	v_cmp_lt_u32_e32 vcc_lo, 1, v104
	s_delay_alu instid0(VALU_DEP_2) | instskip(NEXT) | instid1(VALU_DEP_1)
	v_add_nc_u32_e32 v103, v105, v103
	v_mov_b32_dpp v105, v103 row_shr:2 row_mask:0xf bank_mask:0xf
	s_delay_alu instid0(VALU_DEP_1) | instskip(SKIP_1) | instid1(VALU_DEP_2)
	v_cndmask_b32_e32 v105, 0, v105, vcc_lo
	v_cmp_lt_u32_e32 vcc_lo, 3, v104
	v_add_nc_u32_e32 v103, v103, v105
	s_delay_alu instid0(VALU_DEP_1) | instskip(NEXT) | instid1(VALU_DEP_1)
	v_mov_b32_dpp v105, v103 row_shr:4 row_mask:0xf bank_mask:0xf
	v_cndmask_b32_e32 v104, 0, v105, vcc_lo
	s_delay_alu instid0(VALU_DEP_1)
	v_add_nc_u32_e32 v103, v103, v104
	ds_store_b32 v102, v103
.LBB49_267:
	s_or_b32 exec_lo, exec_lo, s0
	v_mov_b32_e32 v102, 0
	s_mov_b32 s0, exec_lo
	s_waitcnt lgkmcnt(0)
	s_barrier
	buffer_gl0_inv
	v_cmpx_lt_u32_e32 31, v1
	s_cbranch_execz .LBB49_269
; %bb.268:
	v_lshl_add_u32 v101, v101, 2, -4
	ds_load_b32 v102, v101
.LBB49_269:
	s_or_b32 exec_lo, exec_lo, s0
	v_add_nc_u32_e32 v101, -1, v51
	s_mov_b32 s0, 0
	s_mov_b32 s3, exec_lo
	s_waitcnt lgkmcnt(0)
	v_add_nc_u32_e32 v12, v102, v12
	v_cmp_gt_i32_e32 vcc_lo, 0, v101
	v_cndmask_b32_e32 v101, v101, v51, vcc_lo
	v_cmp_eq_u32_e32 vcc_lo, 0, v51
	s_delay_alu instid0(VALU_DEP_2) | instskip(SKIP_4) | instid1(VALU_DEP_2)
	v_lshlrev_b32_e32 v101, 2, v101
	ds_bpermute_b32 v12, v101, v12
	s_waitcnt lgkmcnt(0)
	v_cndmask_b32_e32 v12, v12, v102, vcc_lo
	v_cmp_ne_u32_e32 vcc_lo, 0, v1
	v_cndmask_b32_e32 v12, 0, v12, vcc_lo
	s_delay_alu instid0(VALU_DEP_1) | instskip(NEXT) | instid1(VALU_DEP_1)
	v_add_nc_u32_e32 v8, v12, v8
	v_add_nc_u32_e32 v9, v8, v9
	s_delay_alu instid0(VALU_DEP_1) | instskip(NEXT) | instid1(VALU_DEP_1)
	v_add_nc_u32_e32 v6, v9, v6
	v_add_nc_u32_e32 v7, v6, v7
	;; [unrolled: 3-line block ×4, first 2 shown]
	ds_store_2addr_b32 v14, v12, v8 offset0:8 offset1:9
	ds_store_2addr_b32 v100, v9, v6 offset0:2 offset1:3
	;; [unrolled: 1-line block ×4, first 2 shown]
	ds_store_b32 v100, v3 offset:32
	v_mov_b32_e32 v2, 0x1600
	s_waitcnt lgkmcnt(0)
	s_barrier
	buffer_gl0_inv
	ds_load_b32 v4, v19 offset:32
	ds_load_b32 v5, v23 offset:32
	;; [unrolled: 1-line block ×23, first 2 shown]
	v_add_nc_u32_e32 v14, 1, v1
	s_delay_alu instid0(VALU_DEP_1)
	v_cmpx_ne_u32_e32 0x100, v14
	s_cbranch_execz .LBB49_271
; %bb.270:
	v_mul_u32_u24_e32 v2, 9, v14
	s_delay_alu instid0(VALU_DEP_1)
	v_lshlrev_b32_e32 v2, 2, v2
	ds_load_b32 v2, v2 offset:32
.LBB49_271:
	s_or_b32 exec_lo, exec_lo, s3
	s_waitcnt lgkmcnt(1)
	v_add_nc_u32_e32 v58, v15, v13
	v_add3_u32 v47, v18, v17, v4
	v_add3_u32 v43, v22, v21, v5
	v_mov_b32_e32 v5, 0
	v_lshl_add_u32 v4, s15, 8, v1
	v_add3_u32 v39, v26, v25, v6
	v_add3_u32 v35, v30, v29, v7
	;; [unrolled: 1-line block ×3, first 2 shown]
	s_waitcnt lgkmcnt(0)
	v_sub_nc_u32_e32 v52, v2, v3
	v_lshlrev_b64 v[6:7], 2, v[4:5]
	v_add3_u32 v33, v34, v33, v8
	v_add3_u32 v31, v38, v37, v9
	;; [unrolled: 1-line block ×5, first 2 shown]
	v_add_co_u32 v6, vcc_lo, s66, v6
	v_add3_u32 v25, v61, v60, v62
	v_add3_u32 v23, v64, v63, v65
	;; [unrolled: 1-line block ×11, first 2 shown]
	s_barrier
	buffer_gl0_inv
	ds_store_b8 v58, v11 offset:2048
	ds_store_b8 v47, v0 offset:2048
	;; [unrolled: 1-line block ×15, first 2 shown]
	v_add_co_ci_u32_e32 v7, vcc_lo, s67, v7, vcc_lo
	v_or_b32_e32 v2, 2.0, v52
	v_mov_b32_e32 v0, 0
	ds_store_b8 v19, v69 offset:2048
	ds_store_b8 v18, v73 offset:2048
	;; [unrolled: 1-line block ×7, first 2 shown]
	s_waitcnt lgkmcnt(0)
	s_barrier
	buffer_gl0_inv
	global_store_b32 v[6:7], v2, off
                                        ; implicit-def: $sgpr3
	s_branch .LBB49_274
	.p2align	6
.LBB49_272:                             ;   in Loop: Header=BB49_274 Depth=1
	s_or_b32 exec_lo, exec_lo, s4
.LBB49_273:                             ;   in Loop: Header=BB49_274 Depth=1
	s_delay_alu instid0(SALU_CYCLE_1) | instskip(SKIP_2) | instid1(VALU_DEP_2)
	s_or_b32 exec_lo, exec_lo, s3
	v_and_b32_e32 v4, 0x3fffffff, v4
	v_cmp_eq_u32_e64 s3, 0x80000000, v2
	v_add_nc_u32_e32 v0, v4, v0
	s_delay_alu instid0(VALU_DEP_2) | instskip(NEXT) | instid1(SALU_CYCLE_1)
	s_and_b32 s4, exec_lo, s3
	s_or_b32 s0, s4, s0
	s_delay_alu instid0(SALU_CYCLE_1)
	s_and_not1_b32 exec_lo, exec_lo, s0
	s_cbranch_execz .LBB49_279
.LBB49_274:                             ; =>This Loop Header: Depth=1
                                        ;     Child Loop BB49_277 Depth 2
	s_or_b32 s3, s3, exec_lo
	s_cmp_eq_u32 s63, 0
	s_cbranch_scc1 .LBB49_278
; %bb.275:                              ;   in Loop: Header=BB49_274 Depth=1
	s_add_i32 s63, s63, -1
	s_mov_b32 s3, exec_lo
	v_lshl_add_u32 v4, s63, 8, v1
	s_delay_alu instid0(VALU_DEP_1) | instskip(NEXT) | instid1(VALU_DEP_1)
	v_lshlrev_b64 v[8:9], 2, v[4:5]
	v_add_co_u32 v8, vcc_lo, s66, v8
	s_delay_alu instid0(VALU_DEP_2) | instskip(SKIP_3) | instid1(VALU_DEP_1)
	v_add_co_ci_u32_e32 v9, vcc_lo, s67, v9, vcc_lo
	global_load_b32 v4, v[8:9], off glc
	s_waitcnt vmcnt(0)
	v_and_b32_e32 v2, -2.0, v4
	v_cmpx_eq_u32_e32 0, v2
	s_cbranch_execz .LBB49_273
; %bb.276:                              ;   in Loop: Header=BB49_274 Depth=1
	s_mov_b32 s4, 0
.LBB49_277:                             ;   Parent Loop BB49_274 Depth=1
                                        ; =>  This Inner Loop Header: Depth=2
	global_load_b32 v4, v[8:9], off glc
	s_waitcnt vmcnt(0)
	v_and_b32_e32 v2, -2.0, v4
	s_delay_alu instid0(VALU_DEP_1) | instskip(SKIP_1) | instid1(SALU_CYCLE_1)
	v_cmp_ne_u32_e32 vcc_lo, 0, v2
	s_or_b32 s4, vcc_lo, s4
	s_and_not1_b32 exec_lo, exec_lo, s4
	s_cbranch_execnz .LBB49_277
	s_branch .LBB49_272
.LBB49_278:                             ;   in Loop: Header=BB49_274 Depth=1
                                        ; implicit-def: $sgpr63
	s_and_b32 s4, exec_lo, s3
	s_delay_alu instid0(SALU_CYCLE_1) | instskip(NEXT) | instid1(SALU_CYCLE_1)
	s_or_b32 s0, s4, s0
	s_and_not1_b32 exec_lo, exec_lo, s0
	s_cbranch_execnz .LBB49_274
.LBB49_279:
	s_or_b32 exec_lo, exec_lo, s0
	v_add_nc_u32_e32 v2, v0, v52
	v_lshlrev_b32_e32 v53, 3, v1
	v_lshlrev_b32_e32 v9, 3, v51
	s_lshl_b64 s[4:5], s[64:65], 3
	v_lshlrev_b32_e32 v10, 3, v10
	v_or_b32_e32 v2, 0x80000000, v2
	v_add_nc_u32_e32 v5, 0x1100, v1
	v_or_b32_e32 v8, 0x1400, v1
	v_lshlrev_b32_e32 v58, 3, v58
	v_lshlrev_b32_e32 v47, 3, v47
	global_store_b32 v[6:7], v2, off
	global_load_b64 v[36:37], v53, s[56:57]
	v_sub_co_u32 v2, s0, v0, v3
	s_delay_alu instid0(VALU_DEP_1) | instskip(SKIP_3) | instid1(VALU_DEP_1)
	v_sub_co_ci_u32_e64 v4, null, 0, 0, s0
	s_add_u32 s0, s52, s4
	s_addc_u32 s3, s53, s5
	v_add_co_u32 v11, s0, s0, v9
	v_add_co_ci_u32_e64 v16, null, s3, 0, s0
	v_or_b32_e32 v0, 0x1000, v1
	s_delay_alu instid0(VALU_DEP_3) | instskip(NEXT) | instid1(VALU_DEP_3)
	v_add_co_u32 v54, vcc_lo, v11, v10
	v_add_co_ci_u32_e32 v55, vcc_lo, 0, v16, vcc_lo
	v_add_nc_u32_e32 v6, 0x1200, v1
	v_add_nc_u32_e32 v7, 0x1300, v1
	;; [unrolled: 1-line block ×3, first 2 shown]
	v_lshlrev_b32_e32 v43, 3, v43
	v_lshlrev_b32_e32 v39, 3, v39
	;; [unrolled: 1-line block ×20, first 2 shown]
	s_add_i32 s2, s2, -1
	s_delay_alu instid0(SALU_CYCLE_1)
	s_cmp_eq_u32 s15, s2
	s_cselect_b32 s2, -1, 0
	s_waitcnt vmcnt(0)
	v_add_co_u32 v10, vcc_lo, v2, v36
	v_add_co_ci_u32_e32 v11, vcc_lo, v4, v37, vcc_lo
	v_add_co_u32 v56, vcc_lo, 0x1000, v54
	v_add_co_ci_u32_e32 v57, vcc_lo, 0, v55, vcc_lo
	ds_store_b64 v53, v[10:11]
	s_waitcnt lgkmcnt(0)
	s_waitcnt_vscnt null, 0x0
	s_barrier
	buffer_gl0_inv
	ds_load_u8 v2, v1 offset:2304
	ds_load_u8 v4, v1 offset:2560
	;; [unrolled: 1-line block ×22, first 2 shown]
	s_waitcnt lgkmcnt(19)
	v_and_b32_e32 v59, 0xff, v10
	v_xor_b32_e32 v103, 0x80, v10
	s_waitcnt lgkmcnt(18)
	v_and_b32_e32 v10, 0xff, v11
	v_xor_b32_e32 v104, 0x80, v11
	;; [unrolled: 3-line block ×18, first 2 shown]
	s_waitcnt lgkmcnt(1)
	v_and_b32_e32 v48, 0xff, v49
	v_lshrrev_b32_e32 v10, s60, v10
	v_lshrrev_b32_e32 v11, s60, v11
	;; [unrolled: 1-line block ×6, first 2 shown]
	v_and_b32_e32 v50, 0xff, v2
	v_and_b32_e32 v51, 0xff, v4
	v_lshrrev_b32_e32 v24, s60, v24
	v_lshrrev_b32_e32 v28, s60, v28
	;; [unrolled: 1-line block ×12, first 2 shown]
	v_and_b32_e32 v10, s1, v10
	v_and_b32_e32 v65, s1, v46
	;; [unrolled: 1-line block ×6, first 2 shown]
	v_xor_b32_e32 v121, 0x80, v49
	v_lshrrev_b32_e32 v49, s60, v50
	v_lshrrev_b32_e32 v50, s60, v51
	;; [unrolled: 1-line block ×3, first 2 shown]
	v_and_b32_e32 v24, s1, v24
	v_and_b32_e32 v28, s1, v28
	;; [unrolled: 1-line block ×12, first 2 shown]
	v_lshlrev_b32_e32 v44, 3, v10
	v_lshlrev_b32_e32 v10, 3, v65
	v_lshlrev_b32_e32 v45, 3, v11
	v_lshlrev_b32_e32 v11, 3, v66
	v_lshlrev_b32_e32 v46, 3, v16
	v_lshlrev_b32_e32 v48, 3, v20
	v_lshlrev_b32_e32 v38, 3, v24
	v_lshlrev_b32_e32 v40, 3, v28
	v_lshlrev_b32_e32 v41, 3, v32
	v_lshlrev_b32_e32 v42, 3, v34
	v_lshlrev_b32_e32 v20, 3, v36
	v_lshlrev_b32_e32 v24, 3, v37
	v_lshlrev_b32_e32 v28, 3, v59
	v_lshlrev_b32_e32 v32, 3, v60
	v_lshlrev_b32_e32 v16, 3, v61
	v_lshlrev_b32_e32 v34, 3, v62
	v_lshlrev_b32_e32 v36, 3, v63
	v_lshlrev_b32_e32 v37, 3, v64
	ds_load_b64 v[59:60], v10
	ds_load_b64 v[61:62], v11
	s_waitcnt lgkmcnt(2)
	v_and_b32_e32 v71, 0xff, v67
	v_xor_b32_e32 v122, 0x80, v67
	ds_load_b64 v[63:64], v44
	ds_load_b64 v[65:66], v45
	;; [unrolled: 1-line block ×4, first 2 shown]
	v_and_b32_e32 v49, s1, v49
	v_and_b32_e32 v50, s1, v50
	v_lshrrev_b32_e32 v79, s60, v71
	ds_load_b64 v[71:72], v38
	ds_load_b64 v[73:74], v40
	;; [unrolled: 1-line block ×4, first 2 shown]
	v_and_b32_e32 v51, s1, v51
	v_lshlrev_b32_e32 v49, 3, v49
	v_lshlrev_b32_e32 v50, 3, v50
	v_and_b32_e32 v87, s1, v79
	ds_load_b64 v[79:80], v20
	ds_load_b64 v[81:82], v24
	;; [unrolled: 1-line block ×4, first 2 shown]
	v_lshlrev_b32_e32 v51, 3, v51
	v_xor_b32_e32 v2, 0x80, v2
	v_xor_b32_e32 v4, 0x80, v4
	v_lshlrev_b32_e32 v123, 3, v87
	ds_load_b64 v[87:88], v16
	ds_load_b64 v[89:90], v34
	;; [unrolled: 1-line block ×8, first 2 shown]
	s_waitcnt lgkmcnt(19)
	v_add_co_u32 v63, vcc_lo, s50, v63
	v_add_co_ci_u32_e32 v64, vcc_lo, s51, v64, vcc_lo
	s_waitcnt lgkmcnt(18)
	v_add_co_u32 v65, vcc_lo, s50, v65
	v_add_co_ci_u32_e32 v66, vcc_lo, s51, v66, vcc_lo
	;; [unrolled: 3-line block ×16, first 2 shown]
	v_add_co_u32 v124, vcc_lo, s50, v59
	v_add_co_ci_u32_e32 v125, vcc_lo, s51, v60, vcc_lo
	v_add_co_u32 v126, vcc_lo, s50, v61
	v_add_co_ci_u32_e32 v127, vcc_lo, s51, v62, vcc_lo
	;; [unrolled: 2-line block ×19, first 2 shown]
	s_waitcnt lgkmcnt(3)
	v_add_co_u32 v93, vcc_lo, s50, v95
	v_add_co_ci_u32_e32 v94, vcc_lo, s51, v96, vcc_lo
	s_waitcnt lgkmcnt(2)
	v_add_co_u32 v95, vcc_lo, s50, v97
	v_add_co_ci_u32_e32 v96, vcc_lo, s51, v98, vcc_lo
	;; [unrolled: 3-line block ×4, first 2 shown]
	v_add_co_u32 v93, vcc_lo, v93, v1
	v_add_co_ci_u32_e32 v94, vcc_lo, 0, v94, vcc_lo
	v_add_co_u32 v95, vcc_lo, v95, v1
	v_add_co_ci_u32_e32 v96, vcc_lo, 0, v96, vcc_lo
	;; [unrolled: 2-line block ×5, first 2 shown]
	s_clause 0x15
	global_store_b8 v[93:94], v122, off
	global_store_b8 v[95:96], v2, off offset:256
	global_store_b8 v[97:98], v4, off offset:512
	;; [unrolled: 1-line block ×15, first 2 shown]
	global_store_b8 v[83:84], v116, off
	global_store_b8 v[85:86], v117, off
	;; [unrolled: 1-line block ×6, first 2 shown]
	s_clause 0x15
	global_load_b64 v[59:60], v[54:55], off
	global_load_b64 v[61:62], v[54:55], off offset:256
	global_load_b64 v[63:64], v[54:55], off offset:512
	;; [unrolled: 1-line block ×15, first 2 shown]
	global_load_b64 v[89:90], v[56:57], off
	global_load_b64 v[91:92], v[56:57], off offset:256
	global_load_b64 v[93:94], v[56:57], off offset:512
	global_load_b64 v[95:96], v[56:57], off offset:768
	global_load_b64 v[97:98], v[56:57], off offset:1024
	global_load_b64 v[56:57], v[56:57], off offset:1280
	v_dual_mov_b32 v2, 0 :: v_dual_lshlrev_b32 v115, 3, v6
	v_lshlrev_b32_e32 v116, 3, v7
	v_lshlrev_b32_e32 v117, 3, v8
	;; [unrolled: 1-line block ×3, first 2 shown]
	s_delay_alu instid0(VALU_DEP_4)
	v_mov_b32_e32 v4, v2
	v_lshlrev_b32_e32 v114, 3, v5
	s_waitcnt vmcnt(0)
	s_waitcnt_vscnt null, 0x0
	s_barrier
	buffer_gl0_inv
	v_add_nc_u32_e32 v100, 0x1000, v53
	v_add_nc_u32_e32 v101, 0x1800, v53
	v_or_b32_e32 v102, 0x2000, v53
	v_add_nc_u32_e32 v103, 0x2800, v53
	v_add_nc_u32_e32 v104, 0x3000, v53
	v_add_nc_u32_e32 v105, 0x3800, v53
	v_or_b32_e32 v106, 0x4000, v53
	v_add_nc_u32_e32 v107, 0x4800, v53
	;; [unrolled: 4-line block ×3, first 2 shown]
	v_add_nc_u32_e32 v112, 0x7000, v53
	v_add_nc_u32_e32 v113, 0x7800, v53
	v_lshlrev_b32_e32 v0, 3, v0
	ds_store_b64 v58, v[59:60] offset:2048
	ds_store_b64 v47, v[61:62] offset:2048
	;; [unrolled: 1-line block ×22, first 2 shown]
	s_waitcnt lgkmcnt(0)
	s_barrier
	buffer_gl0_inv
	ds_load_2addr_stride64_b64 v[5:8], v53 offset0:4 offset1:8
	ds_load_2addr_stride64_b64 v[12:15], v53 offset0:12 offset1:16
	ds_load_b64 v[29:30], v123
	ds_load_b64 v[66:67], v49
	ds_load_b64 v[68:69], v50
	ds_load_b64 v[70:71], v51
	ds_load_2addr_stride64_b64 v[54:57], v53 offset0:20 offset1:24
	ds_load_2addr_stride64_b64 v[58:61], v53 offset0:28 offset1:32
	ds_load_b64 v[72:73], v44
	ds_load_b64 v[74:75], v45
	ds_load_b64 v[76:77], v46
	ds_load_b64 v[78:79], v48
	ds_load_2addr_stride64_b64 v[43:46], v53 offset0:36 offset1:40
	ds_load_2addr_stride64_b64 v[47:50], v53 offset0:44 offset1:48
	ds_load_b64 v[80:81], v38
	ds_load_b64 v[82:83], v40
	ds_load_b64 v[84:85], v41
	ds_load_b64 v[86:87], v42
	ds_load_2addr_stride64_b64 v[38:41], v53 offset0:52 offset1:56
	ds_load_2addr_stride64_b64 v[62:65], v53 offset0:60 offset1:64
	ds_load_b64 v[88:89], v20
	ds_load_b64 v[90:91], v24
	ds_load_b64 v[92:93], v28
	ds_load_b64 v[31:32], v32
	ds_load_2addr_stride64_b64 v[17:20], v53 offset0:68 offset1:72
	ds_load_2addr_stride64_b64 v[21:24], v53 offset0:76 offset1:80
	ds_load_b64 v[94:95], v16
	ds_load_b64 v[33:34], v34
	ds_load_b64 v[35:36], v36
	ds_load_b64 v[96:97], v37
	ds_load_2addr_stride64_b64 v[25:28], v53 offset0:84 offset1:88
	ds_load_b64 v[9:10], v10
	ds_load_b64 v[98:99], v11
	s_waitcnt lgkmcnt(30)
	v_lshlrev_b64 v[29:30], 3, v[29:30]
	s_waitcnt lgkmcnt(29)
	v_lshlrev_b64 v[66:67], 3, v[66:67]
	;; [unrolled: 2-line block ×6, first 2 shown]
	v_add_co_u32 v11, vcc_lo, s54, v29
	v_add_co_ci_u32_e32 v16, vcc_lo, s55, v30, vcc_lo
	v_add_co_u32 v29, vcc_lo, s54, v66
	v_add_co_ci_u32_e32 v30, vcc_lo, s55, v67, vcc_lo
	;; [unrolled: 2-line block ×4, first 2 shown]
	s_waitcnt lgkmcnt(22)
	v_lshlrev_b64 v[76:77], 3, v[76:77]
	v_add_co_u32 v67, vcc_lo, s54, v72
	v_add_co_ci_u32_e32 v68, vcc_lo, s55, v73, vcc_lo
	s_waitcnt lgkmcnt(21)
	v_lshlrev_b64 v[78:79], 3, v[78:79]
	v_add_co_u32 v69, vcc_lo, s54, v74
	v_add_co_ci_u32_e32 v70, vcc_lo, s55, v75, vcc_lo
	;; [unrolled: 4-line block ×16, first 2 shown]
	v_add_co_u32 v120, vcc_lo, s54, v9
	v_add_co_ci_u32_e32 v121, vcc_lo, s55, v10, vcc_lo
	v_add_co_u32 v98, vcc_lo, s54, v98
	v_add_co_ci_u32_e32 v99, vcc_lo, s55, v99, vcc_lo
	;; [unrolled: 2-line block ×24, first 2 shown]
	s_clause 0x15
	global_store_b64 v[9:10], v[5:6], off
	global_store_b64 v[29:30], v[7:8], off offset:2048
	global_store_b64 v[31:32], v[12:13], off
	global_store_b64 v[33:34], v[14:15], off
	;; [unrolled: 1-line block ×20, first 2 shown]
.LBB49_280:
	s_and_b32 vcc_lo, exec_lo, s2
	s_cbranch_vccnz .LBB49_282
; %bb.281:
	s_nop 0
	s_sendmsg sendmsg(MSG_DEALLOC_VGPRS)
	s_endpgm
.LBB49_282:
	ds_load_b64 v[5:6], v53
	v_lshlrev_b64 v[0:1], 3, v[1:2]
	v_add_co_u32 v2, vcc_lo, v3, v52
	v_add_co_ci_u32_e32 v3, vcc_lo, 0, v4, vcc_lo
	s_delay_alu instid0(VALU_DEP_3) | instskip(NEXT) | instid1(VALU_DEP_4)
	v_add_co_u32 v0, vcc_lo, s58, v0
	v_add_co_ci_u32_e32 v1, vcc_lo, s59, v1, vcc_lo
	s_waitcnt lgkmcnt(0)
	v_add_co_u32 v2, vcc_lo, v2, v5
	v_add_co_ci_u32_e32 v3, vcc_lo, v3, v6, vcc_lo
	global_store_b64 v[0:1], v[2:3], off
	s_nop 0
	s_sendmsg sendmsg(MSG_DEALLOC_VGPRS)
	s_endpgm
.LBB49_283:
	global_load_b64 v[5:6], v[49:50], off
	s_or_b32 exec_lo, exec_lo, s47
                                        ; implicit-def: $vgpr7_vgpr8
	s_and_saveexec_b32 s47, s2
	s_cbranch_execz .LBB49_151
.LBB49_284:
	global_load_b64 v[7:8], v[49:50], off offset:256
	s_or_b32 exec_lo, exec_lo, s47
                                        ; implicit-def: $vgpr9_vgpr10
	s_and_saveexec_b32 s2, s3
	s_cbranch_execz .LBB49_152
.LBB49_285:
	global_load_b64 v[9:10], v[49:50], off offset:512
	s_or_b32 exec_lo, exec_lo, s2
                                        ; implicit-def: $vgpr11_vgpr12
	s_and_saveexec_b32 s2, s4
	s_cbranch_execz .LBB49_153
.LBB49_286:
	global_load_b64 v[11:12], v[49:50], off offset:768
	s_or_b32 exec_lo, exec_lo, s2
                                        ; implicit-def: $vgpr13_vgpr14
	s_and_saveexec_b32 s2, s5
	s_cbranch_execz .LBB49_154
.LBB49_287:
	global_load_b64 v[13:14], v[49:50], off offset:1024
	s_or_b32 exec_lo, exec_lo, s2
                                        ; implicit-def: $vgpr15_vgpr16
	s_and_saveexec_b32 s2, s6
	s_cbranch_execz .LBB49_155
.LBB49_288:
	global_load_b64 v[15:16], v[49:50], off offset:1280
	s_or_b32 exec_lo, exec_lo, s2
                                        ; implicit-def: $vgpr17_vgpr18
	s_and_saveexec_b32 s2, s7
	s_cbranch_execz .LBB49_156
.LBB49_289:
	global_load_b64 v[17:18], v[49:50], off offset:1536
	s_or_b32 exec_lo, exec_lo, s2
                                        ; implicit-def: $vgpr19_vgpr20
	s_and_saveexec_b32 s2, s8
	s_cbranch_execz .LBB49_157
.LBB49_290:
	global_load_b64 v[19:20], v[49:50], off offset:1792
	s_or_b32 exec_lo, exec_lo, s2
                                        ; implicit-def: $vgpr21_vgpr22
	s_and_saveexec_b32 s2, s9
	s_cbranch_execz .LBB49_158
.LBB49_291:
	global_load_b64 v[21:22], v[49:50], off offset:2048
	s_or_b32 exec_lo, exec_lo, s2
                                        ; implicit-def: $vgpr23_vgpr24
	s_and_saveexec_b32 s2, s10
	s_cbranch_execz .LBB49_159
.LBB49_292:
	global_load_b64 v[23:24], v[49:50], off offset:2304
	s_or_b32 exec_lo, exec_lo, s2
                                        ; implicit-def: $vgpr25_vgpr26
	s_and_saveexec_b32 s2, s11
	s_cbranch_execz .LBB49_160
.LBB49_293:
	global_load_b64 v[25:26], v[49:50], off offset:2560
	s_or_b32 exec_lo, exec_lo, s2
                                        ; implicit-def: $vgpr27_vgpr28
	s_and_saveexec_b32 s2, s12
	s_cbranch_execz .LBB49_161
.LBB49_294:
	global_load_b64 v[27:28], v[49:50], off offset:2816
	s_or_b32 exec_lo, exec_lo, s2
                                        ; implicit-def: $vgpr29_vgpr30
	s_and_saveexec_b32 s2, s13
	s_cbranch_execz .LBB49_162
.LBB49_295:
	global_load_b64 v[29:30], v[49:50], off offset:3072
	s_or_b32 exec_lo, exec_lo, s2
                                        ; implicit-def: $vgpr31_vgpr32
	s_and_saveexec_b32 s2, s14
	s_cbranch_execz .LBB49_163
.LBB49_296:
	global_load_b64 v[31:32], v[49:50], off offset:3328
	s_or_b32 exec_lo, exec_lo, s2
                                        ; implicit-def: $vgpr33_vgpr34
	s_and_saveexec_b32 s2, s16
	s_cbranch_execz .LBB49_164
.LBB49_297:
	global_load_b64 v[33:34], v[49:50], off offset:3584
	s_or_b32 exec_lo, exec_lo, s2
                                        ; implicit-def: $vgpr35_vgpr36
	s_and_saveexec_b32 s2, s18
	s_cbranch_execz .LBB49_165
.LBB49_298:
	global_load_b64 v[35:36], v[49:50], off offset:3840
	s_or_b32 exec_lo, exec_lo, s2
                                        ; implicit-def: $vgpr37_vgpr38
	s_and_saveexec_b32 s2, s23
	s_cbranch_execz .LBB49_166
.LBB49_299:
	v_add_co_u32 v37, vcc_lo, 0x1000, v49
	v_add_co_ci_u32_e32 v38, vcc_lo, 0, v50, vcc_lo
	global_load_b64 v[37:38], v[37:38], off
	s_or_b32 exec_lo, exec_lo, s2
                                        ; implicit-def: $vgpr39_vgpr40
	s_and_saveexec_b32 s2, s21
	s_cbranch_execz .LBB49_167
.LBB49_300:
	v_add_co_u32 v39, vcc_lo, 0x1000, v49
	v_add_co_ci_u32_e32 v40, vcc_lo, 0, v50, vcc_lo
	global_load_b64 v[39:40], v[39:40], off offset:256
	s_or_b32 exec_lo, exec_lo, s2
                                        ; implicit-def: $vgpr41_vgpr42
	s_and_saveexec_b32 s2, s22
	s_cbranch_execz .LBB49_168
.LBB49_301:
	v_add_co_u32 v41, vcc_lo, 0x1000, v49
	v_add_co_ci_u32_e32 v42, vcc_lo, 0, v50, vcc_lo
	global_load_b64 v[41:42], v[41:42], off offset:512
	s_or_b32 exec_lo, exec_lo, s2
                                        ; implicit-def: $vgpr43_vgpr44
	s_and_saveexec_b32 s2, s19
	s_cbranch_execz .LBB49_169
.LBB49_302:
	v_add_co_u32 v43, vcc_lo, 0x1000, v49
	v_add_co_ci_u32_e32 v44, vcc_lo, 0, v50, vcc_lo
	global_load_b64 v[43:44], v[43:44], off offset:768
	s_or_b32 exec_lo, exec_lo, s2
                                        ; implicit-def: $vgpr45_vgpr46
	s_and_saveexec_b32 s2, s20
	s_cbranch_execz .LBB49_170
.LBB49_303:
	v_add_co_u32 v45, vcc_lo, 0x1000, v49
	v_add_co_ci_u32_e32 v46, vcc_lo, 0, v50, vcc_lo
	global_load_b64 v[45:46], v[45:46], off offset:1024
	s_or_b32 exec_lo, exec_lo, s2
                                        ; implicit-def: $vgpr47_vgpr48
	s_and_saveexec_b32 s2, s17
	s_cbranch_execz .LBB49_171
.LBB49_304:
	v_add_co_u32 v47, vcc_lo, 0x1000, v49
	v_add_co_ci_u32_e32 v48, vcc_lo, 0, v50, vcc_lo
	global_load_b64 v[47:48], v[47:48], off offset:1280
	s_or_b32 exec_lo, exec_lo, s2
                                        ; implicit-def: $vgpr115
	s_and_saveexec_b32 s2, s24
	s_cbranch_execz .LBB49_172
.LBB49_305:
	ds_load_u8 v49, v1 offset:2048
	s_waitcnt lgkmcnt(0)
	v_lshrrev_b32_e32 v49, s60, v49
	s_delay_alu instid0(VALU_DEP_1)
	v_and_b32_e32 v115, s68, v49
	s_or_b32 exec_lo, exec_lo, s2
                                        ; implicit-def: $vgpr114
	s_and_saveexec_b32 s2, s25
	s_cbranch_execz .LBB49_173
.LBB49_306:
	ds_load_u8 v49, v1 offset:2304
	s_waitcnt lgkmcnt(0)
	v_lshrrev_b32_e32 v49, s60, v49
	s_delay_alu instid0(VALU_DEP_1)
	v_and_b32_e32 v114, s68, v49
	s_or_b32 exec_lo, exec_lo, s2
                                        ; implicit-def: $vgpr113
	s_and_saveexec_b32 s2, s26
	s_cbranch_execz .LBB49_174
.LBB49_307:
	ds_load_u8 v49, v1 offset:2560
	s_waitcnt lgkmcnt(0)
	v_lshrrev_b32_e32 v49, s60, v49
	s_delay_alu instid0(VALU_DEP_1)
	v_and_b32_e32 v113, s68, v49
	s_or_b32 exec_lo, exec_lo, s2
                                        ; implicit-def: $vgpr112
	s_and_saveexec_b32 s2, s27
	s_cbranch_execz .LBB49_175
.LBB49_308:
	ds_load_u8 v49, v1 offset:2816
	s_waitcnt lgkmcnt(0)
	v_lshrrev_b32_e32 v49, s60, v49
	s_delay_alu instid0(VALU_DEP_1)
	v_and_b32_e32 v112, s68, v49
	s_or_b32 exec_lo, exec_lo, s2
                                        ; implicit-def: $vgpr111
	s_and_saveexec_b32 s2, s28
	s_cbranch_execz .LBB49_176
.LBB49_309:
	ds_load_u8 v49, v1 offset:3072
	s_waitcnt lgkmcnt(0)
	v_lshrrev_b32_e32 v49, s60, v49
	s_delay_alu instid0(VALU_DEP_1)
	v_and_b32_e32 v111, s68, v49
	s_or_b32 exec_lo, exec_lo, s2
                                        ; implicit-def: $vgpr110
	s_and_saveexec_b32 s2, s29
	s_cbranch_execz .LBB49_177
.LBB49_310:
	ds_load_u8 v49, v1 offset:3328
	s_waitcnt lgkmcnt(0)
	v_lshrrev_b32_e32 v49, s60, v49
	s_delay_alu instid0(VALU_DEP_1)
	v_and_b32_e32 v110, s68, v49
	s_or_b32 exec_lo, exec_lo, s2
                                        ; implicit-def: $vgpr109
	s_and_saveexec_b32 s2, s30
	s_cbranch_execz .LBB49_178
.LBB49_311:
	ds_load_u8 v49, v1 offset:3584
	s_waitcnt lgkmcnt(0)
	v_lshrrev_b32_e32 v49, s60, v49
	s_delay_alu instid0(VALU_DEP_1)
	v_and_b32_e32 v109, s68, v49
	s_or_b32 exec_lo, exec_lo, s2
                                        ; implicit-def: $vgpr108
	s_and_saveexec_b32 s2, s31
	s_cbranch_execz .LBB49_179
.LBB49_312:
	ds_load_u8 v49, v1 offset:3840
	s_waitcnt lgkmcnt(0)
	v_lshrrev_b32_e32 v49, s60, v49
	s_delay_alu instid0(VALU_DEP_1)
	v_and_b32_e32 v108, s68, v49
	s_or_b32 exec_lo, exec_lo, s2
                                        ; implicit-def: $vgpr107
	s_and_saveexec_b32 s2, s33
	s_cbranch_execz .LBB49_180
.LBB49_313:
	ds_load_u8 v49, v1 offset:4096
	s_waitcnt lgkmcnt(0)
	v_lshrrev_b32_e32 v49, s60, v49
	s_delay_alu instid0(VALU_DEP_1)
	v_and_b32_e32 v107, s68, v49
	s_or_b32 exec_lo, exec_lo, s2
                                        ; implicit-def: $vgpr106
	s_and_saveexec_b32 s2, s34
	s_cbranch_execz .LBB49_181
.LBB49_314:
	ds_load_u8 v49, v1 offset:4352
	s_waitcnt lgkmcnt(0)
	v_lshrrev_b32_e32 v49, s60, v49
	s_delay_alu instid0(VALU_DEP_1)
	v_and_b32_e32 v106, s68, v49
	s_or_b32 exec_lo, exec_lo, s2
                                        ; implicit-def: $vgpr105
	s_and_saveexec_b32 s2, s35
	s_cbranch_execz .LBB49_182
.LBB49_315:
	ds_load_u8 v49, v1 offset:4608
	s_waitcnt lgkmcnt(0)
	v_lshrrev_b32_e32 v49, s60, v49
	s_delay_alu instid0(VALU_DEP_1)
	v_and_b32_e32 v105, s68, v49
	s_or_b32 exec_lo, exec_lo, s2
                                        ; implicit-def: $vgpr104
	s_and_saveexec_b32 s2, s36
	s_cbranch_execz .LBB49_183
.LBB49_316:
	ds_load_u8 v49, v1 offset:4864
	s_waitcnt lgkmcnt(0)
	v_lshrrev_b32_e32 v49, s60, v49
	s_delay_alu instid0(VALU_DEP_1)
	v_and_b32_e32 v104, s68, v49
	s_or_b32 exec_lo, exec_lo, s2
                                        ; implicit-def: $vgpr103
	s_and_saveexec_b32 s2, s37
	s_cbranch_execz .LBB49_184
.LBB49_317:
	ds_load_u8 v49, v1 offset:5120
	s_waitcnt lgkmcnt(0)
	v_lshrrev_b32_e32 v49, s60, v49
	s_delay_alu instid0(VALU_DEP_1)
	v_and_b32_e32 v103, s68, v49
	s_or_b32 exec_lo, exec_lo, s2
                                        ; implicit-def: $vgpr102
	s_and_saveexec_b32 s2, s38
	s_cbranch_execz .LBB49_185
.LBB49_318:
	ds_load_u8 v49, v1 offset:5376
	s_waitcnt lgkmcnt(0)
	v_lshrrev_b32_e32 v49, s60, v49
	s_delay_alu instid0(VALU_DEP_1)
	v_and_b32_e32 v102, s68, v49
	s_or_b32 exec_lo, exec_lo, s2
                                        ; implicit-def: $vgpr101
	s_and_saveexec_b32 s2, s39
	s_cbranch_execz .LBB49_186
.LBB49_319:
	ds_load_u8 v49, v1 offset:5632
	s_waitcnt lgkmcnt(0)
	v_lshrrev_b32_e32 v49, s60, v49
	s_delay_alu instid0(VALU_DEP_1)
	v_and_b32_e32 v101, s68, v49
	s_or_b32 exec_lo, exec_lo, s2
                                        ; implicit-def: $vgpr100
	s_and_saveexec_b32 s2, s40
	s_cbranch_execz .LBB49_187
.LBB49_320:
	ds_load_u8 v49, v1 offset:5888
	s_waitcnt lgkmcnt(0)
	v_lshrrev_b32_e32 v49, s60, v49
	s_delay_alu instid0(VALU_DEP_1)
	v_and_b32_e32 v100, s68, v49
	s_or_b32 exec_lo, exec_lo, s2
                                        ; implicit-def: $vgpr99
	s_and_saveexec_b32 s2, s41
	s_cbranch_execz .LBB49_188
.LBB49_321:
	ds_load_u8 v49, v1 offset:6144
	s_waitcnt lgkmcnt(0)
	v_lshrrev_b32_e32 v49, s60, v49
	s_delay_alu instid0(VALU_DEP_1)
	v_and_b32_e32 v99, s68, v49
	s_or_b32 exec_lo, exec_lo, s2
                                        ; implicit-def: $vgpr98
	s_and_saveexec_b32 s2, s42
	s_cbranch_execz .LBB49_189
.LBB49_322:
	ds_load_u8 v49, v1 offset:6400
	s_waitcnt lgkmcnt(0)
	v_lshrrev_b32_e32 v49, s60, v49
	s_delay_alu instid0(VALU_DEP_1)
	v_and_b32_e32 v98, s68, v49
	s_or_b32 exec_lo, exec_lo, s2
                                        ; implicit-def: $vgpr97
	s_and_saveexec_b32 s2, s43
	s_cbranch_execz .LBB49_190
.LBB49_323:
	ds_load_u8 v49, v1 offset:6656
	s_waitcnt lgkmcnt(0)
	v_lshrrev_b32_e32 v49, s60, v49
	s_delay_alu instid0(VALU_DEP_1)
	v_and_b32_e32 v97, s68, v49
	s_or_b32 exec_lo, exec_lo, s2
                                        ; implicit-def: $vgpr96
	s_and_saveexec_b32 s2, s44
	s_cbranch_execz .LBB49_191
.LBB49_324:
	ds_load_u8 v49, v1 offset:6912
	s_waitcnt lgkmcnt(0)
	v_lshrrev_b32_e32 v49, s60, v49
	s_delay_alu instid0(VALU_DEP_1)
	v_and_b32_e32 v96, s68, v49
	s_or_b32 exec_lo, exec_lo, s2
                                        ; implicit-def: $vgpr50
	s_and_saveexec_b32 s2, s45
	s_cbranch_execz .LBB49_192
.LBB49_325:
	ds_load_u8 v49, v1 offset:7168
	s_waitcnt lgkmcnt(0)
	v_lshrrev_b32_e32 v49, s60, v49
	s_delay_alu instid0(VALU_DEP_1)
	v_and_b32_e32 v50, s68, v49
	s_or_b32 exec_lo, exec_lo, s2
                                        ; implicit-def: $vgpr49
	s_and_saveexec_b32 s2, s46
	s_cbranch_execnz .LBB49_193
	s_branch .LBB49_194
.LBB49_326:
	v_lshlrev_b32_e32 v5, 3, v115
	ds_load_b64 v[5:6], v5
	ds_load_b64 v[7:8], v53 offset:2048
	s_waitcnt lgkmcnt(1)
	v_lshlrev_b64 v[5:6], 3, v[5:6]
	s_delay_alu instid0(VALU_DEP_1) | instskip(NEXT) | instid1(VALU_DEP_2)
	v_add_co_u32 v5, vcc_lo, s54, v5
	v_add_co_ci_u32_e32 v6, vcc_lo, s55, v6, vcc_lo
	s_delay_alu instid0(VALU_DEP_2) | instskip(NEXT) | instid1(VALU_DEP_2)
	v_add_co_u32 v5, vcc_lo, v5, v53
	v_add_co_ci_u32_e32 v6, vcc_lo, 0, v6, vcc_lo
	s_waitcnt lgkmcnt(0)
	global_store_b64 v[5:6], v[7:8], off
	s_or_b32 exec_lo, exec_lo, s2
	s_and_saveexec_b32 s2, s25
	s_cbranch_execz .LBB49_196
.LBB49_327:
	v_lshlrev_b32_e32 v5, 3, v114
	v_lshlrev_b32_e32 v9, 3, v1
	ds_load_b64 v[5:6], v5
	ds_load_b64 v[7:8], v9 offset:4096
	s_waitcnt lgkmcnt(1)
	v_lshlrev_b64 v[5:6], 3, v[5:6]
	s_delay_alu instid0(VALU_DEP_1) | instskip(NEXT) | instid1(VALU_DEP_2)
	v_add_co_u32 v5, vcc_lo, s54, v5
	v_add_co_ci_u32_e32 v6, vcc_lo, s55, v6, vcc_lo
	s_delay_alu instid0(VALU_DEP_2) | instskip(NEXT) | instid1(VALU_DEP_2)
	v_add_co_u32 v5, vcc_lo, v5, v9
	v_add_co_ci_u32_e32 v6, vcc_lo, 0, v6, vcc_lo
	s_waitcnt lgkmcnt(0)
	global_store_b64 v[5:6], v[7:8], off offset:2048
	s_or_b32 exec_lo, exec_lo, s2
	s_and_saveexec_b32 s2, s26
	s_cbranch_execz .LBB49_197
.LBB49_328:
	v_lshlrev_b32_e32 v5, 3, v113
	v_lshlrev_b32_e32 v7, 3, v1
	;; [unrolled: 1-line block ×3, first 2 shown]
	ds_load_b64 v[5:6], v5
	ds_load_b64 v[7:8], v7 offset:6144
	s_waitcnt lgkmcnt(1)
	v_lshlrev_b64 v[5:6], 3, v[5:6]
	s_delay_alu instid0(VALU_DEP_1) | instskip(NEXT) | instid1(VALU_DEP_2)
	v_add_co_u32 v5, vcc_lo, s54, v5
	v_add_co_ci_u32_e32 v6, vcc_lo, s55, v6, vcc_lo
	s_delay_alu instid0(VALU_DEP_2) | instskip(NEXT) | instid1(VALU_DEP_2)
	v_add_co_u32 v5, vcc_lo, v5, v9
	v_add_co_ci_u32_e32 v6, vcc_lo, 0, v6, vcc_lo
	s_waitcnt lgkmcnt(0)
	global_store_b64 v[5:6], v[7:8], off
	s_or_b32 exec_lo, exec_lo, s2
	s_and_saveexec_b32 s2, s27
	s_cbranch_execz .LBB49_198
.LBB49_329:
	v_lshlrev_b32_e32 v5, 3, v112
	v_lshlrev_b32_e32 v7, 3, v1
	;; [unrolled: 1-line block ×3, first 2 shown]
	ds_load_b64 v[5:6], v5
	ds_load_b64 v[7:8], v7 offset:8192
	s_waitcnt lgkmcnt(1)
	v_lshlrev_b64 v[5:6], 3, v[5:6]
	s_delay_alu instid0(VALU_DEP_1) | instskip(NEXT) | instid1(VALU_DEP_2)
	v_add_co_u32 v5, vcc_lo, s54, v5
	v_add_co_ci_u32_e32 v6, vcc_lo, s55, v6, vcc_lo
	s_delay_alu instid0(VALU_DEP_2) | instskip(NEXT) | instid1(VALU_DEP_2)
	v_add_co_u32 v5, vcc_lo, v5, v9
	v_add_co_ci_u32_e32 v6, vcc_lo, 0, v6, vcc_lo
	s_waitcnt lgkmcnt(0)
	global_store_b64 v[5:6], v[7:8], off
	s_or_b32 exec_lo, exec_lo, s2
	s_and_saveexec_b32 s2, s28
	s_cbranch_execz .LBB49_199
.LBB49_330:
	v_lshlrev_b32_e32 v5, 3, v111
	v_lshlrev_b32_e32 v7, 3, v1
	;; [unrolled: 1-line block ×3, first 2 shown]
	ds_load_b64 v[5:6], v5
	ds_load_b64 v[7:8], v7 offset:10240
	s_waitcnt lgkmcnt(1)
	v_lshlrev_b64 v[5:6], 3, v[5:6]
	s_delay_alu instid0(VALU_DEP_1) | instskip(NEXT) | instid1(VALU_DEP_2)
	v_add_co_u32 v5, vcc_lo, s54, v5
	v_add_co_ci_u32_e32 v6, vcc_lo, s55, v6, vcc_lo
	s_delay_alu instid0(VALU_DEP_2) | instskip(NEXT) | instid1(VALU_DEP_2)
	v_add_co_u32 v5, vcc_lo, v5, v9
	v_add_co_ci_u32_e32 v6, vcc_lo, 0, v6, vcc_lo
	s_waitcnt lgkmcnt(0)
	global_store_b64 v[5:6], v[7:8], off
	s_or_b32 exec_lo, exec_lo, s2
	s_and_saveexec_b32 s2, s29
	s_cbranch_execz .LBB49_200
.LBB49_331:
	v_lshlrev_b32_e32 v5, 3, v110
	v_lshlrev_b32_e32 v7, 3, v1
	;; [unrolled: 1-line block ×3, first 2 shown]
	ds_load_b64 v[5:6], v5
	ds_load_b64 v[7:8], v7 offset:12288
	s_waitcnt lgkmcnt(1)
	v_lshlrev_b64 v[5:6], 3, v[5:6]
	s_delay_alu instid0(VALU_DEP_1) | instskip(NEXT) | instid1(VALU_DEP_2)
	v_add_co_u32 v5, vcc_lo, s54, v5
	v_add_co_ci_u32_e32 v6, vcc_lo, s55, v6, vcc_lo
	s_delay_alu instid0(VALU_DEP_2) | instskip(NEXT) | instid1(VALU_DEP_2)
	v_add_co_u32 v5, vcc_lo, v5, v9
	v_add_co_ci_u32_e32 v6, vcc_lo, 0, v6, vcc_lo
	s_waitcnt lgkmcnt(0)
	global_store_b64 v[5:6], v[7:8], off
	s_or_b32 exec_lo, exec_lo, s2
	s_and_saveexec_b32 s2, s30
	s_cbranch_execz .LBB49_201
.LBB49_332:
	v_lshlrev_b32_e32 v5, 3, v109
	v_lshlrev_b32_e32 v7, 3, v1
	;; [unrolled: 1-line block ×3, first 2 shown]
	ds_load_b64 v[5:6], v5
	ds_load_b64 v[7:8], v7 offset:14336
	s_waitcnt lgkmcnt(1)
	v_lshlrev_b64 v[5:6], 3, v[5:6]
	s_delay_alu instid0(VALU_DEP_1) | instskip(NEXT) | instid1(VALU_DEP_2)
	v_add_co_u32 v5, vcc_lo, s54, v5
	v_add_co_ci_u32_e32 v6, vcc_lo, s55, v6, vcc_lo
	s_delay_alu instid0(VALU_DEP_2) | instskip(NEXT) | instid1(VALU_DEP_2)
	v_add_co_u32 v5, vcc_lo, v5, v9
	v_add_co_ci_u32_e32 v6, vcc_lo, 0, v6, vcc_lo
	s_waitcnt lgkmcnt(0)
	global_store_b64 v[5:6], v[7:8], off
	s_or_b32 exec_lo, exec_lo, s2
	s_and_saveexec_b32 s2, s31
	s_cbranch_execz .LBB49_202
.LBB49_333:
	v_lshlrev_b32_e32 v5, 3, v108
	v_lshlrev_b32_e32 v7, 3, v1
	;; [unrolled: 1-line block ×3, first 2 shown]
	ds_load_b64 v[5:6], v5
	ds_load_b64 v[7:8], v7 offset:16384
	s_waitcnt lgkmcnt(1)
	v_lshlrev_b64 v[5:6], 3, v[5:6]
	s_delay_alu instid0(VALU_DEP_1) | instskip(NEXT) | instid1(VALU_DEP_2)
	v_add_co_u32 v5, vcc_lo, s54, v5
	v_add_co_ci_u32_e32 v6, vcc_lo, s55, v6, vcc_lo
	s_delay_alu instid0(VALU_DEP_2) | instskip(NEXT) | instid1(VALU_DEP_2)
	v_add_co_u32 v5, vcc_lo, v5, v9
	v_add_co_ci_u32_e32 v6, vcc_lo, 0, v6, vcc_lo
	s_waitcnt lgkmcnt(0)
	global_store_b64 v[5:6], v[7:8], off
	s_or_b32 exec_lo, exec_lo, s2
	s_and_saveexec_b32 s2, s33
	s_cbranch_execz .LBB49_203
.LBB49_334:
	v_lshlrev_b32_e32 v5, 3, v107
	v_lshlrev_b32_e32 v7, 3, v1
	;; [unrolled: 1-line block ×3, first 2 shown]
	ds_load_b64 v[5:6], v5
	ds_load_b64 v[7:8], v7 offset:18432
	s_waitcnt lgkmcnt(1)
	v_lshlrev_b64 v[5:6], 3, v[5:6]
	s_delay_alu instid0(VALU_DEP_1) | instskip(NEXT) | instid1(VALU_DEP_2)
	v_add_co_u32 v5, vcc_lo, s54, v5
	v_add_co_ci_u32_e32 v6, vcc_lo, s55, v6, vcc_lo
	s_delay_alu instid0(VALU_DEP_2) | instskip(NEXT) | instid1(VALU_DEP_2)
	v_add_co_u32 v5, vcc_lo, v5, v9
	v_add_co_ci_u32_e32 v6, vcc_lo, 0, v6, vcc_lo
	s_waitcnt lgkmcnt(0)
	global_store_b64 v[5:6], v[7:8], off
	s_or_b32 exec_lo, exec_lo, s2
	s_and_saveexec_b32 s2, s34
	s_cbranch_execz .LBB49_204
.LBB49_335:
	v_lshlrev_b32_e32 v5, 3, v106
	v_lshlrev_b32_e32 v7, 3, v1
	;; [unrolled: 1-line block ×3, first 2 shown]
	ds_load_b64 v[5:6], v5
	ds_load_b64 v[7:8], v7 offset:20480
	s_waitcnt lgkmcnt(1)
	v_lshlrev_b64 v[5:6], 3, v[5:6]
	s_delay_alu instid0(VALU_DEP_1) | instskip(NEXT) | instid1(VALU_DEP_2)
	v_add_co_u32 v5, vcc_lo, s54, v5
	v_add_co_ci_u32_e32 v6, vcc_lo, s55, v6, vcc_lo
	s_delay_alu instid0(VALU_DEP_2) | instskip(NEXT) | instid1(VALU_DEP_2)
	v_add_co_u32 v5, vcc_lo, v5, v9
	v_add_co_ci_u32_e32 v6, vcc_lo, 0, v6, vcc_lo
	s_waitcnt lgkmcnt(0)
	global_store_b64 v[5:6], v[7:8], off
	s_or_b32 exec_lo, exec_lo, s2
	s_and_saveexec_b32 s2, s35
	s_cbranch_execz .LBB49_205
.LBB49_336:
	v_lshlrev_b32_e32 v5, 3, v105
	v_lshlrev_b32_e32 v7, 3, v1
	v_lshlrev_b32_e32 v9, 3, v84
	ds_load_b64 v[5:6], v5
	ds_load_b64 v[7:8], v7 offset:22528
	s_waitcnt lgkmcnt(1)
	v_lshlrev_b64 v[5:6], 3, v[5:6]
	s_delay_alu instid0(VALU_DEP_1) | instskip(NEXT) | instid1(VALU_DEP_2)
	v_add_co_u32 v5, vcc_lo, s54, v5
	v_add_co_ci_u32_e32 v6, vcc_lo, s55, v6, vcc_lo
	s_delay_alu instid0(VALU_DEP_2) | instskip(NEXT) | instid1(VALU_DEP_2)
	v_add_co_u32 v5, vcc_lo, v5, v9
	v_add_co_ci_u32_e32 v6, vcc_lo, 0, v6, vcc_lo
	s_waitcnt lgkmcnt(0)
	global_store_b64 v[5:6], v[7:8], off
	s_or_b32 exec_lo, exec_lo, s2
	s_and_saveexec_b32 s2, s36
	s_cbranch_execz .LBB49_206
.LBB49_337:
	v_lshlrev_b32_e32 v5, 3, v104
	v_lshlrev_b32_e32 v7, 3, v1
	;; [unrolled: 1-line block ×3, first 2 shown]
	ds_load_b64 v[5:6], v5
	ds_load_b64 v[7:8], v7 offset:24576
	s_waitcnt lgkmcnt(1)
	v_lshlrev_b64 v[5:6], 3, v[5:6]
	s_delay_alu instid0(VALU_DEP_1) | instskip(NEXT) | instid1(VALU_DEP_2)
	v_add_co_u32 v5, vcc_lo, s54, v5
	v_add_co_ci_u32_e32 v6, vcc_lo, s55, v6, vcc_lo
	s_delay_alu instid0(VALU_DEP_2) | instskip(NEXT) | instid1(VALU_DEP_2)
	v_add_co_u32 v5, vcc_lo, v5, v9
	v_add_co_ci_u32_e32 v6, vcc_lo, 0, v6, vcc_lo
	s_waitcnt lgkmcnt(0)
	global_store_b64 v[5:6], v[7:8], off
	s_or_b32 exec_lo, exec_lo, s2
	s_and_saveexec_b32 s2, s37
	s_cbranch_execz .LBB49_207
.LBB49_338:
	v_lshlrev_b32_e32 v5, 3, v103
	v_lshlrev_b32_e32 v7, 3, v1
	;; [unrolled: 1-line block ×3, first 2 shown]
	ds_load_b64 v[5:6], v5
	ds_load_b64 v[7:8], v7 offset:26624
	s_waitcnt lgkmcnt(1)
	v_lshlrev_b64 v[5:6], 3, v[5:6]
	s_delay_alu instid0(VALU_DEP_1) | instskip(NEXT) | instid1(VALU_DEP_2)
	v_add_co_u32 v5, vcc_lo, s54, v5
	v_add_co_ci_u32_e32 v6, vcc_lo, s55, v6, vcc_lo
	s_delay_alu instid0(VALU_DEP_2) | instskip(NEXT) | instid1(VALU_DEP_2)
	v_add_co_u32 v5, vcc_lo, v5, v9
	v_add_co_ci_u32_e32 v6, vcc_lo, 0, v6, vcc_lo
	s_waitcnt lgkmcnt(0)
	global_store_b64 v[5:6], v[7:8], off
	s_or_b32 exec_lo, exec_lo, s2
	s_and_saveexec_b32 s2, s38
	s_cbranch_execz .LBB49_208
.LBB49_339:
	v_lshlrev_b32_e32 v5, 3, v102
	v_lshlrev_b32_e32 v7, 3, v1
	v_lshlrev_b32_e32 v9, 3, v87
	ds_load_b64 v[5:6], v5
	ds_load_b64 v[7:8], v7 offset:28672
	s_waitcnt lgkmcnt(1)
	v_lshlrev_b64 v[5:6], 3, v[5:6]
	s_delay_alu instid0(VALU_DEP_1) | instskip(NEXT) | instid1(VALU_DEP_2)
	v_add_co_u32 v5, vcc_lo, s54, v5
	v_add_co_ci_u32_e32 v6, vcc_lo, s55, v6, vcc_lo
	s_delay_alu instid0(VALU_DEP_2) | instskip(NEXT) | instid1(VALU_DEP_2)
	v_add_co_u32 v5, vcc_lo, v5, v9
	v_add_co_ci_u32_e32 v6, vcc_lo, 0, v6, vcc_lo
	s_waitcnt lgkmcnt(0)
	global_store_b64 v[5:6], v[7:8], off
	s_or_b32 exec_lo, exec_lo, s2
	s_and_saveexec_b32 s2, s39
	s_cbranch_execz .LBB49_209
.LBB49_340:
	v_lshlrev_b32_e32 v5, 3, v101
	v_lshlrev_b32_e32 v7, 3, v1
	;; [unrolled: 1-line block ×3, first 2 shown]
	ds_load_b64 v[5:6], v5
	ds_load_b64 v[7:8], v7 offset:30720
	s_waitcnt lgkmcnt(1)
	v_lshlrev_b64 v[5:6], 3, v[5:6]
	s_delay_alu instid0(VALU_DEP_1) | instskip(NEXT) | instid1(VALU_DEP_2)
	v_add_co_u32 v5, vcc_lo, s54, v5
	v_add_co_ci_u32_e32 v6, vcc_lo, s55, v6, vcc_lo
	s_delay_alu instid0(VALU_DEP_2) | instskip(NEXT) | instid1(VALU_DEP_2)
	v_add_co_u32 v5, vcc_lo, v5, v9
	v_add_co_ci_u32_e32 v6, vcc_lo, 0, v6, vcc_lo
	s_waitcnt lgkmcnt(0)
	global_store_b64 v[5:6], v[7:8], off
	s_or_b32 exec_lo, exec_lo, s2
	s_and_saveexec_b32 s2, s40
	s_cbranch_execz .LBB49_210
.LBB49_341:
	v_lshlrev_b32_e32 v5, 3, v100
	v_lshlrev_b32_e32 v7, 3, v1
	;; [unrolled: 1-line block ×3, first 2 shown]
	ds_load_b64 v[5:6], v5
	ds_load_b64 v[7:8], v7 offset:32768
	s_waitcnt lgkmcnt(1)
	v_lshlrev_b64 v[5:6], 3, v[5:6]
	s_delay_alu instid0(VALU_DEP_1) | instskip(NEXT) | instid1(VALU_DEP_2)
	v_add_co_u32 v5, vcc_lo, s54, v5
	v_add_co_ci_u32_e32 v6, vcc_lo, s55, v6, vcc_lo
	s_delay_alu instid0(VALU_DEP_2) | instskip(NEXT) | instid1(VALU_DEP_2)
	v_add_co_u32 v5, vcc_lo, v5, v9
	v_add_co_ci_u32_e32 v6, vcc_lo, 0, v6, vcc_lo
	s_waitcnt lgkmcnt(0)
	global_store_b64 v[5:6], v[7:8], off
	s_or_b32 exec_lo, exec_lo, s2
	s_and_saveexec_b32 s2, s41
	s_cbranch_execz .LBB49_211
.LBB49_342:
	v_lshlrev_b32_e32 v5, 3, v99
	v_lshlrev_b32_e32 v7, 3, v1
	;; [unrolled: 1-line block ×3, first 2 shown]
	ds_load_b64 v[5:6], v5
	ds_load_b64 v[7:8], v7 offset:34816
	s_waitcnt lgkmcnt(1)
	v_lshlrev_b64 v[5:6], 3, v[5:6]
	s_delay_alu instid0(VALU_DEP_1) | instskip(NEXT) | instid1(VALU_DEP_2)
	v_add_co_u32 v5, vcc_lo, s54, v5
	v_add_co_ci_u32_e32 v6, vcc_lo, s55, v6, vcc_lo
	s_delay_alu instid0(VALU_DEP_2) | instskip(NEXT) | instid1(VALU_DEP_2)
	v_add_co_u32 v5, vcc_lo, v5, v9
	v_add_co_ci_u32_e32 v6, vcc_lo, 0, v6, vcc_lo
	s_waitcnt lgkmcnt(0)
	global_store_b64 v[5:6], v[7:8], off
	s_or_b32 exec_lo, exec_lo, s2
	s_and_saveexec_b32 s2, s42
	s_cbranch_execz .LBB49_212
.LBB49_343:
	v_lshlrev_b32_e32 v5, 3, v98
	v_lshlrev_b32_e32 v7, 3, v1
	;; [unrolled: 1-line block ×3, first 2 shown]
	ds_load_b64 v[5:6], v5
	ds_load_b64 v[7:8], v7 offset:36864
	s_waitcnt lgkmcnt(1)
	v_lshlrev_b64 v[5:6], 3, v[5:6]
	s_delay_alu instid0(VALU_DEP_1) | instskip(NEXT) | instid1(VALU_DEP_2)
	v_add_co_u32 v5, vcc_lo, s54, v5
	v_add_co_ci_u32_e32 v6, vcc_lo, s55, v6, vcc_lo
	s_delay_alu instid0(VALU_DEP_2) | instskip(NEXT) | instid1(VALU_DEP_2)
	v_add_co_u32 v5, vcc_lo, v5, v9
	v_add_co_ci_u32_e32 v6, vcc_lo, 0, v6, vcc_lo
	s_waitcnt lgkmcnt(0)
	global_store_b64 v[5:6], v[7:8], off
	s_or_b32 exec_lo, exec_lo, s2
	s_and_saveexec_b32 s2, s43
	s_cbranch_execz .LBB49_213
.LBB49_344:
	v_lshlrev_b32_e32 v5, 3, v97
	v_lshlrev_b32_e32 v7, 3, v1
	;; [unrolled: 1-line block ×3, first 2 shown]
	ds_load_b64 v[5:6], v5
	ds_load_b64 v[7:8], v7 offset:38912
	s_waitcnt lgkmcnt(1)
	v_lshlrev_b64 v[5:6], 3, v[5:6]
	s_delay_alu instid0(VALU_DEP_1) | instskip(NEXT) | instid1(VALU_DEP_2)
	v_add_co_u32 v5, vcc_lo, s54, v5
	v_add_co_ci_u32_e32 v6, vcc_lo, s55, v6, vcc_lo
	s_delay_alu instid0(VALU_DEP_2) | instskip(NEXT) | instid1(VALU_DEP_2)
	v_add_co_u32 v5, vcc_lo, v5, v9
	v_add_co_ci_u32_e32 v6, vcc_lo, 0, v6, vcc_lo
	s_waitcnt lgkmcnt(0)
	global_store_b64 v[5:6], v[7:8], off
	s_or_b32 exec_lo, exec_lo, s2
	s_and_saveexec_b32 s2, s44
	s_cbranch_execz .LBB49_214
.LBB49_345:
	v_lshlrev_b32_e32 v5, 3, v96
	v_lshlrev_b32_e32 v7, 3, v1
	;; [unrolled: 1-line block ×3, first 2 shown]
	ds_load_b64 v[5:6], v5
	ds_load_b64 v[7:8], v7 offset:40960
	s_waitcnt lgkmcnt(1)
	v_lshlrev_b64 v[5:6], 3, v[5:6]
	s_delay_alu instid0(VALU_DEP_1) | instskip(NEXT) | instid1(VALU_DEP_2)
	v_add_co_u32 v5, vcc_lo, s54, v5
	v_add_co_ci_u32_e32 v6, vcc_lo, s55, v6, vcc_lo
	s_delay_alu instid0(VALU_DEP_2) | instskip(NEXT) | instid1(VALU_DEP_2)
	v_add_co_u32 v5, vcc_lo, v5, v9
	v_add_co_ci_u32_e32 v6, vcc_lo, 0, v6, vcc_lo
	s_waitcnt lgkmcnt(0)
	global_store_b64 v[5:6], v[7:8], off
	s_or_b32 exec_lo, exec_lo, s2
	s_and_saveexec_b32 s2, s45
	s_cbranch_execz .LBB49_215
.LBB49_346:
	v_lshlrev_b32_e32 v5, 3, v50
	v_lshlrev_b32_e32 v7, 3, v1
	;; [unrolled: 1-line block ×3, first 2 shown]
	ds_load_b64 v[5:6], v5
	ds_load_b64 v[7:8], v7 offset:43008
	s_waitcnt lgkmcnt(1)
	v_lshlrev_b64 v[5:6], 3, v[5:6]
	s_delay_alu instid0(VALU_DEP_1) | instskip(NEXT) | instid1(VALU_DEP_2)
	v_add_co_u32 v5, vcc_lo, s54, v5
	v_add_co_ci_u32_e32 v6, vcc_lo, s55, v6, vcc_lo
	s_delay_alu instid0(VALU_DEP_2) | instskip(NEXT) | instid1(VALU_DEP_2)
	v_add_co_u32 v5, vcc_lo, v5, v9
	v_add_co_ci_u32_e32 v6, vcc_lo, 0, v6, vcc_lo
	s_waitcnt lgkmcnt(0)
	global_store_b64 v[5:6], v[7:8], off
	s_or_b32 exec_lo, exec_lo, s2
	s_and_saveexec_b32 s2, s46
	s_cbranch_execnz .LBB49_216
	s_branch .LBB49_217
	.section	.rodata,"a",@progbits
	.p2align	6, 0x0
	.amdhsa_kernel _ZN7rocprim17ROCPRIM_304000_NS6detail25onesweep_iteration_kernelINS1_34wrapped_radix_sort_onesweep_configINS0_14default_configEaN2at4cuda3cub6detail10OpaqueTypeILi8EEEEELb0EPaSC_PSA_SD_mNS0_19identity_decomposerEEEvT1_T2_T3_T4_jPT5_SK_PNS1_23onesweep_lookback_stateET6_jjj
		.amdhsa_group_segment_fixed_size 47104
		.amdhsa_private_segment_fixed_size 0
		.amdhsa_kernarg_size 336
		.amdhsa_user_sgpr_count 15
		.amdhsa_user_sgpr_dispatch_ptr 0
		.amdhsa_user_sgpr_queue_ptr 0
		.amdhsa_user_sgpr_kernarg_segment_ptr 1
		.amdhsa_user_sgpr_dispatch_id 0
		.amdhsa_user_sgpr_private_segment_size 0
		.amdhsa_wavefront_size32 1
		.amdhsa_uses_dynamic_stack 0
		.amdhsa_enable_private_segment 0
		.amdhsa_system_sgpr_workgroup_id_x 1
		.amdhsa_system_sgpr_workgroup_id_y 0
		.amdhsa_system_sgpr_workgroup_id_z 0
		.amdhsa_system_sgpr_workgroup_info 0
		.amdhsa_system_vgpr_workitem_id 2
		.amdhsa_next_free_vgpr 128
		.amdhsa_next_free_sgpr 72
		.amdhsa_reserve_vcc 1
		.amdhsa_float_round_mode_32 0
		.amdhsa_float_round_mode_16_64 0
		.amdhsa_float_denorm_mode_32 3
		.amdhsa_float_denorm_mode_16_64 3
		.amdhsa_dx10_clamp 1
		.amdhsa_ieee_mode 1
		.amdhsa_fp16_overflow 0
		.amdhsa_workgroup_processor_mode 1
		.amdhsa_memory_ordered 1
		.amdhsa_forward_progress 0
		.amdhsa_shared_vgpr_count 0
		.amdhsa_exception_fp_ieee_invalid_op 0
		.amdhsa_exception_fp_denorm_src 0
		.amdhsa_exception_fp_ieee_div_zero 0
		.amdhsa_exception_fp_ieee_overflow 0
		.amdhsa_exception_fp_ieee_underflow 0
		.amdhsa_exception_fp_ieee_inexact 0
		.amdhsa_exception_int_div_zero 0
	.end_amdhsa_kernel
	.section	.text._ZN7rocprim17ROCPRIM_304000_NS6detail25onesweep_iteration_kernelINS1_34wrapped_radix_sort_onesweep_configINS0_14default_configEaN2at4cuda3cub6detail10OpaqueTypeILi8EEEEELb0EPaSC_PSA_SD_mNS0_19identity_decomposerEEEvT1_T2_T3_T4_jPT5_SK_PNS1_23onesweep_lookback_stateET6_jjj,"axG",@progbits,_ZN7rocprim17ROCPRIM_304000_NS6detail25onesweep_iteration_kernelINS1_34wrapped_radix_sort_onesweep_configINS0_14default_configEaN2at4cuda3cub6detail10OpaqueTypeILi8EEEEELb0EPaSC_PSA_SD_mNS0_19identity_decomposerEEEvT1_T2_T3_T4_jPT5_SK_PNS1_23onesweep_lookback_stateET6_jjj,comdat
.Lfunc_end49:
	.size	_ZN7rocprim17ROCPRIM_304000_NS6detail25onesweep_iteration_kernelINS1_34wrapped_radix_sort_onesweep_configINS0_14default_configEaN2at4cuda3cub6detail10OpaqueTypeILi8EEEEELb0EPaSC_PSA_SD_mNS0_19identity_decomposerEEEvT1_T2_T3_T4_jPT5_SK_PNS1_23onesweep_lookback_stateET6_jjj, .Lfunc_end49-_ZN7rocprim17ROCPRIM_304000_NS6detail25onesweep_iteration_kernelINS1_34wrapped_radix_sort_onesweep_configINS0_14default_configEaN2at4cuda3cub6detail10OpaqueTypeILi8EEEEELb0EPaSC_PSA_SD_mNS0_19identity_decomposerEEEvT1_T2_T3_T4_jPT5_SK_PNS1_23onesweep_lookback_stateET6_jjj
                                        ; -- End function
	.section	.AMDGPU.csdata,"",@progbits
; Kernel info:
; codeLenInByte = 32136
; NumSgprs: 74
; NumVgprs: 128
; ScratchSize: 0
; MemoryBound: 0
; FloatMode: 240
; IeeeMode: 1
; LDSByteSize: 47104 bytes/workgroup (compile time only)
; SGPRBlocks: 9
; VGPRBlocks: 15
; NumSGPRsForWavesPerEU: 74
; NumVGPRsForWavesPerEU: 128
; Occupancy: 4
; WaveLimiterHint : 1
; COMPUTE_PGM_RSRC2:SCRATCH_EN: 0
; COMPUTE_PGM_RSRC2:USER_SGPR: 15
; COMPUTE_PGM_RSRC2:TRAP_HANDLER: 0
; COMPUTE_PGM_RSRC2:TGID_X_EN: 1
; COMPUTE_PGM_RSRC2:TGID_Y_EN: 0
; COMPUTE_PGM_RSRC2:TGID_Z_EN: 0
; COMPUTE_PGM_RSRC2:TIDIG_COMP_CNT: 2
	.section	.text._ZN7rocprim17ROCPRIM_304000_NS6detail28radix_sort_block_sort_kernelINS1_36wrapped_radix_sort_block_sort_configINS0_13kernel_configILj256ELj4ELj4294967295EEEsN2at4cuda3cub6detail10OpaqueTypeILi8EEEEELb1EPKsPsPKSB_PSB_NS0_19identity_decomposerEEEvT1_T2_T3_T4_jT5_jj,"axG",@progbits,_ZN7rocprim17ROCPRIM_304000_NS6detail28radix_sort_block_sort_kernelINS1_36wrapped_radix_sort_block_sort_configINS0_13kernel_configILj256ELj4ELj4294967295EEEsN2at4cuda3cub6detail10OpaqueTypeILi8EEEEELb1EPKsPsPKSB_PSB_NS0_19identity_decomposerEEEvT1_T2_T3_T4_jT5_jj,comdat
	.protected	_ZN7rocprim17ROCPRIM_304000_NS6detail28radix_sort_block_sort_kernelINS1_36wrapped_radix_sort_block_sort_configINS0_13kernel_configILj256ELj4ELj4294967295EEEsN2at4cuda3cub6detail10OpaqueTypeILi8EEEEELb1EPKsPsPKSB_PSB_NS0_19identity_decomposerEEEvT1_T2_T3_T4_jT5_jj ; -- Begin function _ZN7rocprim17ROCPRIM_304000_NS6detail28radix_sort_block_sort_kernelINS1_36wrapped_radix_sort_block_sort_configINS0_13kernel_configILj256ELj4ELj4294967295EEEsN2at4cuda3cub6detail10OpaqueTypeILi8EEEEELb1EPKsPsPKSB_PSB_NS0_19identity_decomposerEEEvT1_T2_T3_T4_jT5_jj
	.globl	_ZN7rocprim17ROCPRIM_304000_NS6detail28radix_sort_block_sort_kernelINS1_36wrapped_radix_sort_block_sort_configINS0_13kernel_configILj256ELj4ELj4294967295EEEsN2at4cuda3cub6detail10OpaqueTypeILi8EEEEELb1EPKsPsPKSB_PSB_NS0_19identity_decomposerEEEvT1_T2_T3_T4_jT5_jj
	.p2align	8
	.type	_ZN7rocprim17ROCPRIM_304000_NS6detail28radix_sort_block_sort_kernelINS1_36wrapped_radix_sort_block_sort_configINS0_13kernel_configILj256ELj4ELj4294967295EEEsN2at4cuda3cub6detail10OpaqueTypeILi8EEEEELb1EPKsPsPKSB_PSB_NS0_19identity_decomposerEEEvT1_T2_T3_T4_jT5_jj,@function
_ZN7rocprim17ROCPRIM_304000_NS6detail28radix_sort_block_sort_kernelINS1_36wrapped_radix_sort_block_sort_configINS0_13kernel_configILj256ELj4ELj4294967295EEEsN2at4cuda3cub6detail10OpaqueTypeILi8EEEEELb1EPKsPsPKSB_PSB_NS0_19identity_decomposerEEEvT1_T2_T3_T4_jT5_jj: ; @_ZN7rocprim17ROCPRIM_304000_NS6detail28radix_sort_block_sort_kernelINS1_36wrapped_radix_sort_block_sort_configINS0_13kernel_configILj256ELj4ELj4294967295EEEsN2at4cuda3cub6detail10OpaqueTypeILi8EEEEELb1EPKsPsPKSB_PSB_NS0_19identity_decomposerEEEvT1_T2_T3_T4_jT5_jj
; %bb.0:
	s_clause 0x1
	s_load_b32 s2, s[0:1], 0x20
	s_load_b256 s[16:23], s[0:1], 0x0
	v_and_b32_e32 v8, 0x3ff, v0
	v_mbcnt_lo_u32_b32 v7, -1, 0
	s_lshl_b32 s24, s15, 10
	s_mov_b32 s25, 0
	s_delay_alu instid0(VALU_DEP_2) | instskip(NEXT) | instid1(VALU_DEP_2)
	v_lshlrev_b32_e32 v1, 2, v8
	v_lshlrev_b32_e32 v2, 1, v7
	;; [unrolled: 1-line block ×3, first 2 shown]
	s_delay_alu instid0(VALU_DEP_3) | instskip(NEXT) | instid1(VALU_DEP_1)
	v_and_b32_e32 v13, 0x380, v1
	v_lshlrev_b32_e32 v1, 1, v13
	v_lshlrev_b32_e32 v18, 3, v13
	v_add_nc_u32_e32 v15, v7, v13
	s_waitcnt lgkmcnt(0)
	s_lshr_b32 s3, s2, 10
	s_delay_alu instid0(SALU_CYCLE_1) | instskip(SKIP_2) | instid1(SALU_CYCLE_1)
	s_cmp_lg_u32 s15, s3
	s_cselect_b32 s28, -1, 0
	s_lshl_b64 s[26:27], s[24:25], 1
	s_add_u32 s4, s16, s26
	s_addc_u32 s5, s17, s27
	v_add_co_u32 v2, s4, s4, v2
	s_delay_alu instid0(VALU_DEP_1) | instskip(SKIP_1) | instid1(VALU_DEP_2)
	v_add_co_ci_u32_e64 v3, null, s5, 0, s4
	s_cmp_eq_u32 s15, s3
	v_add_co_u32 v11, vcc_lo, v2, v1
	s_delay_alu instid0(VALU_DEP_2)
	v_add_co_ci_u32_e32 v12, vcc_lo, 0, v3, vcc_lo
	s_mov_b32 s3, -1
	s_cbranch_scc1 .LBB50_2
; %bb.1:
	s_clause 0x1
	global_load_u16 v9, v[11:12], off
	global_load_u16 v10, v[11:12], off offset:128
	s_lshl_b64 s[4:5], s[24:25], 3
	s_delay_alu instid0(SALU_CYCLE_1) | instskip(SKIP_2) | instid1(VALU_DEP_1)
	s_add_u32 s3, s20, s4
	s_addc_u32 s4, s21, s5
	v_add_co_u32 v1, s3, s3, v17
	v_add_co_ci_u32_e64 v2, null, s4, 0, s3
	s_mov_b32 s3, s25
	s_delay_alu instid0(VALU_DEP_2) | instskip(NEXT) | instid1(VALU_DEP_2)
	v_add_co_u32 v19, vcc_lo, v1, v18
	v_add_co_ci_u32_e32 v20, vcc_lo, 0, v2, vcc_lo
	s_clause 0x1
	global_load_d16_hi_b16 v9, v[11:12], off offset:64
	global_load_d16_hi_b16 v10, v[11:12], off offset:192
	s_clause 0x3
	global_load_b64 v[1:2], v[19:20], off
	global_load_b64 v[3:4], v[19:20], off offset:256
	global_load_b64 v[5:6], v[19:20], off offset:512
	;; [unrolled: 1-line block ×3, first 2 shown]
	v_add_nc_u32_e32 v19, v7, v13
	s_delay_alu instid0(VALU_DEP_1)
	v_add_nc_u32_e32 v13, 32, v19
	v_add_nc_u32_e32 v14, 64, v19
	;; [unrolled: 1-line block ×3, first 2 shown]
	s_and_not1_b32 vcc_lo, exec_lo, s3
	s_sub_i32 s16, s2, s24
	s_cbranch_vccz .LBB50_3
	s_branch .LBB50_17
.LBB50_2:
                                        ; implicit-def: $vgpr9_vgpr10
                                        ; implicit-def: $vgpr1_vgpr2
                                        ; implicit-def: $vgpr3_vgpr4
                                        ; implicit-def: $vgpr5_vgpr6
                                        ; implicit-def: $vgpr21_vgpr22
                                        ; implicit-def: $vgpr19
                                        ; implicit-def: $vgpr13
                                        ; implicit-def: $vgpr14
                                        ; implicit-def: $vgpr16
	s_and_not1_b32 vcc_lo, exec_lo, s3
	s_sub_i32 s16, s2, s24
	s_cbranch_vccnz .LBB50_17
.LBB50_3:
	s_mov_b32 s2, 0x80008000
	v_cmp_gt_u32_e32 vcc_lo, s16, v15
	s_mov_b32 s3, s2
	s_waitcnt vmcnt(4)
	v_dual_mov_b32 v10, s3 :: v_dual_mov_b32 v9, s2
	s_and_saveexec_b32 s2, vcc_lo
	s_cbranch_execz .LBB50_5
; %bb.4:
	v_bfrev_b32_e32 v9, 1
	v_mov_b32_e32 v10, 0x80008000
	global_load_d16_b16 v9, v[11:12], off
.LBB50_5:
	s_or_b32 exec_lo, exec_lo, s2
	v_add_nc_u32_e32 v13, 32, v15
	s_delay_alu instid0(VALU_DEP_1) | instskip(NEXT) | instid1(VALU_DEP_1)
	v_cmp_gt_u32_e64 s2, s16, v13
	s_and_saveexec_b32 s3, s2
	s_cbranch_execz .LBB50_7
; %bb.6:
	global_load_d16_hi_b16 v9, v[11:12], off offset:64
.LBB50_7:
	s_or_b32 exec_lo, exec_lo, s3
	v_add_nc_u32_e32 v14, 64, v15
	s_delay_alu instid0(VALU_DEP_1) | instskip(NEXT) | instid1(VALU_DEP_1)
	v_cmp_gt_u32_e64 s3, s16, v14
	s_and_saveexec_b32 s4, s3
	s_cbranch_execz .LBB50_9
; %bb.8:
	global_load_d16_b16 v10, v[11:12], off offset:128
.LBB50_9:
	s_or_b32 exec_lo, exec_lo, s4
	v_add_nc_u32_e32 v16, 0x60, v15
	s_delay_alu instid0(VALU_DEP_1) | instskip(NEXT) | instid1(VALU_DEP_1)
	v_cmp_gt_u32_e64 s4, s16, v16
	s_and_saveexec_b32 s5, s4
	s_cbranch_execz .LBB50_11
; %bb.10:
	global_load_d16_hi_b16 v10, v[11:12], off offset:192
.LBB50_11:
	s_or_b32 exec_lo, exec_lo, s5
	s_lshl_b64 s[6:7], s[24:25], 3
	s_delay_alu instid0(SALU_CYCLE_1) | instskip(SKIP_3) | instid1(VALU_DEP_1)
	s_add_u32 s5, s20, s6
	s_addc_u32 s6, s21, s7
	s_waitcnt vmcnt(3)
	v_add_co_u32 v1, s5, s5, v17
	v_add_co_ci_u32_e64 v2, null, s6, 0, s5
	s_delay_alu instid0(VALU_DEP_2) | instskip(NEXT) | instid1(VALU_DEP_1)
	v_add_co_u32 v11, s5, v1, v18
	v_add_co_ci_u32_e64 v12, s5, 0, v2, s5
                                        ; implicit-def: $vgpr1_vgpr2
	s_and_saveexec_b32 s5, vcc_lo
	s_cbranch_execnz .LBB50_54
; %bb.12:
	s_or_b32 exec_lo, exec_lo, s5
                                        ; implicit-def: $vgpr3_vgpr4
	s_and_saveexec_b32 s5, s2
	s_cbranch_execnz .LBB50_55
.LBB50_13:
	s_or_b32 exec_lo, exec_lo, s5
                                        ; implicit-def: $vgpr5_vgpr6
	s_and_saveexec_b32 s2, s3
	s_cbranch_execnz .LBB50_56
.LBB50_14:
	s_or_b32 exec_lo, exec_lo, s2
                                        ; implicit-def: $vgpr21_vgpr22
	s_and_saveexec_b32 s2, s4
	s_cbranch_execz .LBB50_16
.LBB50_15:
	global_load_b64 v[21:22], v[11:12], off offset:768
.LBB50_16:
	s_or_b32 exec_lo, exec_lo, s2
	v_mov_b32_e32 v19, v15
.LBB50_17:
	s_clause 0x1
	s_load_b32 s7, s[0:1], 0x3c
	s_load_b64 s[14:15], s[0:1], 0x28
	s_waitcnt vmcnt(0)
	v_xor_b32_e32 v43, 0x7fff7fff, v10
	v_bfe_u32 v10, v0, 10, 10
	v_bfe_u32 v0, v0, 20, 10
	s_mov_b32 s20, 0
	v_add_nc_u32_e32 v17, -1, v7
	s_mov_b32 s30, s20
	s_mov_b32 s31, s20
	v_and_b32_e32 v11, 0x3e0, v8
	v_cmp_eq_u32_e64 s2, 0, v7
	v_cmp_gt_i32_e32 vcc_lo, 0, v17
	v_lshlrev_b32_e32 v25, 5, v8
	v_and_b32_e32 v20, 7, v7
	v_min_u32_e32 v23, 0xe0, v11
	s_mov_b32 s21, s20
	v_and_b32_e32 v12, 15, v7
	v_and_b32_e32 v15, 16, v7
	v_lshrrev_b32_e32 v18, 3, v8
	v_xor_b32_e32 v39, 0x7fff7fff, v9
	s_waitcnt lgkmcnt(0)
	s_lshr_b32 s6, s7, 16
	s_and_b32 s7, s7, 0xffff
	v_mad_u32_u24 v0, v0, s6, v10
	v_lshlrev_b32_e32 v32, 1, v13
	v_lshlrev_b32_e32 v33, 1, v14
	v_mul_lo_u32 v13, v13, 6
	v_mul_lo_u32 v14, v14, 6
	v_mad_u64_u32 v[10:11], null, v0, s7, v[8:9]
	v_cndmask_b32_e32 v0, v17, v7, vcc_lo
	v_or_b32_e32 v7, 31, v23
	v_and_b32_e32 v27, 0x7c, v18
	v_lshlrev_b32_e32 v31, 1, v19
	v_lshlrev_b32_e32 v34, 1, v16
	;; [unrolled: 1-line block ×3, first 2 shown]
	v_lshrrev_b32_e32 v29, 5, v10
	v_dual_mov_b32 v9, s20 :: v_dual_mov_b32 v10, s21
	v_cmp_eq_u32_e64 s8, 0, v15
	v_cmp_eq_u32_e64 s9, v7, v8
	v_mul_lo_u32 v7, v19, 6
	v_mul_lo_u32 v15, v16, 6
	v_mul_i32_i24_e32 v0, 0xffffffe4, v8
	v_cmp_eq_u32_e64 s4, 0, v12
	v_cmp_lt_u32_e64 s5, 1, v12
	v_cmp_lt_u32_e64 s6, 3, v12
	;; [unrolled: 1-line block ×3, first 2 shown]
	v_mov_b32_e32 v11, s30
	v_cmp_gt_u32_e64 s0, 8, v8
	v_cmp_lt_u32_e64 s1, 31, v8
	v_cmp_eq_u32_e64 s3, 0, v8
	v_add_nc_u32_e32 v26, 32, v25
	v_cmp_eq_u32_e64 s10, 0, v20
	v_cmp_lt_u32_e64 s11, 1, v20
	v_cmp_lt_u32_e64 s12, 3, v20
	v_add_nc_u32_e32 v30, -4, v27
	v_dual_mov_b32 v12, s31 :: v_dual_add_nc_u32 v35, v25, v0
	v_add_nc_u32_e32 v36, v31, v7
	v_add_nc_u32_e32 v37, v32, v13
	;; [unrolled: 1-line block ×4, first 2 shown]
	s_add_i32 s17, s15, s14
	s_branch .LBB50_19
.LBB50_18:                              ;   in Loop: Header=BB50_19 Depth=1
	s_barrier
	buffer_gl0_inv
	ds_store_b16 v24, v39
	ds_store_b16 v23, v42
	;; [unrolled: 1-line block ×4, first 2 shown]
	s_waitcnt lgkmcnt(0)
	s_barrier
	buffer_gl0_inv
	ds_load_u16 v39, v31
	ds_load_u16 v43, v33
	v_mad_u64_u32 v[1:2], null, v49, 6, v[24:25]
	v_mad_u64_u32 v[2:3], null, v47, 6, v[23:24]
	;; [unrolled: 1-line block ×3, first 2 shown]
	s_add_i32 s15, s15, -8
	s_delay_alu instid0(VALU_DEP_3)
	v_mad_u64_u32 v[4:5], null, v45, 6, v[0:1]
	s_waitcnt lgkmcnt(1)
	ds_load_u16_d16_hi v39, v32
	s_waitcnt lgkmcnt(1)
	ds_load_u16_d16_hi v43, v34
	s_waitcnt lgkmcnt(0)
	s_barrier
	buffer_gl0_inv
	ds_store_b64 v1, v[19:20]
	ds_store_b64 v2, v[17:18]
	ds_store_b64 v3, v[15:16]
	ds_store_b64 v4, v[13:14]
	s_waitcnt lgkmcnt(0)
	s_barrier
	buffer_gl0_inv
	ds_load_b64 v[1:2], v36
	ds_load_b64 v[3:4], v37
	;; [unrolled: 1-line block ×4, first 2 shown]
	s_waitcnt lgkmcnt(0)
	s_barrier
	buffer_gl0_inv
	s_cbranch_execz .LBB50_35
.LBB50_19:                              ; =>This Inner Loop Header: Depth=1
	v_dual_mov_b32 v41, v43 :: v_dual_and_b32 v0, 0xffff, v39
	s_min_u32 s13, s15, 8
	ds_store_2addr_b64 v25, v[9:10], v[11:12] offset0:4 offset1:5
	ds_store_2addr_b64 v26, v[9:10], v[11:12] offset0:2 offset1:3
	s_lshl_b32 s13, -1, s13
	v_lshrrev_b32_e32 v0, s14, v0
	s_not_b32 s20, s13
	s_waitcnt lgkmcnt(0)
	s_barrier
	buffer_gl0_inv
	v_and_b32_e32 v7, s20, v0
	; wave barrier
	s_delay_alu instid0(VALU_DEP_1)
	v_and_b32_e32 v0, 1, v7
	v_lshlrev_b32_e32 v13, 30, v7
	v_lshlrev_b32_e32 v14, 29, v7
	;; [unrolled: 1-line block ×4, first 2 shown]
	v_add_co_u32 v0, s13, v0, -1
	s_delay_alu instid0(VALU_DEP_1)
	v_cndmask_b32_e64 v16, 0, 1, s13
	v_not_b32_e32 v20, v13
	v_cmp_gt_i32_e64 s13, 0, v13
	v_not_b32_e32 v13, v14
	v_lshlrev_b32_e32 v19, 25, v7
	v_cmp_ne_u32_e32 vcc_lo, 0, v16
	v_ashrrev_i32_e32 v20, 31, v20
	s_delay_alu instid0(VALU_DEP_4)
	v_ashrrev_i32_e32 v13, 31, v13
	v_xor_b32_e32 v0, vcc_lo, v0
	v_cmp_gt_i32_e32 vcc_lo, 0, v14
	v_not_b32_e32 v14, v15
	v_xor_b32_e32 v20, s13, v20
	v_cmp_gt_i32_e64 s13, 0, v15
	v_and_b32_e32 v0, exec_lo, v0
	v_not_b32_e32 v15, v17
	v_xor_b32_e32 v13, vcc_lo, v13
	v_cmp_gt_i32_e32 vcc_lo, 0, v17
	v_ashrrev_i32_e32 v14, 31, v14
	v_and_b32_e32 v0, v0, v20
	v_ashrrev_i32_e32 v15, 31, v15
	s_delay_alu instid0(VALU_DEP_3) | instskip(NEXT) | instid1(VALU_DEP_3)
	v_xor_b32_e32 v14, s13, v14
	v_and_b32_e32 v0, v0, v13
	v_not_b32_e32 v13, v19
	s_delay_alu instid0(VALU_DEP_4)
	v_xor_b32_e32 v15, vcc_lo, v15
	v_cmp_gt_i32_e32 vcc_lo, 0, v19
	v_mov_b32_e32 v20, v2
	v_lshlrev_b32_e32 v18, 26, v7
	v_lshlrev_b32_e32 v16, 24, v7
	v_and_b32_e32 v0, v0, v14
	v_ashrrev_i32_e32 v13, 31, v13
	v_mov_b32_e32 v19, v1
	v_not_b32_e32 v17, v18
	v_cmp_gt_i32_e64 s13, 0, v18
	v_not_b32_e32 v14, v16
	v_and_b32_e32 v0, v0, v15
	v_xor_b32_e32 v13, vcc_lo, v13
	v_ashrrev_i32_e32 v17, 31, v17
	v_lshl_add_u32 v1, v7, 3, v29
	v_ashrrev_i32_e32 v14, 31, v14
	s_delay_alu instid0(VALU_DEP_3) | instskip(SKIP_2) | instid1(VALU_DEP_3)
	v_xor_b32_e32 v17, s13, v17
	v_cmp_gt_i32_e64 s13, 0, v16
	v_dual_mov_b32 v16, v6 :: v_dual_mov_b32 v15, v5
	v_and_b32_e32 v0, v0, v17
	s_delay_alu instid0(VALU_DEP_3) | instskip(SKIP_1) | instid1(VALU_DEP_3)
	v_xor_b32_e32 v14, s13, v14
	v_dual_mov_b32 v18, v4 :: v_dual_mov_b32 v17, v3
	v_and_b32_e32 v0, v0, v13
	s_delay_alu instid0(VALU_DEP_1) | instskip(SKIP_2) | instid1(VALU_DEP_3)
	v_dual_mov_b32 v13, v21 :: v_dual_and_b32 v0, v0, v14
	v_mov_b32_e32 v14, v22
	v_lshl_add_u32 v22, v1, 2, 32
	v_mbcnt_lo_u32_b32 v21, v0, 0
	v_cmp_ne_u32_e64 s13, 0, v0
	s_delay_alu instid0(VALU_DEP_2) | instskip(NEXT) | instid1(VALU_DEP_2)
	v_cmp_eq_u32_e32 vcc_lo, 0, v21
	s_and_b32 s21, s13, vcc_lo
	s_delay_alu instid0(SALU_CYCLE_1)
	s_and_saveexec_b32 s13, s21
	s_cbranch_execz .LBB50_21
; %bb.20:                               ;   in Loop: Header=BB50_19 Depth=1
	v_bcnt_u32_b32 v0, v0, 0
	ds_store_b32 v22, v0
.LBB50_21:                              ;   in Loop: Header=BB50_19 Depth=1
	s_or_b32 exec_lo, exec_lo, s13
	v_lshrrev_b32_e32 v42, 16, v39
	; wave barrier
	s_delay_alu instid0(VALU_DEP_1) | instskip(NEXT) | instid1(VALU_DEP_1)
	v_lshrrev_b32_e32 v0, s14, v42
	v_and_b32_e32 v0, s20, v0
	s_delay_alu instid0(VALU_DEP_1)
	v_and_b32_e32 v1, 1, v0
	v_lshlrev_b32_e32 v2, 30, v0
	v_lshlrev_b32_e32 v3, 29, v0
	;; [unrolled: 1-line block ×4, first 2 shown]
	v_add_co_u32 v1, s13, v1, -1
	s_delay_alu instid0(VALU_DEP_1)
	v_cndmask_b32_e64 v5, 0, 1, s13
	v_not_b32_e32 v24, v2
	v_cmp_gt_i32_e64 s13, 0, v2
	v_not_b32_e32 v2, v3
	v_lshlrev_b32_e32 v7, 26, v0
	v_cmp_ne_u32_e32 vcc_lo, 0, v5
	v_ashrrev_i32_e32 v24, 31, v24
	v_lshlrev_b32_e32 v23, 25, v0
	v_ashrrev_i32_e32 v2, 31, v2
	v_lshlrev_b32_e32 v5, 24, v0
	v_xor_b32_e32 v1, vcc_lo, v1
	v_cmp_gt_i32_e32 vcc_lo, 0, v3
	v_not_b32_e32 v3, v4
	v_xor_b32_e32 v24, s13, v24
	v_cmp_gt_i32_e64 s13, 0, v4
	v_and_b32_e32 v1, exec_lo, v1
	v_not_b32_e32 v4, v6
	v_ashrrev_i32_e32 v3, 31, v3
	v_xor_b32_e32 v2, vcc_lo, v2
	v_cmp_gt_i32_e32 vcc_lo, 0, v6
	v_and_b32_e32 v1, v1, v24
	v_not_b32_e32 v6, v7
	v_ashrrev_i32_e32 v4, 31, v4
	v_xor_b32_e32 v3, s13, v3
	v_cmp_gt_i32_e64 s13, 0, v7
	v_and_b32_e32 v1, v1, v2
	v_not_b32_e32 v2, v23
	v_ashrrev_i32_e32 v6, 31, v6
	v_xor_b32_e32 v4, vcc_lo, v4
	v_cmp_gt_i32_e32 vcc_lo, 0, v23
	v_and_b32_e32 v1, v1, v3
	v_not_b32_e32 v3, v5
	v_ashrrev_i32_e32 v2, 31, v2
	v_xor_b32_e32 v6, s13, v6
	v_lshlrev_b32_e32 v0, 3, v0
	v_and_b32_e32 v1, v1, v4
	v_cmp_gt_i32_e64 s13, 0, v5
	v_ashrrev_i32_e32 v3, 31, v3
	v_xor_b32_e32 v2, vcc_lo, v2
	v_add_lshl_u32 v4, v0, v29, 2
	v_and_b32_e32 v1, v1, v6
	s_delay_alu instid0(VALU_DEP_4) | instskip(SKIP_3) | instid1(VALU_DEP_2)
	v_xor_b32_e32 v0, s13, v3
	ds_load_b32 v23, v4 offset:32
	v_and_b32_e32 v1, v1, v2
	v_add_nc_u32_e32 v43, 32, v4
	; wave barrier
	v_and_b32_e32 v0, v1, v0
	s_delay_alu instid0(VALU_DEP_1) | instskip(SKIP_1) | instid1(VALU_DEP_2)
	v_mbcnt_lo_u32_b32 v24, v0, 0
	v_cmp_ne_u32_e64 s13, 0, v0
	v_cmp_eq_u32_e32 vcc_lo, 0, v24
	s_delay_alu instid0(VALU_DEP_2) | instskip(NEXT) | instid1(SALU_CYCLE_1)
	s_and_b32 s21, s13, vcc_lo
	s_and_saveexec_b32 s13, s21
	s_cbranch_execz .LBB50_23
; %bb.22:                               ;   in Loop: Header=BB50_19 Depth=1
	s_waitcnt lgkmcnt(0)
	v_bcnt_u32_b32 v0, v0, v23
	ds_store_b32 v43, v0
.LBB50_23:                              ;   in Loop: Header=BB50_19 Depth=1
	s_or_b32 exec_lo, exec_lo, s13
	v_and_b32_e32 v0, 0xffff, v41
	; wave barrier
	s_delay_alu instid0(VALU_DEP_1) | instskip(NEXT) | instid1(VALU_DEP_1)
	v_lshrrev_b32_e32 v0, s14, v0
	v_and_b32_e32 v0, s20, v0
	s_delay_alu instid0(VALU_DEP_1)
	v_and_b32_e32 v1, 1, v0
	v_lshlrev_b32_e32 v2, 30, v0
	v_lshlrev_b32_e32 v3, 29, v0
	;; [unrolled: 1-line block ×4, first 2 shown]
	v_add_co_u32 v1, s13, v1, -1
	s_delay_alu instid0(VALU_DEP_1)
	v_cndmask_b32_e64 v5, 0, 1, s13
	v_not_b32_e32 v45, v2
	v_cmp_gt_i32_e64 s13, 0, v2
	v_not_b32_e32 v2, v3
	v_lshlrev_b32_e32 v7, 26, v0
	v_cmp_ne_u32_e32 vcc_lo, 0, v5
	v_ashrrev_i32_e32 v45, 31, v45
	v_lshlrev_b32_e32 v44, 25, v0
	v_ashrrev_i32_e32 v2, 31, v2
	v_lshlrev_b32_e32 v5, 24, v0
	v_xor_b32_e32 v1, vcc_lo, v1
	v_cmp_gt_i32_e32 vcc_lo, 0, v3
	v_not_b32_e32 v3, v4
	v_xor_b32_e32 v45, s13, v45
	v_cmp_gt_i32_e64 s13, 0, v4
	v_and_b32_e32 v1, exec_lo, v1
	v_not_b32_e32 v4, v6
	v_ashrrev_i32_e32 v3, 31, v3
	v_xor_b32_e32 v2, vcc_lo, v2
	v_cmp_gt_i32_e32 vcc_lo, 0, v6
	v_and_b32_e32 v1, v1, v45
	v_not_b32_e32 v6, v7
	v_ashrrev_i32_e32 v4, 31, v4
	v_xor_b32_e32 v3, s13, v3
	v_cmp_gt_i32_e64 s13, 0, v7
	v_and_b32_e32 v1, v1, v2
	v_not_b32_e32 v2, v44
	v_ashrrev_i32_e32 v6, 31, v6
	v_xor_b32_e32 v4, vcc_lo, v4
	v_cmp_gt_i32_e32 vcc_lo, 0, v44
	v_and_b32_e32 v1, v1, v3
	v_not_b32_e32 v3, v5
	v_ashrrev_i32_e32 v2, 31, v2
	v_xor_b32_e32 v6, s13, v6
	v_lshlrev_b32_e32 v0, 3, v0
	v_and_b32_e32 v1, v1, v4
	v_cmp_gt_i32_e64 s13, 0, v5
	v_ashrrev_i32_e32 v3, 31, v3
	v_xor_b32_e32 v2, vcc_lo, v2
	v_add_lshl_u32 v4, v0, v29, 2
	v_and_b32_e32 v1, v1, v6
	s_delay_alu instid0(VALU_DEP_4) | instskip(SKIP_3) | instid1(VALU_DEP_2)
	v_xor_b32_e32 v0, s13, v3
	ds_load_b32 v45, v4 offset:32
	v_and_b32_e32 v1, v1, v2
	v_add_nc_u32_e32 v47, 32, v4
	; wave barrier
	v_and_b32_e32 v0, v1, v0
	s_delay_alu instid0(VALU_DEP_1) | instskip(SKIP_1) | instid1(VALU_DEP_2)
	v_mbcnt_lo_u32_b32 v46, v0, 0
	v_cmp_ne_u32_e64 s13, 0, v0
	v_cmp_eq_u32_e32 vcc_lo, 0, v46
	s_delay_alu instid0(VALU_DEP_2) | instskip(NEXT) | instid1(SALU_CYCLE_1)
	s_and_b32 s21, s13, vcc_lo
	s_and_saveexec_b32 s13, s21
	s_cbranch_execz .LBB50_25
; %bb.24:                               ;   in Loop: Header=BB50_19 Depth=1
	s_waitcnt lgkmcnt(0)
	v_bcnt_u32_b32 v0, v0, v45
	ds_store_b32 v47, v0
.LBB50_25:                              ;   in Loop: Header=BB50_19 Depth=1
	s_or_b32 exec_lo, exec_lo, s13
	v_lshrrev_b32_e32 v44, 16, v41
	; wave barrier
	s_delay_alu instid0(VALU_DEP_1) | instskip(NEXT) | instid1(VALU_DEP_1)
	v_lshrrev_b32_e32 v0, s14, v44
	v_and_b32_e32 v0, s20, v0
	s_delay_alu instid0(VALU_DEP_1)
	v_and_b32_e32 v1, 1, v0
	v_lshlrev_b32_e32 v2, 30, v0
	v_lshlrev_b32_e32 v3, 29, v0
	;; [unrolled: 1-line block ×4, first 2 shown]
	v_add_co_u32 v1, s13, v1, -1
	s_delay_alu instid0(VALU_DEP_1)
	v_cndmask_b32_e64 v5, 0, 1, s13
	v_not_b32_e32 v49, v2
	v_cmp_gt_i32_e64 s13, 0, v2
	v_not_b32_e32 v2, v3
	v_lshlrev_b32_e32 v7, 26, v0
	v_cmp_ne_u32_e32 vcc_lo, 0, v5
	v_ashrrev_i32_e32 v49, 31, v49
	v_lshlrev_b32_e32 v48, 25, v0
	v_ashrrev_i32_e32 v2, 31, v2
	v_lshlrev_b32_e32 v5, 24, v0
	v_xor_b32_e32 v1, vcc_lo, v1
	v_cmp_gt_i32_e32 vcc_lo, 0, v3
	v_not_b32_e32 v3, v4
	v_xor_b32_e32 v49, s13, v49
	v_cmp_gt_i32_e64 s13, 0, v4
	v_and_b32_e32 v1, exec_lo, v1
	v_not_b32_e32 v4, v6
	v_ashrrev_i32_e32 v3, 31, v3
	v_xor_b32_e32 v2, vcc_lo, v2
	v_cmp_gt_i32_e32 vcc_lo, 0, v6
	v_and_b32_e32 v1, v1, v49
	v_not_b32_e32 v6, v7
	v_ashrrev_i32_e32 v4, 31, v4
	v_xor_b32_e32 v3, s13, v3
	v_cmp_gt_i32_e64 s13, 0, v7
	v_and_b32_e32 v1, v1, v2
	v_not_b32_e32 v2, v48
	v_ashrrev_i32_e32 v6, 31, v6
	v_xor_b32_e32 v4, vcc_lo, v4
	v_cmp_gt_i32_e32 vcc_lo, 0, v48
	v_and_b32_e32 v1, v1, v3
	v_not_b32_e32 v3, v5
	v_ashrrev_i32_e32 v2, 31, v2
	v_xor_b32_e32 v6, s13, v6
	v_lshlrev_b32_e32 v0, 3, v0
	v_and_b32_e32 v1, v1, v4
	v_cmp_gt_i32_e64 s13, 0, v5
	v_ashrrev_i32_e32 v3, 31, v3
	v_xor_b32_e32 v2, vcc_lo, v2
	v_add_lshl_u32 v4, v0, v29, 2
	v_and_b32_e32 v1, v1, v6
	s_delay_alu instid0(VALU_DEP_4) | instskip(SKIP_3) | instid1(VALU_DEP_2)
	v_xor_b32_e32 v0, s13, v3
	ds_load_b32 v48, v4 offset:32
	v_and_b32_e32 v1, v1, v2
	v_add_nc_u32_e32 v49, 32, v4
	; wave barrier
	v_and_b32_e32 v0, v1, v0
	s_delay_alu instid0(VALU_DEP_1) | instskip(SKIP_1) | instid1(VALU_DEP_2)
	v_mbcnt_lo_u32_b32 v50, v0, 0
	v_cmp_ne_u32_e64 s13, 0, v0
	v_cmp_eq_u32_e32 vcc_lo, 0, v50
	s_delay_alu instid0(VALU_DEP_2) | instskip(NEXT) | instid1(SALU_CYCLE_1)
	s_and_b32 s20, s13, vcc_lo
	s_and_saveexec_b32 s13, s20
	s_cbranch_execz .LBB50_27
; %bb.26:                               ;   in Loop: Header=BB50_19 Depth=1
	s_waitcnt lgkmcnt(0)
	v_bcnt_u32_b32 v0, v0, v48
	ds_store_b32 v49, v0
.LBB50_27:                              ;   in Loop: Header=BB50_19 Depth=1
	s_or_b32 exec_lo, exec_lo, s13
	; wave barrier
	s_waitcnt lgkmcnt(0)
	s_barrier
	buffer_gl0_inv
	ds_load_2addr_b64 v[4:7], v25 offset0:4 offset1:5
	ds_load_2addr_b64 v[0:3], v26 offset0:2 offset1:3
	s_waitcnt lgkmcnt(1)
	v_add_nc_u32_e32 v51, v5, v4
	s_delay_alu instid0(VALU_DEP_1) | instskip(SKIP_1) | instid1(VALU_DEP_1)
	v_add3_u32 v51, v51, v6, v7
	s_waitcnt lgkmcnt(0)
	v_add3_u32 v51, v51, v0, v1
	s_delay_alu instid0(VALU_DEP_1) | instskip(NEXT) | instid1(VALU_DEP_1)
	v_add3_u32 v3, v51, v2, v3
	v_mov_b32_dpp v51, v3 row_shr:1 row_mask:0xf bank_mask:0xf
	s_delay_alu instid0(VALU_DEP_1) | instskip(NEXT) | instid1(VALU_DEP_1)
	v_cndmask_b32_e64 v51, v51, 0, s4
	v_add_nc_u32_e32 v3, v51, v3
	s_delay_alu instid0(VALU_DEP_1) | instskip(NEXT) | instid1(VALU_DEP_1)
	v_mov_b32_dpp v51, v3 row_shr:2 row_mask:0xf bank_mask:0xf
	v_cndmask_b32_e64 v51, 0, v51, s5
	s_delay_alu instid0(VALU_DEP_1) | instskip(NEXT) | instid1(VALU_DEP_1)
	v_add_nc_u32_e32 v3, v3, v51
	v_mov_b32_dpp v51, v3 row_shr:4 row_mask:0xf bank_mask:0xf
	s_delay_alu instid0(VALU_DEP_1) | instskip(NEXT) | instid1(VALU_DEP_1)
	v_cndmask_b32_e64 v51, 0, v51, s6
	v_add_nc_u32_e32 v3, v3, v51
	s_delay_alu instid0(VALU_DEP_1) | instskip(NEXT) | instid1(VALU_DEP_1)
	v_mov_b32_dpp v51, v3 row_shr:8 row_mask:0xf bank_mask:0xf
	v_cndmask_b32_e64 v51, 0, v51, s7
	s_delay_alu instid0(VALU_DEP_1) | instskip(SKIP_3) | instid1(VALU_DEP_1)
	v_add_nc_u32_e32 v3, v3, v51
	ds_swizzle_b32 v51, v3 offset:swizzle(BROADCAST,32,15)
	s_waitcnt lgkmcnt(0)
	v_cndmask_b32_e64 v51, v51, 0, s8
	v_add_nc_u32_e32 v3, v3, v51
	s_and_saveexec_b32 s13, s9
	s_cbranch_execz .LBB50_29
; %bb.28:                               ;   in Loop: Header=BB50_19 Depth=1
	ds_store_b32 v27, v3
.LBB50_29:                              ;   in Loop: Header=BB50_19 Depth=1
	s_or_b32 exec_lo, exec_lo, s13
	s_waitcnt lgkmcnt(0)
	s_barrier
	buffer_gl0_inv
	s_and_saveexec_b32 s13, s0
	s_cbranch_execz .LBB50_31
; %bb.30:                               ;   in Loop: Header=BB50_19 Depth=1
	ds_load_b32 v51, v35
	s_waitcnt lgkmcnt(0)
	v_mov_b32_dpp v52, v51 row_shr:1 row_mask:0xf bank_mask:0xf
	s_delay_alu instid0(VALU_DEP_1) | instskip(NEXT) | instid1(VALU_DEP_1)
	v_cndmask_b32_e64 v52, v52, 0, s10
	v_add_nc_u32_e32 v51, v52, v51
	s_delay_alu instid0(VALU_DEP_1) | instskip(NEXT) | instid1(VALU_DEP_1)
	v_mov_b32_dpp v52, v51 row_shr:2 row_mask:0xf bank_mask:0xf
	v_cndmask_b32_e64 v52, 0, v52, s11
	s_delay_alu instid0(VALU_DEP_1) | instskip(NEXT) | instid1(VALU_DEP_1)
	v_add_nc_u32_e32 v51, v51, v52
	v_mov_b32_dpp v52, v51 row_shr:4 row_mask:0xf bank_mask:0xf
	s_delay_alu instid0(VALU_DEP_1) | instskip(NEXT) | instid1(VALU_DEP_1)
	v_cndmask_b32_e64 v52, 0, v52, s12
	v_add_nc_u32_e32 v51, v51, v52
	ds_store_b32 v35, v51
.LBB50_31:                              ;   in Loop: Header=BB50_19 Depth=1
	s_or_b32 exec_lo, exec_lo, s13
	v_mov_b32_e32 v51, 0
	s_waitcnt lgkmcnt(0)
	s_barrier
	buffer_gl0_inv
	s_and_saveexec_b32 s13, s1
	s_cbranch_execz .LBB50_33
; %bb.32:                               ;   in Loop: Header=BB50_19 Depth=1
	ds_load_b32 v51, v30
.LBB50_33:                              ;   in Loop: Header=BB50_19 Depth=1
	s_or_b32 exec_lo, exec_lo, s13
	s_waitcnt lgkmcnt(0)
	v_add_nc_u32_e32 v3, v51, v3
	s_add_i32 s14, s14, 8
	s_delay_alu instid0(SALU_CYCLE_1) | instskip(SKIP_3) | instid1(VALU_DEP_1)
	s_cmp_ge_u32 s14, s17
	ds_bpermute_b32 v3, v28, v3
	s_waitcnt lgkmcnt(0)
	v_cndmask_b32_e64 v3, v3, v51, s2
	v_cndmask_b32_e64 v3, v3, 0, s3
	s_delay_alu instid0(VALU_DEP_1) | instskip(NEXT) | instid1(VALU_DEP_1)
	v_add_nc_u32_e32 v4, v3, v4
	v_add_nc_u32_e32 v5, v4, v5
	s_delay_alu instid0(VALU_DEP_1) | instskip(NEXT) | instid1(VALU_DEP_1)
	v_add_nc_u32_e32 v6, v5, v6
	v_add_nc_u32_e32 v51, v6, v7
	;; [unrolled: 3-line block ×3, first 2 shown]
	s_delay_alu instid0(VALU_DEP_1)
	v_add_nc_u32_e32 v1, v0, v2
	ds_store_2addr_b64 v25, v[3:4], v[5:6] offset0:4 offset1:5
	ds_store_2addr_b64 v26, v[51:52], v[0:1] offset0:2 offset1:3
	v_mov_b32_e32 v51, v39
	s_waitcnt lgkmcnt(0)
	s_barrier
	buffer_gl0_inv
	ds_load_b32 v0, v22
	ds_load_b32 v1, v43
	;; [unrolled: 1-line block ×4, first 2 shown]
	s_waitcnt lgkmcnt(0)
	v_add_nc_u32_e32 v49, v0, v21
	v_add3_u32 v47, v24, v23, v1
	v_add3_u32 v46, v46, v45, v2
	;; [unrolled: 1-line block ×3, first 2 shown]
	s_delay_alu instid0(VALU_DEP_4) | instskip(NEXT) | instid1(VALU_DEP_4)
	v_lshlrev_b32_e32 v24, 1, v49
	v_lshlrev_b32_e32 v23, 1, v47
	s_delay_alu instid0(VALU_DEP_4) | instskip(NEXT) | instid1(VALU_DEP_4)
	v_lshlrev_b32_e32 v7, 1, v46
	v_lshlrev_b32_e32 v0, 1, v45
	s_cbranch_scc0 .LBB50_18
; %bb.34:
                                        ; implicit-def: $vgpr43
                                        ; implicit-def: $vgpr39
                                        ; implicit-def: $sgpr14
                                        ; implicit-def: $vgpr1_vgpr2
                                        ; implicit-def: $vgpr3_vgpr4
                                        ; implicit-def: $vgpr5_vgpr6
                                        ; implicit-def: $vgpr21_vgpr22
.LBB50_35:
	v_mad_u64_u32 v[1:2], null, v49, 6, v[24:25]
	v_lshlrev_b32_e32 v9, 1, v8
	v_mad_u64_u32 v[2:3], null, v47, 6, v[23:24]
	v_mad_u64_u32 v[3:4], null, v46, 6, v[7:8]
	s_barrier
	s_delay_alu instid0(VALU_DEP_4)
	v_mad_u64_u32 v[4:5], null, v45, 6, v[0:1]
	buffer_gl0_inv
	ds_store_b16 v24, v51
	ds_store_b16 v23, v42
	;; [unrolled: 1-line block ×4, first 2 shown]
	s_waitcnt lgkmcnt(0)
	s_barrier
	buffer_gl0_inv
	ds_load_u16 v10, v9
	ds_load_u16 v11, v9 offset:512
	ds_load_u16 v12, v9 offset:1024
	;; [unrolled: 1-line block ×3, first 2 shown]
	v_mad_u32_u24 v0, v8, 6, v9
	s_waitcnt lgkmcnt(0)
	s_barrier
	buffer_gl0_inv
	ds_store_b64 v1, v[19:20]
	ds_store_b64 v2, v[17:18]
	;; [unrolled: 1-line block ×4, first 2 shown]
	s_waitcnt lgkmcnt(0)
	s_barrier
	buffer_gl0_inv
	ds_load_2addr_stride64_b64 v[4:7], v0 offset1:4
	ds_load_2addr_stride64_b64 v[0:3], v0 offset0:8 offset1:12
	s_add_u32 s0, s18, s26
	s_addc_u32 s1, s19, s27
	v_add_co_u32 v9, s0, s0, v9
	s_mov_b32 s2, 0
	s_and_not1_b32 vcc_lo, exec_lo, s28
	v_xor_b32_e32 v15, 0x7fff, v10
	v_xor_b32_e32 v13, 0x7fff, v11
	v_xor_b32_e32 v14, 0x7fff, v12
	v_xor_b32_e32 v12, 0x7fff, v21
	v_add_co_ci_u32_e64 v10, null, s1, 0, s0
	v_lshlrev_b32_e32 v11, 3, v8
	s_mov_b32 s0, -1
	s_cbranch_vccz .LBB50_39
; %bb.36:
	s_and_not1_b32 vcc_lo, exec_lo, s0
	s_cbranch_vccz .LBB50_40
.LBB50_37:
	s_and_saveexec_b32 s0, s2
	s_cbranch_execnz .LBB50_53
.LBB50_38:
	s_nop 0
	s_sendmsg sendmsg(MSG_DEALLOC_VGPRS)
	s_endpgm
.LBB50_39:
	s_lshl_b64 s[0:1], s[24:25], 3
	s_mov_b32 s2, -1
	s_add_u32 s4, s22, s0
	s_addc_u32 s5, s23, s1
	v_add_co_u32 v16, s0, s4, v11
	s_delay_alu instid0(VALU_DEP_1) | instskip(NEXT) | instid1(VALU_DEP_2)
	v_add_co_ci_u32_e64 v17, null, s5, 0, s0
	v_add_co_u32 v16, vcc_lo, 0x1000, v16
	s_delay_alu instid0(VALU_DEP_2)
	v_add_co_ci_u32_e32 v17, vcc_lo, 0, v17, vcc_lo
	s_clause 0x3
	global_store_b16 v[9:10], v15, off
	global_store_b16 v[9:10], v13, off offset:512
	global_store_b16 v[9:10], v14, off offset:1024
	;; [unrolled: 1-line block ×3, first 2 shown]
	s_waitcnt lgkmcnt(1)
	s_clause 0x1
	global_store_b64 v11, v[6:7], s[4:5] offset:2048
	global_store_b64 v11, v[4:5], s[4:5]
	s_waitcnt lgkmcnt(0)
	global_store_b64 v[16:17], v[0:1], off
	s_cbranch_execnz .LBB50_37
.LBB50_40:
	v_cmp_gt_u32_e32 vcc_lo, s16, v8
	s_and_saveexec_b32 s0, vcc_lo
	s_cbranch_execz .LBB50_42
; %bb.41:
	global_store_b16 v[9:10], v15, off
.LBB50_42:
	s_or_b32 exec_lo, exec_lo, s0
	v_add_nc_u32_e32 v15, 0x100, v8
	s_delay_alu instid0(VALU_DEP_1) | instskip(NEXT) | instid1(VALU_DEP_1)
	v_cmp_gt_u32_e64 s0, s16, v15
	s_and_saveexec_b32 s1, s0
	s_cbranch_execz .LBB50_44
; %bb.43:
	global_store_b16 v[9:10], v13, off offset:512
.LBB50_44:
	s_or_b32 exec_lo, exec_lo, s1
	v_add_nc_u32_e32 v13, 0x200, v8
	s_delay_alu instid0(VALU_DEP_1) | instskip(NEXT) | instid1(VALU_DEP_1)
	v_cmp_gt_u32_e64 s1, s16, v13
	s_and_saveexec_b32 s2, s1
	s_cbranch_execz .LBB50_46
; %bb.45:
	global_store_b16 v[9:10], v14, off offset:1024
.LBB50_46:
	;; [unrolled: 9-line block ×3, first 2 shown]
	s_or_b32 exec_lo, exec_lo, s3
	s_lshl_b64 s[4:5], s[24:25], 3
	s_delay_alu instid0(SALU_CYCLE_1) | instskip(SKIP_2) | instid1(VALU_DEP_1)
	s_add_u32 s3, s22, s4
	s_addc_u32 s4, s23, s5
	v_add_co_u32 v8, s3, s3, v11
	v_add_co_ci_u32_e64 v9, null, s4, 0, s3
	s_and_saveexec_b32 s3, vcc_lo
	s_cbranch_execnz .LBB50_57
; %bb.49:
	s_or_b32 exec_lo, exec_lo, s3
	s_and_saveexec_b32 s3, s0
	s_cbranch_execnz .LBB50_58
.LBB50_50:
	s_or_b32 exec_lo, exec_lo, s3
	s_and_saveexec_b32 s0, s1
	s_cbranch_execz .LBB50_52
.LBB50_51:
	s_waitcnt lgkmcnt(1)
	v_add_co_u32 v4, vcc_lo, 0x1000, v8
	v_add_co_ci_u32_e32 v5, vcc_lo, 0, v9, vcc_lo
	s_waitcnt lgkmcnt(0)
	global_store_b64 v[4:5], v[0:1], off
.LBB50_52:
	s_or_b32 exec_lo, exec_lo, s0
	s_and_saveexec_b32 s0, s2
	s_cbranch_execz .LBB50_38
.LBB50_53:
	s_lshl_b64 s[0:1], s[24:25], 3
	s_delay_alu instid0(SALU_CYCLE_1) | instskip(SKIP_3) | instid1(VALU_DEP_1)
	s_add_u32 s0, s22, s0
	s_addc_u32 s1, s23, s1
	s_waitcnt lgkmcnt(0)
	v_add_co_u32 v0, s0, s0, v11
	v_add_co_ci_u32_e64 v1, null, s1, 0, s0
	s_delay_alu instid0(VALU_DEP_2) | instskip(NEXT) | instid1(VALU_DEP_2)
	v_add_co_u32 v0, vcc_lo, 0x1000, v0
	v_add_co_ci_u32_e32 v1, vcc_lo, 0, v1, vcc_lo
	global_store_b64 v[0:1], v[2:3], off offset:2048
	s_nop 0
	s_sendmsg sendmsg(MSG_DEALLOC_VGPRS)
	s_endpgm
.LBB50_54:
	global_load_b64 v[1:2], v[11:12], off
	s_or_b32 exec_lo, exec_lo, s5
                                        ; implicit-def: $vgpr3_vgpr4
	s_and_saveexec_b32 s5, s2
	s_cbranch_execz .LBB50_13
.LBB50_55:
	global_load_b64 v[3:4], v[11:12], off offset:256
	s_or_b32 exec_lo, exec_lo, s5
                                        ; implicit-def: $vgpr5_vgpr6
	s_and_saveexec_b32 s2, s3
	s_cbranch_execz .LBB50_14
.LBB50_56:
	global_load_b64 v[5:6], v[11:12], off offset:512
	s_or_b32 exec_lo, exec_lo, s2
                                        ; implicit-def: $vgpr21_vgpr22
	s_and_saveexec_b32 s2, s4
	s_cbranch_execnz .LBB50_15
	s_branch .LBB50_16
.LBB50_57:
	s_waitcnt lgkmcnt(1)
	global_store_b64 v[8:9], v[4:5], off
	s_or_b32 exec_lo, exec_lo, s3
	s_and_saveexec_b32 s3, s0
	s_cbranch_execz .LBB50_50
.LBB50_58:
	s_waitcnt lgkmcnt(1)
	global_store_b64 v[8:9], v[6:7], off offset:2048
	s_or_b32 exec_lo, exec_lo, s3
	s_and_saveexec_b32 s0, s1
	s_cbranch_execnz .LBB50_51
	s_branch .LBB50_52
	.section	.rodata,"a",@progbits
	.p2align	6, 0x0
	.amdhsa_kernel _ZN7rocprim17ROCPRIM_304000_NS6detail28radix_sort_block_sort_kernelINS1_36wrapped_radix_sort_block_sort_configINS0_13kernel_configILj256ELj4ELj4294967295EEEsN2at4cuda3cub6detail10OpaqueTypeILi8EEEEELb1EPKsPsPKSB_PSB_NS0_19identity_decomposerEEEvT1_T2_T3_T4_jT5_jj
		.amdhsa_group_segment_fixed_size 8224
		.amdhsa_private_segment_fixed_size 0
		.amdhsa_kernarg_size 304
		.amdhsa_user_sgpr_count 15
		.amdhsa_user_sgpr_dispatch_ptr 0
		.amdhsa_user_sgpr_queue_ptr 0
		.amdhsa_user_sgpr_kernarg_segment_ptr 1
		.amdhsa_user_sgpr_dispatch_id 0
		.amdhsa_user_sgpr_private_segment_size 0
		.amdhsa_wavefront_size32 1
		.amdhsa_uses_dynamic_stack 0
		.amdhsa_enable_private_segment 0
		.amdhsa_system_sgpr_workgroup_id_x 1
		.amdhsa_system_sgpr_workgroup_id_y 0
		.amdhsa_system_sgpr_workgroup_id_z 0
		.amdhsa_system_sgpr_workgroup_info 0
		.amdhsa_system_vgpr_workitem_id 2
		.amdhsa_next_free_vgpr 53
		.amdhsa_next_free_sgpr 32
		.amdhsa_reserve_vcc 1
		.amdhsa_float_round_mode_32 0
		.amdhsa_float_round_mode_16_64 0
		.amdhsa_float_denorm_mode_32 3
		.amdhsa_float_denorm_mode_16_64 3
		.amdhsa_dx10_clamp 1
		.amdhsa_ieee_mode 1
		.amdhsa_fp16_overflow 0
		.amdhsa_workgroup_processor_mode 1
		.amdhsa_memory_ordered 1
		.amdhsa_forward_progress 0
		.amdhsa_shared_vgpr_count 0
		.amdhsa_exception_fp_ieee_invalid_op 0
		.amdhsa_exception_fp_denorm_src 0
		.amdhsa_exception_fp_ieee_div_zero 0
		.amdhsa_exception_fp_ieee_overflow 0
		.amdhsa_exception_fp_ieee_underflow 0
		.amdhsa_exception_fp_ieee_inexact 0
		.amdhsa_exception_int_div_zero 0
	.end_amdhsa_kernel
	.section	.text._ZN7rocprim17ROCPRIM_304000_NS6detail28radix_sort_block_sort_kernelINS1_36wrapped_radix_sort_block_sort_configINS0_13kernel_configILj256ELj4ELj4294967295EEEsN2at4cuda3cub6detail10OpaqueTypeILi8EEEEELb1EPKsPsPKSB_PSB_NS0_19identity_decomposerEEEvT1_T2_T3_T4_jT5_jj,"axG",@progbits,_ZN7rocprim17ROCPRIM_304000_NS6detail28radix_sort_block_sort_kernelINS1_36wrapped_radix_sort_block_sort_configINS0_13kernel_configILj256ELj4ELj4294967295EEEsN2at4cuda3cub6detail10OpaqueTypeILi8EEEEELb1EPKsPsPKSB_PSB_NS0_19identity_decomposerEEEvT1_T2_T3_T4_jT5_jj,comdat
.Lfunc_end50:
	.size	_ZN7rocprim17ROCPRIM_304000_NS6detail28radix_sort_block_sort_kernelINS1_36wrapped_radix_sort_block_sort_configINS0_13kernel_configILj256ELj4ELj4294967295EEEsN2at4cuda3cub6detail10OpaqueTypeILi8EEEEELb1EPKsPsPKSB_PSB_NS0_19identity_decomposerEEEvT1_T2_T3_T4_jT5_jj, .Lfunc_end50-_ZN7rocprim17ROCPRIM_304000_NS6detail28radix_sort_block_sort_kernelINS1_36wrapped_radix_sort_block_sort_configINS0_13kernel_configILj256ELj4ELj4294967295EEEsN2at4cuda3cub6detail10OpaqueTypeILi8EEEEELb1EPKsPsPKSB_PSB_NS0_19identity_decomposerEEEvT1_T2_T3_T4_jT5_jj
                                        ; -- End function
	.section	.AMDGPU.csdata,"",@progbits
; Kernel info:
; codeLenInByte = 4200
; NumSgprs: 34
; NumVgprs: 53
; ScratchSize: 0
; MemoryBound: 0
; FloatMode: 240
; IeeeMode: 1
; LDSByteSize: 8224 bytes/workgroup (compile time only)
; SGPRBlocks: 4
; VGPRBlocks: 6
; NumSGPRsForWavesPerEU: 34
; NumVGPRsForWavesPerEU: 53
; Occupancy: 16
; WaveLimiterHint : 1
; COMPUTE_PGM_RSRC2:SCRATCH_EN: 0
; COMPUTE_PGM_RSRC2:USER_SGPR: 15
; COMPUTE_PGM_RSRC2:TRAP_HANDLER: 0
; COMPUTE_PGM_RSRC2:TGID_X_EN: 1
; COMPUTE_PGM_RSRC2:TGID_Y_EN: 0
; COMPUTE_PGM_RSRC2:TGID_Z_EN: 0
; COMPUTE_PGM_RSRC2:TIDIG_COMP_CNT: 2
	.section	.text._ZN7rocprim17ROCPRIM_304000_NS6detail39device_merge_sort_compile_time_verifierINS1_36wrapped_merge_sort_block_sort_configINS1_28merge_sort_block_sort_configILj256ELj4ELNS0_20block_sort_algorithmE0EEEsN2at4cuda3cub6detail10OpaqueTypeILi8EEEEENS1_37wrapped_merge_sort_block_merge_configINS0_14default_configEsSC_EEEEvv,"axG",@progbits,_ZN7rocprim17ROCPRIM_304000_NS6detail39device_merge_sort_compile_time_verifierINS1_36wrapped_merge_sort_block_sort_configINS1_28merge_sort_block_sort_configILj256ELj4ELNS0_20block_sort_algorithmE0EEEsN2at4cuda3cub6detail10OpaqueTypeILi8EEEEENS1_37wrapped_merge_sort_block_merge_configINS0_14default_configEsSC_EEEEvv,comdat
	.protected	_ZN7rocprim17ROCPRIM_304000_NS6detail39device_merge_sort_compile_time_verifierINS1_36wrapped_merge_sort_block_sort_configINS1_28merge_sort_block_sort_configILj256ELj4ELNS0_20block_sort_algorithmE0EEEsN2at4cuda3cub6detail10OpaqueTypeILi8EEEEENS1_37wrapped_merge_sort_block_merge_configINS0_14default_configEsSC_EEEEvv ; -- Begin function _ZN7rocprim17ROCPRIM_304000_NS6detail39device_merge_sort_compile_time_verifierINS1_36wrapped_merge_sort_block_sort_configINS1_28merge_sort_block_sort_configILj256ELj4ELNS0_20block_sort_algorithmE0EEEsN2at4cuda3cub6detail10OpaqueTypeILi8EEEEENS1_37wrapped_merge_sort_block_merge_configINS0_14default_configEsSC_EEEEvv
	.globl	_ZN7rocprim17ROCPRIM_304000_NS6detail39device_merge_sort_compile_time_verifierINS1_36wrapped_merge_sort_block_sort_configINS1_28merge_sort_block_sort_configILj256ELj4ELNS0_20block_sort_algorithmE0EEEsN2at4cuda3cub6detail10OpaqueTypeILi8EEEEENS1_37wrapped_merge_sort_block_merge_configINS0_14default_configEsSC_EEEEvv
	.p2align	8
	.type	_ZN7rocprim17ROCPRIM_304000_NS6detail39device_merge_sort_compile_time_verifierINS1_36wrapped_merge_sort_block_sort_configINS1_28merge_sort_block_sort_configILj256ELj4ELNS0_20block_sort_algorithmE0EEEsN2at4cuda3cub6detail10OpaqueTypeILi8EEEEENS1_37wrapped_merge_sort_block_merge_configINS0_14default_configEsSC_EEEEvv,@function
_ZN7rocprim17ROCPRIM_304000_NS6detail39device_merge_sort_compile_time_verifierINS1_36wrapped_merge_sort_block_sort_configINS1_28merge_sort_block_sort_configILj256ELj4ELNS0_20block_sort_algorithmE0EEEsN2at4cuda3cub6detail10OpaqueTypeILi8EEEEENS1_37wrapped_merge_sort_block_merge_configINS0_14default_configEsSC_EEEEvv: ; @_ZN7rocprim17ROCPRIM_304000_NS6detail39device_merge_sort_compile_time_verifierINS1_36wrapped_merge_sort_block_sort_configINS1_28merge_sort_block_sort_configILj256ELj4ELNS0_20block_sort_algorithmE0EEEsN2at4cuda3cub6detail10OpaqueTypeILi8EEEEENS1_37wrapped_merge_sort_block_merge_configINS0_14default_configEsSC_EEEEvv
; %bb.0:
	s_endpgm
	.section	.rodata,"a",@progbits
	.p2align	6, 0x0
	.amdhsa_kernel _ZN7rocprim17ROCPRIM_304000_NS6detail39device_merge_sort_compile_time_verifierINS1_36wrapped_merge_sort_block_sort_configINS1_28merge_sort_block_sort_configILj256ELj4ELNS0_20block_sort_algorithmE0EEEsN2at4cuda3cub6detail10OpaqueTypeILi8EEEEENS1_37wrapped_merge_sort_block_merge_configINS0_14default_configEsSC_EEEEvv
		.amdhsa_group_segment_fixed_size 0
		.amdhsa_private_segment_fixed_size 0
		.amdhsa_kernarg_size 0
		.amdhsa_user_sgpr_count 15
		.amdhsa_user_sgpr_dispatch_ptr 0
		.amdhsa_user_sgpr_queue_ptr 0
		.amdhsa_user_sgpr_kernarg_segment_ptr 0
		.amdhsa_user_sgpr_dispatch_id 0
		.amdhsa_user_sgpr_private_segment_size 0
		.amdhsa_wavefront_size32 1
		.amdhsa_uses_dynamic_stack 0
		.amdhsa_enable_private_segment 0
		.amdhsa_system_sgpr_workgroup_id_x 1
		.amdhsa_system_sgpr_workgroup_id_y 0
		.amdhsa_system_sgpr_workgroup_id_z 0
		.amdhsa_system_sgpr_workgroup_info 0
		.amdhsa_system_vgpr_workitem_id 0
		.amdhsa_next_free_vgpr 1
		.amdhsa_next_free_sgpr 1
		.amdhsa_reserve_vcc 0
		.amdhsa_float_round_mode_32 0
		.amdhsa_float_round_mode_16_64 0
		.amdhsa_float_denorm_mode_32 3
		.amdhsa_float_denorm_mode_16_64 3
		.amdhsa_dx10_clamp 1
		.amdhsa_ieee_mode 1
		.amdhsa_fp16_overflow 0
		.amdhsa_workgroup_processor_mode 1
		.amdhsa_memory_ordered 1
		.amdhsa_forward_progress 0
		.amdhsa_shared_vgpr_count 0
		.amdhsa_exception_fp_ieee_invalid_op 0
		.amdhsa_exception_fp_denorm_src 0
		.amdhsa_exception_fp_ieee_div_zero 0
		.amdhsa_exception_fp_ieee_overflow 0
		.amdhsa_exception_fp_ieee_underflow 0
		.amdhsa_exception_fp_ieee_inexact 0
		.amdhsa_exception_int_div_zero 0
	.end_amdhsa_kernel
	.section	.text._ZN7rocprim17ROCPRIM_304000_NS6detail39device_merge_sort_compile_time_verifierINS1_36wrapped_merge_sort_block_sort_configINS1_28merge_sort_block_sort_configILj256ELj4ELNS0_20block_sort_algorithmE0EEEsN2at4cuda3cub6detail10OpaqueTypeILi8EEEEENS1_37wrapped_merge_sort_block_merge_configINS0_14default_configEsSC_EEEEvv,"axG",@progbits,_ZN7rocprim17ROCPRIM_304000_NS6detail39device_merge_sort_compile_time_verifierINS1_36wrapped_merge_sort_block_sort_configINS1_28merge_sort_block_sort_configILj256ELj4ELNS0_20block_sort_algorithmE0EEEsN2at4cuda3cub6detail10OpaqueTypeILi8EEEEENS1_37wrapped_merge_sort_block_merge_configINS0_14default_configEsSC_EEEEvv,comdat
.Lfunc_end51:
	.size	_ZN7rocprim17ROCPRIM_304000_NS6detail39device_merge_sort_compile_time_verifierINS1_36wrapped_merge_sort_block_sort_configINS1_28merge_sort_block_sort_configILj256ELj4ELNS0_20block_sort_algorithmE0EEEsN2at4cuda3cub6detail10OpaqueTypeILi8EEEEENS1_37wrapped_merge_sort_block_merge_configINS0_14default_configEsSC_EEEEvv, .Lfunc_end51-_ZN7rocprim17ROCPRIM_304000_NS6detail39device_merge_sort_compile_time_verifierINS1_36wrapped_merge_sort_block_sort_configINS1_28merge_sort_block_sort_configILj256ELj4ELNS0_20block_sort_algorithmE0EEEsN2at4cuda3cub6detail10OpaqueTypeILi8EEEEENS1_37wrapped_merge_sort_block_merge_configINS0_14default_configEsSC_EEEEvv
                                        ; -- End function
	.section	.AMDGPU.csdata,"",@progbits
; Kernel info:
; codeLenInByte = 4
; NumSgprs: 0
; NumVgprs: 0
; ScratchSize: 0
; MemoryBound: 0
; FloatMode: 240
; IeeeMode: 1
; LDSByteSize: 0 bytes/workgroup (compile time only)
; SGPRBlocks: 0
; VGPRBlocks: 0
; NumSGPRsForWavesPerEU: 1
; NumVGPRsForWavesPerEU: 1
; Occupancy: 16
; WaveLimiterHint : 0
; COMPUTE_PGM_RSRC2:SCRATCH_EN: 0
; COMPUTE_PGM_RSRC2:USER_SGPR: 15
; COMPUTE_PGM_RSRC2:TRAP_HANDLER: 0
; COMPUTE_PGM_RSRC2:TGID_X_EN: 1
; COMPUTE_PGM_RSRC2:TGID_Y_EN: 0
; COMPUTE_PGM_RSRC2:TGID_Z_EN: 0
; COMPUTE_PGM_RSRC2:TIDIG_COMP_CNT: 0
	.section	.text._ZN7rocprim17ROCPRIM_304000_NS6detail45device_block_merge_mergepath_partition_kernelINS1_37wrapped_merge_sort_block_merge_configINS0_14default_configEsN2at4cuda3cub6detail10OpaqueTypeILi8EEEEEPsjNS1_19radix_merge_compareILb1ELb0EsNS0_19identity_decomposerEEEEEvT0_T1_jPSH_T2_SH_,"axG",@progbits,_ZN7rocprim17ROCPRIM_304000_NS6detail45device_block_merge_mergepath_partition_kernelINS1_37wrapped_merge_sort_block_merge_configINS0_14default_configEsN2at4cuda3cub6detail10OpaqueTypeILi8EEEEEPsjNS1_19radix_merge_compareILb1ELb0EsNS0_19identity_decomposerEEEEEvT0_T1_jPSH_T2_SH_,comdat
	.protected	_ZN7rocprim17ROCPRIM_304000_NS6detail45device_block_merge_mergepath_partition_kernelINS1_37wrapped_merge_sort_block_merge_configINS0_14default_configEsN2at4cuda3cub6detail10OpaqueTypeILi8EEEEEPsjNS1_19radix_merge_compareILb1ELb0EsNS0_19identity_decomposerEEEEEvT0_T1_jPSH_T2_SH_ ; -- Begin function _ZN7rocprim17ROCPRIM_304000_NS6detail45device_block_merge_mergepath_partition_kernelINS1_37wrapped_merge_sort_block_merge_configINS0_14default_configEsN2at4cuda3cub6detail10OpaqueTypeILi8EEEEEPsjNS1_19radix_merge_compareILb1ELb0EsNS0_19identity_decomposerEEEEEvT0_T1_jPSH_T2_SH_
	.globl	_ZN7rocprim17ROCPRIM_304000_NS6detail45device_block_merge_mergepath_partition_kernelINS1_37wrapped_merge_sort_block_merge_configINS0_14default_configEsN2at4cuda3cub6detail10OpaqueTypeILi8EEEEEPsjNS1_19radix_merge_compareILb1ELb0EsNS0_19identity_decomposerEEEEEvT0_T1_jPSH_T2_SH_
	.p2align	8
	.type	_ZN7rocprim17ROCPRIM_304000_NS6detail45device_block_merge_mergepath_partition_kernelINS1_37wrapped_merge_sort_block_merge_configINS0_14default_configEsN2at4cuda3cub6detail10OpaqueTypeILi8EEEEEPsjNS1_19radix_merge_compareILb1ELb0EsNS0_19identity_decomposerEEEEEvT0_T1_jPSH_T2_SH_,@function
_ZN7rocprim17ROCPRIM_304000_NS6detail45device_block_merge_mergepath_partition_kernelINS1_37wrapped_merge_sort_block_merge_configINS0_14default_configEsN2at4cuda3cub6detail10OpaqueTypeILi8EEEEEPsjNS1_19radix_merge_compareILb1ELb0EsNS0_19identity_decomposerEEEEEvT0_T1_jPSH_T2_SH_: ; @_ZN7rocprim17ROCPRIM_304000_NS6detail45device_block_merge_mergepath_partition_kernelINS1_37wrapped_merge_sort_block_merge_configINS0_14default_configEsN2at4cuda3cub6detail10OpaqueTypeILi8EEEEEPsjNS1_19radix_merge_compareILb1ELb0EsNS0_19identity_decomposerEEEEEvT0_T1_jPSH_T2_SH_
; %bb.0:
	s_load_b64 s[2:3], s[0:1], 0x8
	v_lshl_or_b32 v0, s15, 7, v0
	s_waitcnt lgkmcnt(0)
	s_delay_alu instid0(VALU_DEP_1)
	v_cmp_gt_u32_e32 vcc_lo, s3, v0
	s_and_saveexec_b32 s3, vcc_lo
	s_cbranch_execz .LBB52_6
; %bb.1:
	s_load_b32 s3, s[0:1], 0x1c
	s_waitcnt lgkmcnt(0)
	s_lshr_b32 s4, s3, 9
	s_delay_alu instid0(SALU_CYCLE_1) | instskip(NEXT) | instid1(SALU_CYCLE_1)
	s_and_b32 s4, s4, 0x7ffffe
	s_sub_i32 s5, 0, s4
	s_add_i32 s4, s4, -1
	v_and_b32_e32 v1, s5, v0
	v_and_b32_e32 v5, s4, v0
	s_delay_alu instid0(VALU_DEP_2) | instskip(NEXT) | instid1(VALU_DEP_1)
	v_lshlrev_b32_e32 v1, 10, v1
	v_add_nc_u32_e32 v2, s3, v1
	s_delay_alu instid0(VALU_DEP_1) | instskip(SKIP_1) | instid1(VALU_DEP_2)
	v_min_u32_e32 v4, s2, v2
	v_min_u32_e32 v2, s2, v1
	v_add_nc_u32_e32 v3, s3, v4
	s_delay_alu instid0(VALU_DEP_1) | instskip(SKIP_2) | instid1(VALU_DEP_2)
	v_min_u32_e32 v1, s2, v3
	v_lshlrev_b32_e32 v3, 10, v5
	s_mov_b32 s2, exec_lo
	v_sub_nc_u32_e32 v5, v1, v2
	v_sub_nc_u32_e32 v6, v1, v4
	s_delay_alu instid0(VALU_DEP_2) | instskip(SKIP_1) | instid1(VALU_DEP_2)
	v_min_u32_e32 v1, v5, v3
	v_sub_nc_u32_e32 v3, v4, v2
	v_sub_nc_u32_e64 v6, v1, v6 clamp
	s_delay_alu instid0(VALU_DEP_2) | instskip(NEXT) | instid1(VALU_DEP_1)
	v_min_u32_e32 v7, v1, v3
	v_cmpx_lt_u32_e64 v6, v7
	s_cbranch_execz .LBB52_5
; %bb.2:
	s_load_b64 s[4:5], s[0:1], 0x0
	v_mov_b32_e32 v5, 0
	s_mov_b32 s3, 0
	s_delay_alu instid0(VALU_DEP_1) | instskip(SKIP_1) | instid1(VALU_DEP_2)
	v_mov_b32_e32 v3, v5
	v_lshlrev_b64 v[10:11], 1, v[4:5]
	v_lshlrev_b64 v[8:9], 1, v[2:3]
	s_waitcnt lgkmcnt(0)
	s_delay_alu instid0(VALU_DEP_1) | instskip(NEXT) | instid1(VALU_DEP_2)
	v_add_co_u32 v3, vcc_lo, s4, v8
	v_add_co_ci_u32_e32 v8, vcc_lo, s5, v9, vcc_lo
	s_delay_alu instid0(VALU_DEP_4)
	v_add_co_u32 v9, vcc_lo, s4, v10
	v_add_co_ci_u32_e32 v10, vcc_lo, s5, v11, vcc_lo
	.p2align	6
.LBB52_3:                               ; =>This Inner Loop Header: Depth=1
	v_add_nc_u32_e32 v4, v7, v6
	s_delay_alu instid0(VALU_DEP_1) | instskip(SKIP_1) | instid1(VALU_DEP_2)
	v_lshrrev_b32_e32 v15, 1, v4
	v_and_b32_e32 v11, -2, v4
	v_xad_u32 v4, v15, -1, v1
	s_delay_alu instid0(VALU_DEP_2) | instskip(SKIP_1) | instid1(VALU_DEP_3)
	v_add_co_u32 v11, vcc_lo, v3, v11
	v_add_co_ci_u32_e32 v12, vcc_lo, 0, v8, vcc_lo
	v_lshlrev_b64 v[13:14], 1, v[4:5]
	s_delay_alu instid0(VALU_DEP_1) | instskip(NEXT) | instid1(VALU_DEP_2)
	v_add_co_u32 v13, vcc_lo, v9, v13
	v_add_co_ci_u32_e32 v14, vcc_lo, v10, v14, vcc_lo
	s_clause 0x1
	global_load_u16 v4, v[11:12], off
	global_load_u16 v11, v[13:14], off
	v_add_nc_u32_e32 v12, 1, v15
	s_waitcnt vmcnt(0)
	v_cmp_gt_i16_e32 vcc_lo, v11, v4
	s_delay_alu instid0(VALU_DEP_2) | instskip(NEXT) | instid1(VALU_DEP_1)
	v_dual_cndmask_b32 v6, v12, v6 :: v_dual_cndmask_b32 v7, v7, v15
	v_cmp_ge_u32_e32 vcc_lo, v6, v7
	s_or_b32 s3, vcc_lo, s3
	s_delay_alu instid0(SALU_CYCLE_1)
	s_and_not1_b32 exec_lo, exec_lo, s3
	s_cbranch_execnz .LBB52_3
; %bb.4:
	s_or_b32 exec_lo, exec_lo, s3
.LBB52_5:
	s_delay_alu instid0(SALU_CYCLE_1) | instskip(SKIP_2) | instid1(VALU_DEP_1)
	s_or_b32 exec_lo, exec_lo, s2
	s_load_b64 s[0:1], s[0:1], 0x10
	v_dual_mov_b32 v1, 0 :: v_dual_add_nc_u32 v2, v6, v2
	v_lshlrev_b64 v[0:1], 2, v[0:1]
	s_waitcnt lgkmcnt(0)
	s_delay_alu instid0(VALU_DEP_1) | instskip(NEXT) | instid1(VALU_DEP_2)
	v_add_co_u32 v0, vcc_lo, s0, v0
	v_add_co_ci_u32_e32 v1, vcc_lo, s1, v1, vcc_lo
	global_store_b32 v[0:1], v2, off
.LBB52_6:
	s_nop 0
	s_sendmsg sendmsg(MSG_DEALLOC_VGPRS)
	s_endpgm
	.section	.rodata,"a",@progbits
	.p2align	6, 0x0
	.amdhsa_kernel _ZN7rocprim17ROCPRIM_304000_NS6detail45device_block_merge_mergepath_partition_kernelINS1_37wrapped_merge_sort_block_merge_configINS0_14default_configEsN2at4cuda3cub6detail10OpaqueTypeILi8EEEEEPsjNS1_19radix_merge_compareILb1ELb0EsNS0_19identity_decomposerEEEEEvT0_T1_jPSH_T2_SH_
		.amdhsa_group_segment_fixed_size 0
		.amdhsa_private_segment_fixed_size 0
		.amdhsa_kernarg_size 32
		.amdhsa_user_sgpr_count 15
		.amdhsa_user_sgpr_dispatch_ptr 0
		.amdhsa_user_sgpr_queue_ptr 0
		.amdhsa_user_sgpr_kernarg_segment_ptr 1
		.amdhsa_user_sgpr_dispatch_id 0
		.amdhsa_user_sgpr_private_segment_size 0
		.amdhsa_wavefront_size32 1
		.amdhsa_uses_dynamic_stack 0
		.amdhsa_enable_private_segment 0
		.amdhsa_system_sgpr_workgroup_id_x 1
		.amdhsa_system_sgpr_workgroup_id_y 0
		.amdhsa_system_sgpr_workgroup_id_z 0
		.amdhsa_system_sgpr_workgroup_info 0
		.amdhsa_system_vgpr_workitem_id 0
		.amdhsa_next_free_vgpr 16
		.amdhsa_next_free_sgpr 16
		.amdhsa_reserve_vcc 1
		.amdhsa_float_round_mode_32 0
		.amdhsa_float_round_mode_16_64 0
		.amdhsa_float_denorm_mode_32 3
		.amdhsa_float_denorm_mode_16_64 3
		.amdhsa_dx10_clamp 1
		.amdhsa_ieee_mode 1
		.amdhsa_fp16_overflow 0
		.amdhsa_workgroup_processor_mode 1
		.amdhsa_memory_ordered 1
		.amdhsa_forward_progress 0
		.amdhsa_shared_vgpr_count 0
		.amdhsa_exception_fp_ieee_invalid_op 0
		.amdhsa_exception_fp_denorm_src 0
		.amdhsa_exception_fp_ieee_div_zero 0
		.amdhsa_exception_fp_ieee_overflow 0
		.amdhsa_exception_fp_ieee_underflow 0
		.amdhsa_exception_fp_ieee_inexact 0
		.amdhsa_exception_int_div_zero 0
	.end_amdhsa_kernel
	.section	.text._ZN7rocprim17ROCPRIM_304000_NS6detail45device_block_merge_mergepath_partition_kernelINS1_37wrapped_merge_sort_block_merge_configINS0_14default_configEsN2at4cuda3cub6detail10OpaqueTypeILi8EEEEEPsjNS1_19radix_merge_compareILb1ELb0EsNS0_19identity_decomposerEEEEEvT0_T1_jPSH_T2_SH_,"axG",@progbits,_ZN7rocprim17ROCPRIM_304000_NS6detail45device_block_merge_mergepath_partition_kernelINS1_37wrapped_merge_sort_block_merge_configINS0_14default_configEsN2at4cuda3cub6detail10OpaqueTypeILi8EEEEEPsjNS1_19radix_merge_compareILb1ELb0EsNS0_19identity_decomposerEEEEEvT0_T1_jPSH_T2_SH_,comdat
.Lfunc_end52:
	.size	_ZN7rocprim17ROCPRIM_304000_NS6detail45device_block_merge_mergepath_partition_kernelINS1_37wrapped_merge_sort_block_merge_configINS0_14default_configEsN2at4cuda3cub6detail10OpaqueTypeILi8EEEEEPsjNS1_19radix_merge_compareILb1ELb0EsNS0_19identity_decomposerEEEEEvT0_T1_jPSH_T2_SH_, .Lfunc_end52-_ZN7rocprim17ROCPRIM_304000_NS6detail45device_block_merge_mergepath_partition_kernelINS1_37wrapped_merge_sort_block_merge_configINS0_14default_configEsN2at4cuda3cub6detail10OpaqueTypeILi8EEEEEPsjNS1_19radix_merge_compareILb1ELb0EsNS0_19identity_decomposerEEEEEvT0_T1_jPSH_T2_SH_
                                        ; -- End function
	.section	.AMDGPU.csdata,"",@progbits
; Kernel info:
; codeLenInByte = 452
; NumSgprs: 18
; NumVgprs: 16
; ScratchSize: 0
; MemoryBound: 0
; FloatMode: 240
; IeeeMode: 1
; LDSByteSize: 0 bytes/workgroup (compile time only)
; SGPRBlocks: 2
; VGPRBlocks: 1
; NumSGPRsForWavesPerEU: 18
; NumVGPRsForWavesPerEU: 16
; Occupancy: 16
; WaveLimiterHint : 0
; COMPUTE_PGM_RSRC2:SCRATCH_EN: 0
; COMPUTE_PGM_RSRC2:USER_SGPR: 15
; COMPUTE_PGM_RSRC2:TRAP_HANDLER: 0
; COMPUTE_PGM_RSRC2:TGID_X_EN: 1
; COMPUTE_PGM_RSRC2:TGID_Y_EN: 0
; COMPUTE_PGM_RSRC2:TGID_Z_EN: 0
; COMPUTE_PGM_RSRC2:TIDIG_COMP_CNT: 0
	.section	.text._ZN7rocprim17ROCPRIM_304000_NS6detail35device_block_merge_mergepath_kernelINS1_37wrapped_merge_sort_block_merge_configINS0_14default_configEsN2at4cuda3cub6detail10OpaqueTypeILi8EEEEEPsSC_PSA_SD_jNS1_19radix_merge_compareILb1ELb0EsNS0_19identity_decomposerEEEEEvT0_T1_T2_T3_T4_SL_jT5_PKSL_NS1_7vsmem_tE,"axG",@progbits,_ZN7rocprim17ROCPRIM_304000_NS6detail35device_block_merge_mergepath_kernelINS1_37wrapped_merge_sort_block_merge_configINS0_14default_configEsN2at4cuda3cub6detail10OpaqueTypeILi8EEEEEPsSC_PSA_SD_jNS1_19radix_merge_compareILb1ELb0EsNS0_19identity_decomposerEEEEEvT0_T1_T2_T3_T4_SL_jT5_PKSL_NS1_7vsmem_tE,comdat
	.protected	_ZN7rocprim17ROCPRIM_304000_NS6detail35device_block_merge_mergepath_kernelINS1_37wrapped_merge_sort_block_merge_configINS0_14default_configEsN2at4cuda3cub6detail10OpaqueTypeILi8EEEEEPsSC_PSA_SD_jNS1_19radix_merge_compareILb1ELb0EsNS0_19identity_decomposerEEEEEvT0_T1_T2_T3_T4_SL_jT5_PKSL_NS1_7vsmem_tE ; -- Begin function _ZN7rocprim17ROCPRIM_304000_NS6detail35device_block_merge_mergepath_kernelINS1_37wrapped_merge_sort_block_merge_configINS0_14default_configEsN2at4cuda3cub6detail10OpaqueTypeILi8EEEEEPsSC_PSA_SD_jNS1_19radix_merge_compareILb1ELb0EsNS0_19identity_decomposerEEEEEvT0_T1_T2_T3_T4_SL_jT5_PKSL_NS1_7vsmem_tE
	.globl	_ZN7rocprim17ROCPRIM_304000_NS6detail35device_block_merge_mergepath_kernelINS1_37wrapped_merge_sort_block_merge_configINS0_14default_configEsN2at4cuda3cub6detail10OpaqueTypeILi8EEEEEPsSC_PSA_SD_jNS1_19radix_merge_compareILb1ELb0EsNS0_19identity_decomposerEEEEEvT0_T1_T2_T3_T4_SL_jT5_PKSL_NS1_7vsmem_tE
	.p2align	8
	.type	_ZN7rocprim17ROCPRIM_304000_NS6detail35device_block_merge_mergepath_kernelINS1_37wrapped_merge_sort_block_merge_configINS0_14default_configEsN2at4cuda3cub6detail10OpaqueTypeILi8EEEEEPsSC_PSA_SD_jNS1_19radix_merge_compareILb1ELb0EsNS0_19identity_decomposerEEEEEvT0_T1_T2_T3_T4_SL_jT5_PKSL_NS1_7vsmem_tE,@function
_ZN7rocprim17ROCPRIM_304000_NS6detail35device_block_merge_mergepath_kernelINS1_37wrapped_merge_sort_block_merge_configINS0_14default_configEsN2at4cuda3cub6detail10OpaqueTypeILi8EEEEEPsSC_PSA_SD_jNS1_19radix_merge_compareILb1ELb0EsNS0_19identity_decomposerEEEEEvT0_T1_T2_T3_T4_SL_jT5_PKSL_NS1_7vsmem_tE: ; @_ZN7rocprim17ROCPRIM_304000_NS6detail35device_block_merge_mergepath_kernelINS1_37wrapped_merge_sort_block_merge_configINS0_14default_configEsN2at4cuda3cub6detail10OpaqueTypeILi8EEEEEPsSC_PSA_SD_jNS1_19radix_merge_compareILb1ELb0EsNS0_19identity_decomposerEEEEEvT0_T1_T2_T3_T4_SL_jT5_PKSL_NS1_7vsmem_tE
; %bb.0:
	s_clause 0x1
	s_load_b64 s[22:23], s[0:1], 0x40
	s_load_b128 s[16:19], s[0:1], 0x20
	s_add_u32 s20, s0, 64
	s_addc_u32 s21, s1, 0
	s_waitcnt lgkmcnt(0)
	s_mul_i32 s2, s23, s15
	s_delay_alu instid0(SALU_CYCLE_1) | instskip(NEXT) | instid1(SALU_CYCLE_1)
	s_add_i32 s2, s2, s14
	s_mul_i32 s2, s2, s22
	s_delay_alu instid0(SALU_CYCLE_1) | instskip(NEXT) | instid1(SALU_CYCLE_1)
	s_add_i32 s2, s2, s13
	s_cmp_ge_u32 s2, s18
	s_cbranch_scc1 .LBB53_53
; %bb.1:
	s_load_b64 s[4:5], s[0:1], 0x30
	s_lshr_b32 s27, s16, 10
	s_mov_b32 s15, 0
	s_cmp_lg_u32 s2, s27
	s_mov_b32 s3, s15
	s_cselect_b32 s23, -1, 0
	s_lshl_b64 s[6:7], s[2:3], 2
	v_mov_b32_e32 v4, 0
	s_mov_b32 s19, s15
	v_lshlrev_b32_e32 v5, 1, v0
	s_waitcnt lgkmcnt(0)
	s_add_u32 s4, s4, s6
	s_addc_u32 s5, s5, s7
	s_lshl_b32 s12, s2, 10
	s_load_b64 s[24:25], s[4:5], 0x0
	s_load_b256 s[4:11], s[0:1], 0x0
	global_load_b32 v1, v4, s[20:21] offset:14
	s_lshr_b32 s0, s17, 9
	s_delay_alu instid0(SALU_CYCLE_1) | instskip(NEXT) | instid1(SALU_CYCLE_1)
	s_and_b32 s0, s0, 0x7ffffe
	s_sub_i32 s0, 0, s0
	s_delay_alu instid0(SALU_CYCLE_1)
	s_and_b32 s1, s2, s0
	s_or_b32 s0, s2, s0
	s_lshl_b32 s3, s1, 11
	s_lshl_b32 s1, s1, 10
	s_add_i32 s3, s3, s17
	s_sub_i32 s14, s12, s1
	s_sub_i32 s1, s3, s1
	s_add_i32 s3, s3, s14
	s_min_u32 s26, s16, s1
	s_add_i32 s1, s1, s17
	s_waitcnt lgkmcnt(0)
	s_sub_i32 s14, s3, s24
	s_sub_i32 s3, s3, s25
	s_min_u32 s18, s16, s14
	s_addk_i32 s3, 0x400
	s_cmp_eq_u32 s0, -1
	s_mov_b32 s14, s24
	s_cselect_b32 s3, s1, s3
	s_cselect_b32 s17, s26, s25
	s_min_u32 s3, s3, s16
	s_lshl_b64 s[0:1], s[14:15], 1
	s_sub_i32 s17, s17, s24
	s_sub_i32 s24, s3, s18
	s_add_u32 s25, s4, s0
	s_addc_u32 s26, s5, s1
	s_lshl_b64 s[28:29], s[18:19], 1
	v_cmp_gt_u32_e32 vcc_lo, s17, v0
	s_add_u32 s1, s4, s28
	s_addc_u32 s4, s5, s29
	s_cmp_lt_u32 s13, s22
	s_cselect_b32 s0, 12, 18
	s_delay_alu instid0(SALU_CYCLE_1)
	s_add_u32 s20, s20, s0
	s_addc_u32 s21, s21, 0
	s_cmp_eq_u32 s2, s27
	s_mov_b32 s0, -1
	s_waitcnt vmcnt(0)
	v_lshrrev_b32_e32 v3, 16, v1
	v_and_b32_e32 v1, 0xffff, v1
	global_load_u16 v2, v4, s[20:21]
	v_mul_lo_u32 v1, v1, v3
	s_waitcnt vmcnt(0)
	s_delay_alu instid0(VALU_DEP_1) | instskip(NEXT) | instid1(VALU_DEP_1)
	v_mul_lo_u32 v1, v1, v2
	v_add_nc_u32_e32 v1, v1, v0
	s_cbranch_scc1 .LBB53_3
; %bb.2:
	v_subrev_nc_u32_e32 v3, s17, v0
	v_add_co_u32 v6, s0, s25, v5
	s_delay_alu instid0(VALU_DEP_1) | instskip(NEXT) | instid1(VALU_DEP_3)
	v_add_co_ci_u32_e64 v7, null, s26, 0, s0
	v_lshlrev_b64 v[2:3], 1, v[3:4]
	s_add_i32 s3, s24, s17
	s_delay_alu instid0(VALU_DEP_1) | instskip(NEXT) | instid1(VALU_DEP_1)
	v_add_co_u32 v2, s0, s1, v2
	v_add_co_ci_u32_e64 v3, s0, s4, v3, s0
	s_mov_b32 s0, s15
	s_delay_alu instid0(VALU_DEP_1) | instskip(SKIP_3) | instid1(VALU_DEP_2)
	v_dual_cndmask_b32 v2, v2, v6 :: v_dual_cndmask_b32 v3, v3, v7
	global_load_u16 v6, v[2:3], off
	v_mov_b32_e32 v2, v4
	v_subrev_nc_u32_e32 v3, s17, v1
	v_lshlrev_b64 v[7:8], 1, v[1:2]
	s_delay_alu instid0(VALU_DEP_2) | instskip(NEXT) | instid1(VALU_DEP_2)
	v_lshlrev_b64 v[2:3], 1, v[3:4]
	v_add_co_u32 v4, vcc_lo, s25, v7
	s_delay_alu instid0(VALU_DEP_3) | instskip(NEXT) | instid1(VALU_DEP_3)
	v_add_co_ci_u32_e32 v7, vcc_lo, s26, v8, vcc_lo
	v_add_co_u32 v2, vcc_lo, s1, v2
	s_delay_alu instid0(VALU_DEP_4) | instskip(SKIP_1) | instid1(VALU_DEP_2)
	v_add_co_ci_u32_e32 v3, vcc_lo, s4, v3, vcc_lo
	v_cmp_gt_u32_e32 vcc_lo, s17, v1
	v_dual_cndmask_b32 v3, v3, v7 :: v_dual_cndmask_b32 v2, v2, v4
	global_load_d16_hi_b16 v6, v[2:3], off
	s_and_not1_b32 vcc_lo, exec_lo, s0
	s_cbranch_vccz .LBB53_4
	s_branch .LBB53_9
.LBB53_3:
                                        ; implicit-def: $vgpr6
                                        ; implicit-def: $sgpr3
	s_and_not1_b32 vcc_lo, exec_lo, s0
	s_cbranch_vccnz .LBB53_9
.LBB53_4:
	s_add_i32 s3, s24, s17
	s_mov_b32 s0, exec_lo
                                        ; implicit-def: $vgpr6
	v_cmpx_gt_u32_e64 s3, v0
	s_cbranch_execz .LBB53_6
; %bb.5:
	v_subrev_nc_u32_e32 v2, s17, v0
	v_add_co_u32 v4, s2, s25, v5
	v_mov_b32_e32 v3, 0
	s_waitcnt vmcnt(0)
	v_add_co_ci_u32_e64 v6, null, s26, 0, s2
	s_delay_alu instid0(VALU_DEP_2) | instskip(NEXT) | instid1(VALU_DEP_1)
	v_lshlrev_b64 v[2:3], 1, v[2:3]
	v_add_co_u32 v2, vcc_lo, s1, v2
	s_delay_alu instid0(VALU_DEP_2) | instskip(SKIP_1) | instid1(VALU_DEP_2)
	v_add_co_ci_u32_e32 v3, vcc_lo, s4, v3, vcc_lo
	v_cmp_gt_u32_e32 vcc_lo, s17, v0
	v_dual_cndmask_b32 v2, v2, v4 :: v_dual_cndmask_b32 v3, v3, v6
	global_load_d16_b16 v6, v[2:3], off
.LBB53_6:
	s_or_b32 exec_lo, exec_lo, s0
	s_delay_alu instid0(SALU_CYCLE_1)
	s_mov_b32 s2, exec_lo
	v_cmpx_gt_u32_e64 s3, v1
	s_cbranch_execz .LBB53_8
; %bb.7:
	v_mov_b32_e32 v2, 0
	s_delay_alu instid0(VALU_DEP_1) | instskip(NEXT) | instid1(VALU_DEP_1)
	v_lshlrev_b64 v[3:4], 1, v[1:2]
	v_add_co_u32 v3, vcc_lo, s25, v3
	s_delay_alu instid0(VALU_DEP_2) | instskip(SKIP_2) | instid1(VALU_DEP_1)
	v_add_co_ci_u32_e32 v4, vcc_lo, s26, v4, vcc_lo
	v_cmp_gt_u32_e32 vcc_lo, s17, v1
	v_subrev_nc_u32_e32 v1, s17, v1
	v_lshlrev_b64 v[1:2], 1, v[1:2]
	s_delay_alu instid0(VALU_DEP_1) | instskip(NEXT) | instid1(VALU_DEP_1)
	v_add_co_u32 v1, s0, s1, v1
	v_add_co_ci_u32_e64 v2, s0, s4, v2, s0
	s_delay_alu instid0(VALU_DEP_1)
	v_dual_cndmask_b32 v1, v1, v3 :: v_dual_cndmask_b32 v2, v2, v4
	global_load_d16_hi_b16 v6, v[1:2], off
.LBB53_8:
	s_or_b32 exec_lo, exec_lo, s2
.LBB53_9:
	v_min_u32_e32 v2, s3, v5
	s_mov_b32 s0, exec_lo
	s_waitcnt vmcnt(0)
	ds_store_b16 v5, v6
	ds_store_b16_d16_hi v5, v6 offset:1024
	s_waitcnt lgkmcnt(0)
	s_barrier
	v_sub_nc_u32_e64 v1, v2, s24 clamp
	v_min_u32_e32 v3, s17, v2
	buffer_gl0_inv
	v_cmpx_lt_u32_e64 v1, v3
	s_cbranch_execz .LBB53_13
; %bb.10:
	v_lshlrev_b32_e32 v4, 1, v2
	s_mov_b32 s1, 0
	s_delay_alu instid0(VALU_DEP_1)
	v_lshl_add_u32 v4, s17, 1, v4
	.p2align	6
.LBB53_11:                              ; =>This Inner Loop Header: Depth=1
	v_add_nc_u32_e32 v7, v3, v1
	s_delay_alu instid0(VALU_DEP_1) | instskip(SKIP_1) | instid1(VALU_DEP_2)
	v_lshrrev_b32_e32 v8, 1, v7
	v_and_b32_e32 v7, -2, v7
	v_not_b32_e32 v9, v8
	v_add_nc_u32_e32 v10, 1, v8
	s_delay_alu instid0(VALU_DEP_2)
	v_lshl_add_u32 v9, v9, 1, v4
	ds_load_u16 v7, v7
	ds_load_u16 v9, v9
	s_waitcnt lgkmcnt(0)
	v_cmp_gt_i16_e32 vcc_lo, v9, v7
	v_cndmask_b32_e32 v3, v3, v8, vcc_lo
	v_cndmask_b32_e32 v1, v10, v1, vcc_lo
	s_delay_alu instid0(VALU_DEP_1) | instskip(SKIP_1) | instid1(SALU_CYCLE_1)
	v_cmp_ge_u32_e32 vcc_lo, v1, v3
	s_or_b32 s1, vcc_lo, s1
	s_and_not1_b32 exec_lo, exec_lo, s1
	s_cbranch_execnz .LBB53_11
; %bb.12:
	s_or_b32 exec_lo, exec_lo, s1
.LBB53_13:
	s_delay_alu instid0(SALU_CYCLE_1) | instskip(SKIP_2) | instid1(VALU_DEP_2)
	s_or_b32 exec_lo, exec_lo, s0
	v_sub_nc_u32_e32 v2, v2, v1
	v_cmp_ge_u32_e32 vcc_lo, s17, v1
                                        ; implicit-def: $vgpr8
                                        ; implicit-def: $vgpr9
	v_add_nc_u32_e32 v2, s17, v2
	s_delay_alu instid0(VALU_DEP_1) | instskip(NEXT) | instid1(VALU_DEP_1)
	v_cmp_ge_u32_e64 s0, s3, v2
	s_or_b32 s0, vcc_lo, s0
	s_delay_alu instid0(SALU_CYCLE_1)
	s_and_saveexec_b32 s4, s0
	s_cbranch_execz .LBB53_19
; %bb.14:
	v_cmp_gt_u32_e32 vcc_lo, s17, v1
                                        ; implicit-def: $vgpr3
	s_and_saveexec_b32 s0, vcc_lo
	s_cbranch_execz .LBB53_16
; %bb.15:
	v_lshlrev_b32_e32 v3, 1, v1
	ds_load_u16 v3, v3
.LBB53_16:
	s_or_b32 exec_lo, exec_lo, s0
	v_cmp_le_u32_e64 s0, s3, v2
	s_mov_b32 s2, exec_lo
                                        ; implicit-def: $vgpr4
	v_cmpx_gt_u32_e64 s3, v2
	s_cbranch_execz .LBB53_18
; %bb.17:
	v_lshlrev_b32_e32 v4, 1, v2
	ds_load_u16 v4, v4
.LBB53_18:
	s_or_b32 exec_lo, exec_lo, s2
	s_waitcnt lgkmcnt(0)
	v_cmp_le_i16_e64 s1, v4, v3
	s_delay_alu instid0(VALU_DEP_1) | instskip(NEXT) | instid1(SALU_CYCLE_1)
	s_and_b32 s1, vcc_lo, s1
	s_or_b32 vcc_lo, s0, s1
	v_dual_mov_b32 v6, s17 :: v_dual_cndmask_b32 v9, v2, v1
	s_delay_alu instid0(VALU_DEP_1) | instskip(NEXT) | instid1(VALU_DEP_1)
	v_dual_cndmask_b32 v6, s3, v6 :: v_dual_add_nc_u32 v7, 1, v9
	v_dual_cndmask_b32 v1, v1, v7 :: v_dual_add_nc_u32 v6, -1, v6
	v_cndmask_b32_e32 v2, v7, v2, vcc_lo
	s_delay_alu instid0(VALU_DEP_2) | instskip(NEXT) | instid1(VALU_DEP_3)
	v_min_u32_e32 v6, v7, v6
	v_cmp_gt_u32_e64 s0, s17, v1
	s_delay_alu instid0(VALU_DEP_3) | instskip(NEXT) | instid1(VALU_DEP_3)
	v_cmp_le_u32_e64 s2, s3, v2
	v_lshlrev_b32_e32 v6, 1, v6
	ds_load_u16 v6, v6
	s_waitcnt lgkmcnt(0)
	v_cndmask_b32_e32 v10, v6, v4, vcc_lo
	v_dual_cndmask_b32 v6, v3, v6 :: v_dual_cndmask_b32 v3, v4, v3
	s_delay_alu instid0(VALU_DEP_1) | instskip(NEXT) | instid1(VALU_DEP_1)
	v_cmp_le_i16_e64 s1, v10, v6
	s_and_b32 s0, s0, s1
	s_delay_alu instid0(SALU_CYCLE_1) | instskip(SKIP_2) | instid1(VALU_DEP_1)
	s_or_b32 vcc_lo, s2, s0
	v_cndmask_b32_e32 v8, v2, v1, vcc_lo
	v_cndmask_b32_e32 v1, v10, v6, vcc_lo
	v_perm_b32 v6, v1, v3, 0x5040100
.LBB53_19:
	s_or_b32 exec_lo, exec_lo, s4
	s_lshl_b64 s[0:1], s[14:15], 3
	v_or_b32_e32 v7, 0x200, v0
	s_add_u32 s2, s8, s0
	s_addc_u32 s4, s9, s1
	s_lshl_b64 s[14:15], s[18:19], 3
	v_cmp_gt_u32_e64 s1, s17, v0
	v_cmp_le_u32_e64 s0, s17, v0
	s_add_u32 s8, s8, s14
	s_mov_b32 s5, 0
	s_addc_u32 s9, s9, s15
	s_and_not1_b32 vcc_lo, exec_lo, s23
	s_barrier
	buffer_gl0_inv
	s_cbranch_vccnz .LBB53_21
; %bb.20:
	v_subrev_nc_u32_e32 v1, s17, v0
	v_mov_b32_e32 v2, 0
	v_lshlrev_b32_e32 v12, 3, v0
	s_delay_alu instid0(VALU_DEP_2) | instskip(NEXT) | instid1(VALU_DEP_2)
	v_lshlrev_b64 v[3:4], 3, v[1:2]
	v_add_co_u32 v13, s5, s2, v12
	s_delay_alu instid0(VALU_DEP_1) | instskip(SKIP_1) | instid1(VALU_DEP_3)
	v_add_co_ci_u32_e64 v14, null, s4, 0, s5
	s_mov_b32 s5, -1
	v_add_co_u32 v1, vcc_lo, s8, v3
	s_delay_alu instid0(VALU_DEP_4) | instskip(NEXT) | instid1(VALU_DEP_1)
	v_add_co_ci_u32_e32 v3, vcc_lo, s9, v4, vcc_lo
	v_cndmask_b32_e64 v4, v3, v14, s1
	s_delay_alu instid0(VALU_DEP_3)
	v_cndmask_b32_e64 v3, v1, v13, s1
	v_subrev_nc_u32_e32 v1, s17, v7
	global_load_b64 v[10:11], v[3:4], off
	v_lshlrev_b64 v[1:2], 3, v[1:2]
	v_add_co_u32 v3, vcc_lo, 0x1000, v13
	v_add_co_ci_u32_e32 v4, vcc_lo, 0, v14, vcc_lo
	s_delay_alu instid0(VALU_DEP_3) | instskip(NEXT) | instid1(VALU_DEP_4)
	v_add_co_u32 v1, vcc_lo, s8, v1
	v_add_co_ci_u32_e32 v2, vcc_lo, s9, v2, vcc_lo
	v_cmp_gt_u32_e32 vcc_lo, s17, v7
	s_delay_alu instid0(VALU_DEP_2)
	v_dual_cndmask_b32 v1, v1, v3 :: v_dual_cndmask_b32 v2, v2, v4
	v_or_b32_e32 v4, 0x1000, v12
	s_waitcnt vmcnt(0)
	ds_store_b64 v12, v[10:11]
	s_cbranch_execz .LBB53_22
	s_branch .LBB53_33
.LBB53_21:
                                        ; implicit-def: $vgpr4
                                        ; implicit-def: $vgpr1_vgpr2
.LBB53_22:
	s_mov_b32 s1, 0
                                        ; implicit-def: $vgpr1_vgpr2
	s_and_saveexec_b32 s13, s0
	s_delay_alu instid0(SALU_CYCLE_1)
	s_xor_b32 s0, exec_lo, s13
	s_cbranch_execnz .LBB53_54
; %bb.23:
	s_and_not1_saveexec_b32 s0, s0
	s_cbranch_execnz .LBB53_57
.LBB53_24:
	s_or_b32 exec_lo, exec_lo, s0
	s_and_saveexec_b32 s0, s1
	s_cbranch_execz .LBB53_26
.LBB53_25:
	global_load_b64 v[1:2], v[1:2], off
	v_mad_u32_u24 v3, v0, 6, v5
	s_waitcnt vmcnt(0)
	ds_store_b64 v3, v[1:2]
.LBB53_26:
	s_or_b32 exec_lo, exec_lo, s0
	s_delay_alu instid0(SALU_CYCLE_1)
	s_mov_b32 s0, exec_lo
                                        ; implicit-def: $vgpr4
                                        ; implicit-def: $vgpr1_vgpr2
	v_cmpx_le_u32_e64 s17, v7
	s_xor_b32 s0, exec_lo, s0
	s_cbranch_execz .LBB53_30
; %bb.27:
	v_subrev_nc_u32_e32 v3, s17, v7
	s_mov_b32 s13, s5
	s_mov_b32 s1, exec_lo
                                        ; implicit-def: $vgpr4
                                        ; implicit-def: $vgpr1_vgpr2
	s_delay_alu instid0(VALU_DEP_1)
	v_cmpx_gt_u32_e64 s24, v3
; %bb.28:
	v_mov_b32_e32 v4, 0
	v_mul_u32_u24_e32 v10, 6, v0
	s_or_b32 s13, s5, exec_lo
	s_delay_alu instid0(VALU_DEP_2) | instskip(NEXT) | instid1(VALU_DEP_2)
	v_lshlrev_b64 v[1:2], 3, v[3:4]
	v_add3_u32 v4, v5, v10, 0x1000
	s_delay_alu instid0(VALU_DEP_2) | instskip(NEXT) | instid1(VALU_DEP_3)
	v_add_co_u32 v1, vcc_lo, s8, v1
	v_add_co_ci_u32_e32 v2, vcc_lo, s9, v2, vcc_lo
; %bb.29:
	s_or_b32 exec_lo, exec_lo, s1
	s_delay_alu instid0(SALU_CYCLE_1) | instskip(SKIP_1) | instid1(SALU_CYCLE_1)
	s_and_not1_b32 s1, s5, exec_lo
	s_and_b32 s5, s13, exec_lo
	s_or_b32 s5, s1, s5
.LBB53_30:
	s_and_not1_saveexec_b32 s0, s0
; %bb.31:
	v_lshlrev_b32_e32 v1, 3, v7
	v_mul_u32_u24_e32 v3, 6, v0
	s_or_b32 s5, s5, exec_lo
	s_delay_alu instid0(VALU_DEP_2) | instskip(NEXT) | instid1(VALU_DEP_1)
	v_add_co_u32 v1, s1, s2, v1
	v_add_co_ci_u32_e64 v2, null, s4, 0, s1
	s_delay_alu instid0(VALU_DEP_3)
	v_add3_u32 v4, v5, v3, 0x1000
; %bb.32:
	s_or_b32 exec_lo, exec_lo, s0
.LBB53_33:
	s_and_saveexec_b32 s0, s5
	s_cbranch_execz .LBB53_35
; %bb.34:
	global_load_b64 v[1:2], v[1:2], off
	s_waitcnt vmcnt(0)
	ds_store_b64 v4, v[1:2]
.LBB53_35:
	s_or_b32 exec_lo, exec_lo, s0
	v_add_nc_u32_e32 v1, s12, v5
	s_and_not1_b32 vcc_lo, exec_lo, s23
	s_waitcnt lgkmcnt(0)
	s_barrier
	buffer_gl0_inv
	s_cbranch_vccnz .LBB53_37
; %bb.36:
	v_lshlrev_b32_e32 v2, 3, v9
	s_mov_b32 s0, -1
	ds_load_b64 v[3:4], v2
	v_mov_b32_e32 v2, 0
	s_delay_alu instid0(VALU_DEP_1) | instskip(NEXT) | instid1(VALU_DEP_1)
	v_lshlrev_b64 v[10:11], 3, v[1:2]
	v_add_co_u32 v10, vcc_lo, s10, v10
	s_delay_alu instid0(VALU_DEP_2)
	v_add_co_ci_u32_e32 v11, vcc_lo, s11, v11, vcc_lo
	s_waitcnt lgkmcnt(0)
	global_store_b64 v[10:11], v[3:4], off
	s_cbranch_execz .LBB53_38
	s_branch .LBB53_43
.LBB53_37:
	s_mov_b32 s0, 0
.LBB53_38:
	s_mov_b32 s1, exec_lo
	v_cmpx_gt_u32_e64 s3, v5
	s_cbranch_execz .LBB53_40
; %bb.39:
	v_lshlrev_b32_e32 v2, 3, v9
	ds_load_b64 v[3:4], v2
	v_mov_b32_e32 v2, 0
	s_delay_alu instid0(VALU_DEP_1) | instskip(NEXT) | instid1(VALU_DEP_1)
	v_lshlrev_b64 v[9:10], 3, v[1:2]
	v_add_co_u32 v9, vcc_lo, s10, v9
	s_delay_alu instid0(VALU_DEP_2)
	v_add_co_ci_u32_e32 v10, vcc_lo, s11, v10, vcc_lo
	s_waitcnt lgkmcnt(0)
	global_store_b64 v[9:10], v[3:4], off
.LBB53_40:
	s_or_b32 exec_lo, exec_lo, s1
	v_or_b32_e32 v2, 1, v5
	s_mov_b32 s1, exec_lo
	s_delay_alu instid0(VALU_DEP_1)
	v_cmpx_gt_u32_e64 s3, v2
; %bb.41:
	v_mov_b32_e32 v2, 0
	s_or_b32 s0, s0, exec_lo
; %bb.42:
	s_or_b32 exec_lo, exec_lo, s1
.LBB53_43:
	s_and_saveexec_b32 s1, s0
	s_cbranch_execz .LBB53_45
; %bb.44:
	v_lshlrev_b32_e32 v3, 3, v8
	v_lshlrev_b64 v[1:2], 3, v[1:2]
	ds_load_b64 v[3:4], v3
	v_add_co_u32 v1, vcc_lo, s10, v1
	v_add_co_ci_u32_e32 v2, vcc_lo, s11, v2, vcc_lo
	s_waitcnt lgkmcnt(0)
	global_store_b64 v[1:2], v[3:4], off offset:8
.LBB53_45:
	s_or_b32 exec_lo, exec_lo, s1
	v_lshrrev_b32_e32 v1, 3, v0
	v_lshrrev_b32_e32 v2, 4, v0
	;; [unrolled: 1-line block ×3, first 2 shown]
	s_mov_b32 s13, 0
	s_waitcnt_vscnt null, 0x0
	v_and_b32_e32 v1, 60, v1
	s_lshl_b64 s[0:1], s[12:13], 1
	v_and_b32_e32 v2, 28, v2
	v_and_b32_e32 v4, 60, v3
	s_add_u32 s0, s6, s0
	v_lshl_add_u32 v1, v5, 1, v1
	s_barrier
	buffer_gl0_inv
	s_barrier
	buffer_gl0_inv
	s_addc_u32 s1, s7, s1
	ds_store_b32 v1, v6
	v_add_co_u32 v1, s0, s0, v5
	v_add_nc_u32_e32 v3, v5, v2
	v_add_nc_u32_e32 v6, v5, v4
	v_add_co_ci_u32_e64 v2, null, s1, 0, s0
	s_and_b32 vcc_lo, exec_lo, s23
	s_waitcnt lgkmcnt(0)
	s_cbranch_vccz .LBB53_47
; %bb.46:
	s_barrier
	buffer_gl0_inv
	ds_load_u16 v5, v3
	ds_load_u16 v4, v6 offset:1024
	s_mov_b32 s13, -1
	s_waitcnt lgkmcnt(1)
	global_store_b16 v[1:2], v5, off
	s_cbranch_execz .LBB53_48
	s_branch .LBB53_51
.LBB53_47:
                                        ; implicit-def: $vgpr4
.LBB53_48:
	s_waitcnt lgkmcnt(0)
	s_waitcnt_vscnt null, 0x0
	s_barrier
	buffer_gl0_inv
	ds_load_u16 v4, v6 offset:1024
	s_sub_i32 s0, s16, s12
	s_mov_b32 s1, exec_lo
	v_cmpx_gt_u32_e64 s0, v0
	s_cbranch_execz .LBB53_50
; %bb.49:
	ds_load_u16 v0, v3
	s_waitcnt lgkmcnt(0)
	global_store_b16 v[1:2], v0, off
.LBB53_50:
	s_or_b32 exec_lo, exec_lo, s1
	v_cmp_gt_u32_e64 s13, s0, v7
.LBB53_51:
	s_delay_alu instid0(VALU_DEP_1)
	s_and_saveexec_b32 s0, s13
	s_cbranch_execz .LBB53_53
; %bb.52:
	s_waitcnt lgkmcnt(0)
	global_store_b16 v[1:2], v4, off offset:1024
.LBB53_53:
	s_nop 0
	s_sendmsg sendmsg(MSG_DEALLOC_VGPRS)
	s_endpgm
.LBB53_54:
	v_subrev_nc_u32_e32 v3, s17, v0
	s_mov_b32 s13, exec_lo
                                        ; implicit-def: $vgpr1_vgpr2
	s_delay_alu instid0(VALU_DEP_1)
	v_cmpx_gt_u32_e64 s24, v3
	s_xor_b32 s13, exec_lo, s13
; %bb.55:
	v_mov_b32_e32 v4, 0
	s_mov_b32 s1, exec_lo
	s_delay_alu instid0(VALU_DEP_1) | instskip(NEXT) | instid1(VALU_DEP_1)
	v_lshlrev_b64 v[1:2], 3, v[3:4]
	v_add_co_u32 v1, vcc_lo, s8, v1
	s_delay_alu instid0(VALU_DEP_2)
	v_add_co_ci_u32_e32 v2, vcc_lo, s9, v2, vcc_lo
; %bb.56:
	s_or_b32 exec_lo, exec_lo, s13
	s_delay_alu instid0(SALU_CYCLE_1)
	s_and_b32 s1, s1, exec_lo
	s_and_not1_saveexec_b32 s0, s0
	s_cbranch_execz .LBB53_24
.LBB53_57:
	v_lshlrev_b32_e32 v1, 3, v0
	s_or_b32 s1, s1, exec_lo
	s_delay_alu instid0(VALU_DEP_1) | instskip(NEXT) | instid1(VALU_DEP_1)
	v_add_co_u32 v1, s13, s2, v1
	v_add_co_ci_u32_e64 v2, null, s4, 0, s13
	s_or_b32 exec_lo, exec_lo, s0
	s_and_saveexec_b32 s0, s1
	s_cbranch_execnz .LBB53_25
	s_branch .LBB53_26
	.section	.rodata,"a",@progbits
	.p2align	6, 0x0
	.amdhsa_kernel _ZN7rocprim17ROCPRIM_304000_NS6detail35device_block_merge_mergepath_kernelINS1_37wrapped_merge_sort_block_merge_configINS0_14default_configEsN2at4cuda3cub6detail10OpaqueTypeILi8EEEEEPsSC_PSA_SD_jNS1_19radix_merge_compareILb1ELb0EsNS0_19identity_decomposerEEEEEvT0_T1_T2_T3_T4_SL_jT5_PKSL_NS1_7vsmem_tE
		.amdhsa_group_segment_fixed_size 8208
		.amdhsa_private_segment_fixed_size 0
		.amdhsa_kernarg_size 320
		.amdhsa_user_sgpr_count 13
		.amdhsa_user_sgpr_dispatch_ptr 0
		.amdhsa_user_sgpr_queue_ptr 0
		.amdhsa_user_sgpr_kernarg_segment_ptr 1
		.amdhsa_user_sgpr_dispatch_id 0
		.amdhsa_user_sgpr_private_segment_size 0
		.amdhsa_wavefront_size32 1
		.amdhsa_uses_dynamic_stack 0
		.amdhsa_enable_private_segment 0
		.amdhsa_system_sgpr_workgroup_id_x 1
		.amdhsa_system_sgpr_workgroup_id_y 1
		.amdhsa_system_sgpr_workgroup_id_z 1
		.amdhsa_system_sgpr_workgroup_info 0
		.amdhsa_system_vgpr_workitem_id 0
		.amdhsa_next_free_vgpr 15
		.amdhsa_next_free_sgpr 30
		.amdhsa_reserve_vcc 1
		.amdhsa_float_round_mode_32 0
		.amdhsa_float_round_mode_16_64 0
		.amdhsa_float_denorm_mode_32 3
		.amdhsa_float_denorm_mode_16_64 3
		.amdhsa_dx10_clamp 1
		.amdhsa_ieee_mode 1
		.amdhsa_fp16_overflow 0
		.amdhsa_workgroup_processor_mode 1
		.amdhsa_memory_ordered 1
		.amdhsa_forward_progress 0
		.amdhsa_shared_vgpr_count 0
		.amdhsa_exception_fp_ieee_invalid_op 0
		.amdhsa_exception_fp_denorm_src 0
		.amdhsa_exception_fp_ieee_div_zero 0
		.amdhsa_exception_fp_ieee_overflow 0
		.amdhsa_exception_fp_ieee_underflow 0
		.amdhsa_exception_fp_ieee_inexact 0
		.amdhsa_exception_int_div_zero 0
	.end_amdhsa_kernel
	.section	.text._ZN7rocprim17ROCPRIM_304000_NS6detail35device_block_merge_mergepath_kernelINS1_37wrapped_merge_sort_block_merge_configINS0_14default_configEsN2at4cuda3cub6detail10OpaqueTypeILi8EEEEEPsSC_PSA_SD_jNS1_19radix_merge_compareILb1ELb0EsNS0_19identity_decomposerEEEEEvT0_T1_T2_T3_T4_SL_jT5_PKSL_NS1_7vsmem_tE,"axG",@progbits,_ZN7rocprim17ROCPRIM_304000_NS6detail35device_block_merge_mergepath_kernelINS1_37wrapped_merge_sort_block_merge_configINS0_14default_configEsN2at4cuda3cub6detail10OpaqueTypeILi8EEEEEPsSC_PSA_SD_jNS1_19radix_merge_compareILb1ELb0EsNS0_19identity_decomposerEEEEEvT0_T1_T2_T3_T4_SL_jT5_PKSL_NS1_7vsmem_tE,comdat
.Lfunc_end53:
	.size	_ZN7rocprim17ROCPRIM_304000_NS6detail35device_block_merge_mergepath_kernelINS1_37wrapped_merge_sort_block_merge_configINS0_14default_configEsN2at4cuda3cub6detail10OpaqueTypeILi8EEEEEPsSC_PSA_SD_jNS1_19radix_merge_compareILb1ELb0EsNS0_19identity_decomposerEEEEEvT0_T1_T2_T3_T4_SL_jT5_PKSL_NS1_7vsmem_tE, .Lfunc_end53-_ZN7rocprim17ROCPRIM_304000_NS6detail35device_block_merge_mergepath_kernelINS1_37wrapped_merge_sort_block_merge_configINS0_14default_configEsN2at4cuda3cub6detail10OpaqueTypeILi8EEEEEPsSC_PSA_SD_jNS1_19radix_merge_compareILb1ELb0EsNS0_19identity_decomposerEEEEEvT0_T1_T2_T3_T4_SL_jT5_PKSL_NS1_7vsmem_tE
                                        ; -- End function
	.section	.AMDGPU.csdata,"",@progbits
; Kernel info:
; codeLenInByte = 2428
; NumSgprs: 32
; NumVgprs: 15
; ScratchSize: 0
; MemoryBound: 1
; FloatMode: 240
; IeeeMode: 1
; LDSByteSize: 8208 bytes/workgroup (compile time only)
; SGPRBlocks: 3
; VGPRBlocks: 1
; NumSGPRsForWavesPerEU: 32
; NumVGPRsForWavesPerEU: 15
; Occupancy: 16
; WaveLimiterHint : 1
; COMPUTE_PGM_RSRC2:SCRATCH_EN: 0
; COMPUTE_PGM_RSRC2:USER_SGPR: 13
; COMPUTE_PGM_RSRC2:TRAP_HANDLER: 0
; COMPUTE_PGM_RSRC2:TGID_X_EN: 1
; COMPUTE_PGM_RSRC2:TGID_Y_EN: 1
; COMPUTE_PGM_RSRC2:TGID_Z_EN: 1
; COMPUTE_PGM_RSRC2:TIDIG_COMP_CNT: 0
	.section	.text._ZN7rocprim17ROCPRIM_304000_NS6detail33device_block_merge_oddeven_kernelINS1_37wrapped_merge_sort_block_merge_configINS0_14default_configEsN2at4cuda3cub6detail10OpaqueTypeILi8EEEEEPsSC_PSA_SD_jNS1_19radix_merge_compareILb1ELb0EsNS0_19identity_decomposerEEEEEvT0_T1_T2_T3_T4_SL_T5_,"axG",@progbits,_ZN7rocprim17ROCPRIM_304000_NS6detail33device_block_merge_oddeven_kernelINS1_37wrapped_merge_sort_block_merge_configINS0_14default_configEsN2at4cuda3cub6detail10OpaqueTypeILi8EEEEEPsSC_PSA_SD_jNS1_19radix_merge_compareILb1ELb0EsNS0_19identity_decomposerEEEEEvT0_T1_T2_T3_T4_SL_T5_,comdat
	.protected	_ZN7rocprim17ROCPRIM_304000_NS6detail33device_block_merge_oddeven_kernelINS1_37wrapped_merge_sort_block_merge_configINS0_14default_configEsN2at4cuda3cub6detail10OpaqueTypeILi8EEEEEPsSC_PSA_SD_jNS1_19radix_merge_compareILb1ELb0EsNS0_19identity_decomposerEEEEEvT0_T1_T2_T3_T4_SL_T5_ ; -- Begin function _ZN7rocprim17ROCPRIM_304000_NS6detail33device_block_merge_oddeven_kernelINS1_37wrapped_merge_sort_block_merge_configINS0_14default_configEsN2at4cuda3cub6detail10OpaqueTypeILi8EEEEEPsSC_PSA_SD_jNS1_19radix_merge_compareILb1ELb0EsNS0_19identity_decomposerEEEEEvT0_T1_T2_T3_T4_SL_T5_
	.globl	_ZN7rocprim17ROCPRIM_304000_NS6detail33device_block_merge_oddeven_kernelINS1_37wrapped_merge_sort_block_merge_configINS0_14default_configEsN2at4cuda3cub6detail10OpaqueTypeILi8EEEEEPsSC_PSA_SD_jNS1_19radix_merge_compareILb1ELb0EsNS0_19identity_decomposerEEEEEvT0_T1_T2_T3_T4_SL_T5_
	.p2align	8
	.type	_ZN7rocprim17ROCPRIM_304000_NS6detail33device_block_merge_oddeven_kernelINS1_37wrapped_merge_sort_block_merge_configINS0_14default_configEsN2at4cuda3cub6detail10OpaqueTypeILi8EEEEEPsSC_PSA_SD_jNS1_19radix_merge_compareILb1ELb0EsNS0_19identity_decomposerEEEEEvT0_T1_T2_T3_T4_SL_T5_,@function
_ZN7rocprim17ROCPRIM_304000_NS6detail33device_block_merge_oddeven_kernelINS1_37wrapped_merge_sort_block_merge_configINS0_14default_configEsN2at4cuda3cub6detail10OpaqueTypeILi8EEEEEPsSC_PSA_SD_jNS1_19radix_merge_compareILb1ELb0EsNS0_19identity_decomposerEEEEEvT0_T1_T2_T3_T4_SL_T5_: ; @_ZN7rocprim17ROCPRIM_304000_NS6detail33device_block_merge_oddeven_kernelINS1_37wrapped_merge_sort_block_merge_configINS0_14default_configEsN2at4cuda3cub6detail10OpaqueTypeILi8EEEEEPsSC_PSA_SD_jNS1_19radix_merge_compareILb1ELb0EsNS0_19identity_decomposerEEEEEvT0_T1_T2_T3_T4_SL_T5_
; %bb.0:
	s_load_b64 s[16:17], s[0:1], 0x20
	s_waitcnt lgkmcnt(0)
	s_lshr_b32 s2, s16, 8
	s_delay_alu instid0(SALU_CYCLE_1) | instskip(SKIP_4) | instid1(SALU_CYCLE_1)
	s_cmp_lg_u32 s15, s2
	s_cselect_b32 s4, -1, 0
	s_cmp_eq_u32 s15, s2
	s_cselect_b32 s3, -1, 0
	s_lshl_b32 s12, s15, 8
	s_sub_i32 s2, s16, s12
	s_delay_alu instid0(SALU_CYCLE_1) | instskip(NEXT) | instid1(VALU_DEP_1)
	v_cmp_gt_u32_e64 s2, s2, v0
	s_or_b32 s4, s4, s2
	s_delay_alu instid0(SALU_CYCLE_1)
	s_and_saveexec_b32 s5, s4
	s_cbranch_execz .LBB54_26
; %bb.1:
	s_load_b256 s[4:11], s[0:1], 0x0
	s_mov_b32 s13, 0
	v_lshlrev_b32_e32 v1, 3, v0
	s_lshl_b64 s[0:1], s[12:13], 1
	v_lshlrev_b32_e32 v3, 1, v0
	v_add_nc_u32_e32 v5, s12, v0
	s_waitcnt lgkmcnt(0)
	s_add_u32 s0, s4, s0
	s_addc_u32 s1, s5, s1
	s_lshl_b64 s[18:19], s[12:13], 3
	s_delay_alu instid0(SALU_CYCLE_1) | instskip(SKIP_4) | instid1(SALU_CYCLE_1)
	s_add_u32 s8, s8, s18
	s_addc_u32 s9, s9, s19
	global_load_b64 v[1:2], v1, s[8:9]
	global_load_u16 v7, v3, s[0:1]
	s_lshr_b32 s0, s17, 8
	s_sub_i32 s1, 0, s0
	s_delay_alu instid0(SALU_CYCLE_1) | instskip(NEXT) | instid1(SALU_CYCLE_1)
	s_and_b32 s1, s15, s1
	s_and_b32 s0, s1, s0
	s_lshl_b32 s9, s1, 8
	s_sub_i32 s1, 0, s17
	s_cmp_eq_u32 s0, 0
	s_cselect_b32 s0, -1, 0
	s_delay_alu instid0(SALU_CYCLE_1) | instskip(SKIP_1) | instid1(SALU_CYCLE_1)
	s_and_b32 s8, s0, exec_lo
	s_cselect_b32 s1, s17, s1
	s_add_i32 s1, s1, s9
	s_delay_alu instid0(SALU_CYCLE_1)
	s_cmp_lt_u32 s1, s16
	s_cbranch_scc1 .LBB54_6
; %bb.2:
	s_and_b32 vcc_lo, exec_lo, s3
	s_cbranch_vccz .LBB54_7
; %bb.3:
	s_mov_b32 s8, 0
	s_mov_b32 s12, exec_lo
                                        ; implicit-def: $vgpr3_vgpr4
	v_cmpx_gt_u32_e64 s16, v5
	s_cbranch_execz .LBB54_5
; %bb.4:
	v_mov_b32_e32 v6, 0
	s_mov_b32 s13, exec_lo
	s_delay_alu instid0(VALU_DEP_1) | instskip(SKIP_1) | instid1(VALU_DEP_2)
	v_lshlrev_b64 v[3:4], 1, v[5:6]
	v_lshlrev_b64 v[8:9], 3, v[5:6]
	v_add_co_u32 v10, vcc_lo, s6, v3
	s_delay_alu instid0(VALU_DEP_3) | instskip(NEXT) | instid1(VALU_DEP_3)
	v_add_co_ci_u32_e32 v11, vcc_lo, s7, v4, vcc_lo
	v_add_co_u32 v3, vcc_lo, s10, v8
	s_delay_alu instid0(VALU_DEP_4)
	v_add_co_ci_u32_e32 v4, vcc_lo, s11, v9, vcc_lo
	s_waitcnt vmcnt(0)
	global_store_b16 v[10:11], v7, off
.LBB54_5:
	s_or_b32 exec_lo, exec_lo, s12
	s_delay_alu instid0(SALU_CYCLE_1)
	s_and_b32 vcc_lo, exec_lo, s8
	s_cbranch_vccnz .LBB54_8
	s_branch .LBB54_9
.LBB54_6:
                                        ; implicit-def: $vgpr3_vgpr4
	s_cbranch_execnz .LBB54_10
	s_branch .LBB54_24
.LBB54_7:
                                        ; implicit-def: $vgpr3_vgpr4
	s_cbranch_execz .LBB54_9
.LBB54_8:
	v_mov_b32_e32 v6, 0
	s_or_b32 s13, s13, exec_lo
	s_delay_alu instid0(VALU_DEP_1) | instskip(SKIP_1) | instid1(VALU_DEP_2)
	v_lshlrev_b64 v[3:4], 1, v[5:6]
	v_lshlrev_b64 v[8:9], 3, v[5:6]
	v_add_co_u32 v10, vcc_lo, s6, v3
	s_delay_alu instid0(VALU_DEP_3) | instskip(NEXT) | instid1(VALU_DEP_3)
	v_add_co_ci_u32_e32 v11, vcc_lo, s7, v4, vcc_lo
	v_add_co_u32 v3, vcc_lo, s10, v8
	s_delay_alu instid0(VALU_DEP_4)
	v_add_co_ci_u32_e32 v4, vcc_lo, s11, v9, vcc_lo
	s_waitcnt vmcnt(0)
	global_store_b16 v[10:11], v7, off
.LBB54_9:
	s_branch .LBB54_24
.LBB54_10:
	s_min_u32 s8, s1, s16
	s_and_b32 vcc_lo, exec_lo, s3
	s_add_i32 s12, s9, s8
	s_min_u32 s9, s9, s8
	v_subrev_nc_u32_e32 v0, s12, v5
	s_add_i32 s12, s8, s17
	s_delay_alu instid0(SALU_CYCLE_1) | instskip(NEXT) | instid1(VALU_DEP_1)
	s_min_u32 s3, s12, s16
	v_add_nc_u32_e32 v0, s9, v0
	s_cbranch_vccz .LBB54_18
; %bb.11:
                                        ; implicit-def: $vgpr3_vgpr4
	s_and_saveexec_b32 s9, s2
	s_cbranch_execz .LBB54_17
; %bb.12:
	v_mov_b32_e32 v3, s8
	s_cmp_ge_u32 s1, s3
	s_cbranch_scc1 .LBB54_16
; %bb.13:
	v_dual_mov_b32 v4, s3 :: v_dual_mov_b32 v3, s8
	s_mov_b32 s2, 0
	.p2align	6
.LBB54_14:                              ; =>This Inner Loop Header: Depth=1
	s_delay_alu instid0(VALU_DEP_1) | instskip(NEXT) | instid1(VALU_DEP_1)
	v_add_nc_u32_e32 v5, v3, v4
	v_and_b32_e32 v6, -2, v5
	v_lshrrev_b32_e32 v5, 1, v5
	global_load_u16 v6, v6, s[4:5]
	s_waitcnt vmcnt(0)
	v_cmp_gt_i16_e32 vcc_lo, v6, v7
	v_cndmask_b32_e64 v8, 0, 1, vcc_lo
	v_cmp_le_i16_e32 vcc_lo, v7, v6
	v_cndmask_b32_e64 v6, 0, 1, vcc_lo
	s_delay_alu instid0(VALU_DEP_1) | instskip(SKIP_1) | instid1(VALU_DEP_2)
	v_cndmask_b32_e64 v6, v6, v8, s0
	v_add_nc_u32_e32 v8, 1, v5
	v_and_b32_e32 v6, 1, v6
	s_delay_alu instid0(VALU_DEP_1) | instskip(NEXT) | instid1(VALU_DEP_3)
	v_cmp_eq_u32_e32 vcc_lo, 1, v6
	v_cndmask_b32_e32 v3, v3, v8, vcc_lo
	v_cndmask_b32_e32 v4, v5, v4, vcc_lo
	s_delay_alu instid0(VALU_DEP_1) | instskip(SKIP_1) | instid1(SALU_CYCLE_1)
	v_cmp_ge_u32_e32 vcc_lo, v3, v4
	s_or_b32 s2, vcc_lo, s2
	s_and_not1_b32 exec_lo, exec_lo, s2
	s_cbranch_execnz .LBB54_14
; %bb.15:
	s_or_b32 exec_lo, exec_lo, s2
.LBB54_16:
	s_delay_alu instid0(VALU_DEP_1) | instskip(SKIP_1) | instid1(VALU_DEP_1)
	v_dual_mov_b32 v4, 0 :: v_dual_add_nc_u32 v3, v3, v0
	s_or_b32 s13, s13, exec_lo
	v_lshlrev_b64 v[5:6], 1, v[3:4]
	v_lshlrev_b64 v[3:4], 3, v[3:4]
	s_delay_alu instid0(VALU_DEP_2) | instskip(NEXT) | instid1(VALU_DEP_3)
	v_add_co_u32 v5, vcc_lo, s6, v5
	v_add_co_ci_u32_e32 v6, vcc_lo, s7, v6, vcc_lo
	s_delay_alu instid0(VALU_DEP_3) | instskip(NEXT) | instid1(VALU_DEP_4)
	v_add_co_u32 v3, vcc_lo, s10, v3
	v_add_co_ci_u32_e32 v4, vcc_lo, s11, v4, vcc_lo
	s_waitcnt vmcnt(0)
	global_store_b16 v[5:6], v7, off
.LBB54_17:
	s_or_b32 exec_lo, exec_lo, s9
	s_branch .LBB54_24
.LBB54_18:
                                        ; implicit-def: $vgpr3_vgpr4
	s_cbranch_execz .LBB54_24
; %bb.19:
	v_mov_b32_e32 v3, s8
	s_cmp_ge_u32 s1, s3
	s_cbranch_scc1 .LBB54_23
; %bb.20:
	v_dual_mov_b32 v4, s3 :: v_dual_mov_b32 v3, s8
	s_mov_b32 s1, 0
	.p2align	6
.LBB54_21:                              ; =>This Inner Loop Header: Depth=1
	s_delay_alu instid0(VALU_DEP_1) | instskip(NEXT) | instid1(VALU_DEP_1)
	v_add_nc_u32_e32 v5, v3, v4
	v_and_b32_e32 v6, -2, v5
	v_lshrrev_b32_e32 v5, 1, v5
	global_load_u16 v6, v6, s[4:5]
	s_waitcnt vmcnt(0)
	v_cmp_gt_i16_e32 vcc_lo, v6, v7
	v_cndmask_b32_e64 v8, 0, 1, vcc_lo
	v_cmp_le_i16_e32 vcc_lo, v7, v6
	v_cndmask_b32_e64 v6, 0, 1, vcc_lo
	s_delay_alu instid0(VALU_DEP_1) | instskip(SKIP_1) | instid1(VALU_DEP_2)
	v_cndmask_b32_e64 v6, v6, v8, s0
	v_add_nc_u32_e32 v8, 1, v5
	v_and_b32_e32 v6, 1, v6
	s_delay_alu instid0(VALU_DEP_1) | instskip(NEXT) | instid1(VALU_DEP_3)
	v_cmp_eq_u32_e32 vcc_lo, 1, v6
	v_cndmask_b32_e32 v3, v3, v8, vcc_lo
	v_cndmask_b32_e32 v4, v5, v4, vcc_lo
	s_delay_alu instid0(VALU_DEP_1) | instskip(SKIP_1) | instid1(SALU_CYCLE_1)
	v_cmp_ge_u32_e32 vcc_lo, v3, v4
	s_or_b32 s1, vcc_lo, s1
	s_and_not1_b32 exec_lo, exec_lo, s1
	s_cbranch_execnz .LBB54_21
; %bb.22:
	s_or_b32 exec_lo, exec_lo, s1
.LBB54_23:
	s_delay_alu instid0(VALU_DEP_1) | instskip(SKIP_1) | instid1(VALU_DEP_1)
	v_dual_mov_b32 v4, 0 :: v_dual_add_nc_u32 v3, v3, v0
	s_mov_b32 s13, -1
	v_lshlrev_b64 v[5:6], 1, v[3:4]
	v_lshlrev_b64 v[3:4], 3, v[3:4]
	s_delay_alu instid0(VALU_DEP_2) | instskip(NEXT) | instid1(VALU_DEP_3)
	v_add_co_u32 v5, vcc_lo, s6, v5
	v_add_co_ci_u32_e32 v6, vcc_lo, s7, v6, vcc_lo
	s_delay_alu instid0(VALU_DEP_3) | instskip(NEXT) | instid1(VALU_DEP_4)
	v_add_co_u32 v3, vcc_lo, s10, v3
	v_add_co_ci_u32_e32 v4, vcc_lo, s11, v4, vcc_lo
	s_waitcnt vmcnt(0)
	global_store_b16 v[5:6], v7, off
.LBB54_24:
	s_and_b32 exec_lo, exec_lo, s13
	s_cbranch_execz .LBB54_26
; %bb.25:
	s_waitcnt vmcnt(1)
	global_store_b64 v[3:4], v[1:2], off
.LBB54_26:
	s_nop 0
	s_sendmsg sendmsg(MSG_DEALLOC_VGPRS)
	s_endpgm
	.section	.rodata,"a",@progbits
	.p2align	6, 0x0
	.amdhsa_kernel _ZN7rocprim17ROCPRIM_304000_NS6detail33device_block_merge_oddeven_kernelINS1_37wrapped_merge_sort_block_merge_configINS0_14default_configEsN2at4cuda3cub6detail10OpaqueTypeILi8EEEEEPsSC_PSA_SD_jNS1_19radix_merge_compareILb1ELb0EsNS0_19identity_decomposerEEEEEvT0_T1_T2_T3_T4_SL_T5_
		.amdhsa_group_segment_fixed_size 0
		.amdhsa_private_segment_fixed_size 0
		.amdhsa_kernarg_size 44
		.amdhsa_user_sgpr_count 15
		.amdhsa_user_sgpr_dispatch_ptr 0
		.amdhsa_user_sgpr_queue_ptr 0
		.amdhsa_user_sgpr_kernarg_segment_ptr 1
		.amdhsa_user_sgpr_dispatch_id 0
		.amdhsa_user_sgpr_private_segment_size 0
		.amdhsa_wavefront_size32 1
		.amdhsa_uses_dynamic_stack 0
		.amdhsa_enable_private_segment 0
		.amdhsa_system_sgpr_workgroup_id_x 1
		.amdhsa_system_sgpr_workgroup_id_y 0
		.amdhsa_system_sgpr_workgroup_id_z 0
		.amdhsa_system_sgpr_workgroup_info 0
		.amdhsa_system_vgpr_workitem_id 0
		.amdhsa_next_free_vgpr 12
		.amdhsa_next_free_sgpr 20
		.amdhsa_reserve_vcc 1
		.amdhsa_float_round_mode_32 0
		.amdhsa_float_round_mode_16_64 0
		.amdhsa_float_denorm_mode_32 3
		.amdhsa_float_denorm_mode_16_64 3
		.amdhsa_dx10_clamp 1
		.amdhsa_ieee_mode 1
		.amdhsa_fp16_overflow 0
		.amdhsa_workgroup_processor_mode 1
		.amdhsa_memory_ordered 1
		.amdhsa_forward_progress 0
		.amdhsa_shared_vgpr_count 0
		.amdhsa_exception_fp_ieee_invalid_op 0
		.amdhsa_exception_fp_denorm_src 0
		.amdhsa_exception_fp_ieee_div_zero 0
		.amdhsa_exception_fp_ieee_overflow 0
		.amdhsa_exception_fp_ieee_underflow 0
		.amdhsa_exception_fp_ieee_inexact 0
		.amdhsa_exception_int_div_zero 0
	.end_amdhsa_kernel
	.section	.text._ZN7rocprim17ROCPRIM_304000_NS6detail33device_block_merge_oddeven_kernelINS1_37wrapped_merge_sort_block_merge_configINS0_14default_configEsN2at4cuda3cub6detail10OpaqueTypeILi8EEEEEPsSC_PSA_SD_jNS1_19radix_merge_compareILb1ELb0EsNS0_19identity_decomposerEEEEEvT0_T1_T2_T3_T4_SL_T5_,"axG",@progbits,_ZN7rocprim17ROCPRIM_304000_NS6detail33device_block_merge_oddeven_kernelINS1_37wrapped_merge_sort_block_merge_configINS0_14default_configEsN2at4cuda3cub6detail10OpaqueTypeILi8EEEEEPsSC_PSA_SD_jNS1_19radix_merge_compareILb1ELb0EsNS0_19identity_decomposerEEEEEvT0_T1_T2_T3_T4_SL_T5_,comdat
.Lfunc_end54:
	.size	_ZN7rocprim17ROCPRIM_304000_NS6detail33device_block_merge_oddeven_kernelINS1_37wrapped_merge_sort_block_merge_configINS0_14default_configEsN2at4cuda3cub6detail10OpaqueTypeILi8EEEEEPsSC_PSA_SD_jNS1_19radix_merge_compareILb1ELb0EsNS0_19identity_decomposerEEEEEvT0_T1_T2_T3_T4_SL_T5_, .Lfunc_end54-_ZN7rocprim17ROCPRIM_304000_NS6detail33device_block_merge_oddeven_kernelINS1_37wrapped_merge_sort_block_merge_configINS0_14default_configEsN2at4cuda3cub6detail10OpaqueTypeILi8EEEEEPsSC_PSA_SD_jNS1_19radix_merge_compareILb1ELb0EsNS0_19identity_decomposerEEEEEvT0_T1_T2_T3_T4_SL_T5_
                                        ; -- End function
	.section	.AMDGPU.csdata,"",@progbits
; Kernel info:
; codeLenInByte = 932
; NumSgprs: 22
; NumVgprs: 12
; ScratchSize: 0
; MemoryBound: 0
; FloatMode: 240
; IeeeMode: 1
; LDSByteSize: 0 bytes/workgroup (compile time only)
; SGPRBlocks: 2
; VGPRBlocks: 1
; NumSGPRsForWavesPerEU: 22
; NumVGPRsForWavesPerEU: 12
; Occupancy: 16
; WaveLimiterHint : 0
; COMPUTE_PGM_RSRC2:SCRATCH_EN: 0
; COMPUTE_PGM_RSRC2:USER_SGPR: 15
; COMPUTE_PGM_RSRC2:TRAP_HANDLER: 0
; COMPUTE_PGM_RSRC2:TGID_X_EN: 1
; COMPUTE_PGM_RSRC2:TGID_Y_EN: 0
; COMPUTE_PGM_RSRC2:TGID_Z_EN: 0
; COMPUTE_PGM_RSRC2:TIDIG_COMP_CNT: 0
	.section	.text._ZN7rocprim17ROCPRIM_304000_NS6detail16transform_kernelINS1_24wrapped_transform_configINS0_14default_configEsEEsPsS6_NS0_8identityIsEEEEvT1_mT2_T3_,"axG",@progbits,_ZN7rocprim17ROCPRIM_304000_NS6detail16transform_kernelINS1_24wrapped_transform_configINS0_14default_configEsEEsPsS6_NS0_8identityIsEEEEvT1_mT2_T3_,comdat
	.protected	_ZN7rocprim17ROCPRIM_304000_NS6detail16transform_kernelINS1_24wrapped_transform_configINS0_14default_configEsEEsPsS6_NS0_8identityIsEEEEvT1_mT2_T3_ ; -- Begin function _ZN7rocprim17ROCPRIM_304000_NS6detail16transform_kernelINS1_24wrapped_transform_configINS0_14default_configEsEEsPsS6_NS0_8identityIsEEEEvT1_mT2_T3_
	.globl	_ZN7rocprim17ROCPRIM_304000_NS6detail16transform_kernelINS1_24wrapped_transform_configINS0_14default_configEsEEsPsS6_NS0_8identityIsEEEEvT1_mT2_T3_
	.p2align	8
	.type	_ZN7rocprim17ROCPRIM_304000_NS6detail16transform_kernelINS1_24wrapped_transform_configINS0_14default_configEsEEsPsS6_NS0_8identityIsEEEEvT1_mT2_T3_,@function
_ZN7rocprim17ROCPRIM_304000_NS6detail16transform_kernelINS1_24wrapped_transform_configINS0_14default_configEsEEsPsS6_NS0_8identityIsEEEEvT1_mT2_T3_: ; @_ZN7rocprim17ROCPRIM_304000_NS6detail16transform_kernelINS1_24wrapped_transform_configINS0_14default_configEsEEsPsS6_NS0_8identityIsEEEEvT1_mT2_T3_
; %bb.0:
	s_clause 0x2
	s_load_b32 s10, s[0:1], 0x20
	s_load_b128 s[4:7], s[0:1], 0x0
	s_load_b64 s[2:3], s[0:1], 0x10
	s_mov_b32 s1, 0
	s_lshl_b32 s0, s15, 11
	v_lshlrev_b32_e32 v3, 1, v0
	s_lshl_b64 s[8:9], s[0:1], 1
	s_waitcnt lgkmcnt(0)
	s_add_i32 s10, s10, -1
	s_add_u32 s4, s4, s8
	s_addc_u32 s5, s5, s9
	v_add_co_u32 v1, s4, s4, v3
	s_delay_alu instid0(VALU_DEP_1)
	v_add_co_ci_u32_e64 v2, null, s5, 0, s4
	s_cmp_lg_u32 s15, s10
	s_mov_b32 s4, -1
	s_cbranch_scc0 .LBB55_2
; %bb.1:
	s_clause 0x1
	global_load_u16 v5, v[1:2], off
	global_load_u16 v4, v[1:2], off offset:2048
	s_add_u32 s10, s2, s8
	s_addc_u32 s11, s3, s9
	s_mov_b32 s1, -1
	s_waitcnt vmcnt(1)
	global_store_b16 v3, v5, s[10:11]
	s_cbranch_execz .LBB55_3
	s_branch .LBB55_10
.LBB55_2:
                                        ; implicit-def: $vgpr4
	s_and_not1_b32 vcc_lo, exec_lo, s4
	s_cbranch_vccnz .LBB55_10
.LBB55_3:
	s_sub_i32 s0, s6, s0
                                        ; implicit-def: $vgpr5
	s_delay_alu instid0(SALU_CYCLE_1)
	v_cmp_gt_u32_e32 vcc_lo, s0, v0
	s_and_saveexec_b32 s4, vcc_lo
	s_cbranch_execz .LBB55_5
; %bb.4:
	global_load_d16_b16 v5, v[1:2], off
.LBB55_5:
	s_or_b32 exec_lo, exec_lo, s4
	v_or_b32_e32 v0, 0x400, v0
	s_delay_alu instid0(VALU_DEP_1) | instskip(NEXT) | instid1(VALU_DEP_1)
	v_cmp_gt_u32_e64 s0, s0, v0
	s_and_saveexec_b32 s4, s0
	s_cbranch_execnz .LBB55_13
; %bb.6:
	s_or_b32 exec_lo, exec_lo, s4
	s_and_saveexec_b32 s4, vcc_lo
	s_cbranch_execnz .LBB55_14
.LBB55_7:
	s_or_b32 exec_lo, exec_lo, s4
                                        ; implicit-def: $vgpr4
	s_and_saveexec_b32 s4, s0
	s_cbranch_execz .LBB55_9
.LBB55_8:
	s_waitcnt vmcnt(0)
	v_lshrrev_b32_e32 v4, 16, v5
	s_or_b32 s1, s1, exec_lo
.LBB55_9:
	s_or_b32 exec_lo, exec_lo, s4
.LBB55_10:
	s_and_saveexec_b32 s0, s1
	s_cbranch_execnz .LBB55_12
; %bb.11:
	s_nop 0
	s_sendmsg sendmsg(MSG_DEALLOC_VGPRS)
	s_endpgm
.LBB55_12:
	s_add_u32 s0, s2, s8
	s_addc_u32 s1, s3, s9
	s_waitcnt vmcnt(0)
	global_store_b16 v3, v4, s[0:1] offset:2048
	s_nop 0
	s_sendmsg sendmsg(MSG_DEALLOC_VGPRS)
	s_endpgm
.LBB55_13:
	global_load_d16_hi_b16 v5, v[1:2], off offset:2048
	s_or_b32 exec_lo, exec_lo, s4
	s_and_saveexec_b32 s4, vcc_lo
	s_cbranch_execz .LBB55_7
.LBB55_14:
	s_add_u32 s6, s2, s8
	s_addc_u32 s7, s3, s9
	s_waitcnt vmcnt(0)
	global_store_b16 v3, v5, s[6:7]
	s_or_b32 exec_lo, exec_lo, s4
                                        ; implicit-def: $vgpr4
	s_and_saveexec_b32 s4, s0
	s_cbranch_execnz .LBB55_8
	s_branch .LBB55_9
	.section	.rodata,"a",@progbits
	.p2align	6, 0x0
	.amdhsa_kernel _ZN7rocprim17ROCPRIM_304000_NS6detail16transform_kernelINS1_24wrapped_transform_configINS0_14default_configEsEEsPsS6_NS0_8identityIsEEEEvT1_mT2_T3_
		.amdhsa_group_segment_fixed_size 0
		.amdhsa_private_segment_fixed_size 0
		.amdhsa_kernarg_size 288
		.amdhsa_user_sgpr_count 15
		.amdhsa_user_sgpr_dispatch_ptr 0
		.amdhsa_user_sgpr_queue_ptr 0
		.amdhsa_user_sgpr_kernarg_segment_ptr 1
		.amdhsa_user_sgpr_dispatch_id 0
		.amdhsa_user_sgpr_private_segment_size 0
		.amdhsa_wavefront_size32 1
		.amdhsa_uses_dynamic_stack 0
		.amdhsa_enable_private_segment 0
		.amdhsa_system_sgpr_workgroup_id_x 1
		.amdhsa_system_sgpr_workgroup_id_y 0
		.amdhsa_system_sgpr_workgroup_id_z 0
		.amdhsa_system_sgpr_workgroup_info 0
		.amdhsa_system_vgpr_workitem_id 0
		.amdhsa_next_free_vgpr 6
		.amdhsa_next_free_sgpr 16
		.amdhsa_reserve_vcc 1
		.amdhsa_float_round_mode_32 0
		.amdhsa_float_round_mode_16_64 0
		.amdhsa_float_denorm_mode_32 3
		.amdhsa_float_denorm_mode_16_64 3
		.amdhsa_dx10_clamp 1
		.amdhsa_ieee_mode 1
		.amdhsa_fp16_overflow 0
		.amdhsa_workgroup_processor_mode 1
		.amdhsa_memory_ordered 1
		.amdhsa_forward_progress 0
		.amdhsa_shared_vgpr_count 0
		.amdhsa_exception_fp_ieee_invalid_op 0
		.amdhsa_exception_fp_denorm_src 0
		.amdhsa_exception_fp_ieee_div_zero 0
		.amdhsa_exception_fp_ieee_overflow 0
		.amdhsa_exception_fp_ieee_underflow 0
		.amdhsa_exception_fp_ieee_inexact 0
		.amdhsa_exception_int_div_zero 0
	.end_amdhsa_kernel
	.section	.text._ZN7rocprim17ROCPRIM_304000_NS6detail16transform_kernelINS1_24wrapped_transform_configINS0_14default_configEsEEsPsS6_NS0_8identityIsEEEEvT1_mT2_T3_,"axG",@progbits,_ZN7rocprim17ROCPRIM_304000_NS6detail16transform_kernelINS1_24wrapped_transform_configINS0_14default_configEsEEsPsS6_NS0_8identityIsEEEEvT1_mT2_T3_,comdat
.Lfunc_end55:
	.size	_ZN7rocprim17ROCPRIM_304000_NS6detail16transform_kernelINS1_24wrapped_transform_configINS0_14default_configEsEEsPsS6_NS0_8identityIsEEEEvT1_mT2_T3_, .Lfunc_end55-_ZN7rocprim17ROCPRIM_304000_NS6detail16transform_kernelINS1_24wrapped_transform_configINS0_14default_configEsEEsPsS6_NS0_8identityIsEEEEvT1_mT2_T3_
                                        ; -- End function
	.section	.AMDGPU.csdata,"",@progbits
; Kernel info:
; codeLenInByte = 360
; NumSgprs: 18
; NumVgprs: 6
; ScratchSize: 0
; MemoryBound: 0
; FloatMode: 240
; IeeeMode: 1
; LDSByteSize: 0 bytes/workgroup (compile time only)
; SGPRBlocks: 2
; VGPRBlocks: 0
; NumSGPRsForWavesPerEU: 18
; NumVGPRsForWavesPerEU: 6
; Occupancy: 16
; WaveLimiterHint : 1
; COMPUTE_PGM_RSRC2:SCRATCH_EN: 0
; COMPUTE_PGM_RSRC2:USER_SGPR: 15
; COMPUTE_PGM_RSRC2:TRAP_HANDLER: 0
; COMPUTE_PGM_RSRC2:TGID_X_EN: 1
; COMPUTE_PGM_RSRC2:TGID_Y_EN: 0
; COMPUTE_PGM_RSRC2:TGID_Z_EN: 0
; COMPUTE_PGM_RSRC2:TIDIG_COMP_CNT: 0
	.section	.text._ZN7rocprim17ROCPRIM_304000_NS6detail45device_block_merge_mergepath_partition_kernelINS1_37wrapped_merge_sort_block_merge_configINS0_14default_configEsN2at4cuda3cub6detail10OpaqueTypeILi8EEEEEPsjNS1_19radix_merge_compareILb1ELb1EsNS0_19identity_decomposerEEEEEvT0_T1_jPSH_T2_SH_,"axG",@progbits,_ZN7rocprim17ROCPRIM_304000_NS6detail45device_block_merge_mergepath_partition_kernelINS1_37wrapped_merge_sort_block_merge_configINS0_14default_configEsN2at4cuda3cub6detail10OpaqueTypeILi8EEEEEPsjNS1_19radix_merge_compareILb1ELb1EsNS0_19identity_decomposerEEEEEvT0_T1_jPSH_T2_SH_,comdat
	.protected	_ZN7rocprim17ROCPRIM_304000_NS6detail45device_block_merge_mergepath_partition_kernelINS1_37wrapped_merge_sort_block_merge_configINS0_14default_configEsN2at4cuda3cub6detail10OpaqueTypeILi8EEEEEPsjNS1_19radix_merge_compareILb1ELb1EsNS0_19identity_decomposerEEEEEvT0_T1_jPSH_T2_SH_ ; -- Begin function _ZN7rocprim17ROCPRIM_304000_NS6detail45device_block_merge_mergepath_partition_kernelINS1_37wrapped_merge_sort_block_merge_configINS0_14default_configEsN2at4cuda3cub6detail10OpaqueTypeILi8EEEEEPsjNS1_19radix_merge_compareILb1ELb1EsNS0_19identity_decomposerEEEEEvT0_T1_jPSH_T2_SH_
	.globl	_ZN7rocprim17ROCPRIM_304000_NS6detail45device_block_merge_mergepath_partition_kernelINS1_37wrapped_merge_sort_block_merge_configINS0_14default_configEsN2at4cuda3cub6detail10OpaqueTypeILi8EEEEEPsjNS1_19radix_merge_compareILb1ELb1EsNS0_19identity_decomposerEEEEEvT0_T1_jPSH_T2_SH_
	.p2align	8
	.type	_ZN7rocprim17ROCPRIM_304000_NS6detail45device_block_merge_mergepath_partition_kernelINS1_37wrapped_merge_sort_block_merge_configINS0_14default_configEsN2at4cuda3cub6detail10OpaqueTypeILi8EEEEEPsjNS1_19radix_merge_compareILb1ELb1EsNS0_19identity_decomposerEEEEEvT0_T1_jPSH_T2_SH_,@function
_ZN7rocprim17ROCPRIM_304000_NS6detail45device_block_merge_mergepath_partition_kernelINS1_37wrapped_merge_sort_block_merge_configINS0_14default_configEsN2at4cuda3cub6detail10OpaqueTypeILi8EEEEEPsjNS1_19radix_merge_compareILb1ELb1EsNS0_19identity_decomposerEEEEEvT0_T1_jPSH_T2_SH_: ; @_ZN7rocprim17ROCPRIM_304000_NS6detail45device_block_merge_mergepath_partition_kernelINS1_37wrapped_merge_sort_block_merge_configINS0_14default_configEsN2at4cuda3cub6detail10OpaqueTypeILi8EEEEEPsjNS1_19radix_merge_compareILb1ELb1EsNS0_19identity_decomposerEEEEEvT0_T1_jPSH_T2_SH_
; %bb.0:
	s_load_b64 s[4:5], s[0:1], 0x8
	v_lshl_or_b32 v0, s15, 7, v0
	s_mov_b32 s2, exec_lo
	s_waitcnt lgkmcnt(0)
	s_delay_alu instid0(VALU_DEP_1)
	v_cmpx_gt_u32_e64 s5, v0
	s_cbranch_execz .LBB56_6
; %bb.1:
	s_load_b64 s[2:3], s[0:1], 0x18
	s_waitcnt lgkmcnt(0)
	s_lshr_b32 s5, s3, 9
	s_delay_alu instid0(SALU_CYCLE_1) | instskip(NEXT) | instid1(SALU_CYCLE_1)
	s_and_b32 s5, s5, 0x7ffffe
	s_sub_i32 s6, 0, s5
	s_add_i32 s5, s5, -1
	v_and_b32_e32 v1, s6, v0
	v_and_b32_e32 v5, s5, v0
	s_delay_alu instid0(VALU_DEP_2) | instskip(NEXT) | instid1(VALU_DEP_1)
	v_lshlrev_b32_e32 v1, 10, v1
	v_add_nc_u32_e32 v2, s3, v1
	s_delay_alu instid0(VALU_DEP_1) | instskip(SKIP_1) | instid1(VALU_DEP_2)
	v_min_u32_e32 v4, s4, v2
	v_min_u32_e32 v2, s4, v1
	v_add_nc_u32_e32 v3, s3, v4
	s_mov_b32 s3, exec_lo
	s_delay_alu instid0(VALU_DEP_1) | instskip(SKIP_1) | instid1(VALU_DEP_2)
	v_min_u32_e32 v1, s4, v3
	v_lshlrev_b32_e32 v3, 10, v5
	v_sub_nc_u32_e32 v5, v1, v2
	v_sub_nc_u32_e32 v6, v1, v4
	s_delay_alu instid0(VALU_DEP_2) | instskip(SKIP_1) | instid1(VALU_DEP_2)
	v_min_u32_e32 v1, v5, v3
	v_sub_nc_u32_e32 v3, v4, v2
	v_sub_nc_u32_e64 v6, v1, v6 clamp
	s_delay_alu instid0(VALU_DEP_2) | instskip(NEXT) | instid1(VALU_DEP_1)
	v_min_u32_e32 v7, v1, v3
	v_cmpx_lt_u32_e64 v6, v7
	s_cbranch_execz .LBB56_5
; %bb.2:
	s_load_b64 s[4:5], s[0:1], 0x0
	v_mov_b32_e32 v5, 0
	s_delay_alu instid0(VALU_DEP_1) | instskip(SKIP_1) | instid1(VALU_DEP_2)
	v_mov_b32_e32 v3, v5
	v_lshlrev_b64 v[10:11], 1, v[4:5]
	v_lshlrev_b64 v[8:9], 1, v[2:3]
	s_waitcnt lgkmcnt(0)
	s_delay_alu instid0(VALU_DEP_1) | instskip(NEXT) | instid1(VALU_DEP_2)
	v_add_co_u32 v3, vcc_lo, s4, v8
	v_add_co_ci_u32_e32 v8, vcc_lo, s5, v9, vcc_lo
	s_delay_alu instid0(VALU_DEP_4)
	v_add_co_u32 v9, vcc_lo, s4, v10
	v_add_co_ci_u32_e32 v10, vcc_lo, s5, v11, vcc_lo
	s_mov_b32 s4, 0
	.p2align	6
.LBB56_3:                               ; =>This Inner Loop Header: Depth=1
	v_add_nc_u32_e32 v4, v7, v6
	s_delay_alu instid0(VALU_DEP_1) | instskip(SKIP_1) | instid1(VALU_DEP_2)
	v_lshrrev_b32_e32 v15, 1, v4
	v_and_b32_e32 v11, -2, v4
	v_xad_u32 v4, v15, -1, v1
	s_delay_alu instid0(VALU_DEP_2) | instskip(SKIP_1) | instid1(VALU_DEP_3)
	v_add_co_u32 v11, vcc_lo, v3, v11
	v_add_co_ci_u32_e32 v12, vcc_lo, 0, v8, vcc_lo
	v_lshlrev_b64 v[13:14], 1, v[4:5]
	s_delay_alu instid0(VALU_DEP_1) | instskip(NEXT) | instid1(VALU_DEP_2)
	v_add_co_u32 v13, vcc_lo, v9, v13
	v_add_co_ci_u32_e32 v14, vcc_lo, v10, v14, vcc_lo
	s_clause 0x1
	global_load_u16 v4, v[11:12], off
	global_load_u16 v11, v[13:14], off
	v_add_nc_u32_e32 v12, 1, v15
	s_waitcnt vmcnt(1)
	v_and_b32_e32 v4, s2, v4
	s_waitcnt vmcnt(0)
	v_and_b32_e32 v11, s2, v11
	s_delay_alu instid0(VALU_DEP_1) | instskip(SKIP_1) | instid1(VALU_DEP_1)
	v_cmp_gt_i16_e32 vcc_lo, v11, v4
	v_dual_cndmask_b32 v7, v7, v15 :: v_dual_cndmask_b32 v6, v12, v6
	v_cmp_ge_u32_e32 vcc_lo, v6, v7
	s_or_b32 s4, vcc_lo, s4
	s_delay_alu instid0(SALU_CYCLE_1)
	s_and_not1_b32 exec_lo, exec_lo, s4
	s_cbranch_execnz .LBB56_3
; %bb.4:
	s_or_b32 exec_lo, exec_lo, s4
.LBB56_5:
	s_delay_alu instid0(SALU_CYCLE_1) | instskip(SKIP_2) | instid1(VALU_DEP_1)
	s_or_b32 exec_lo, exec_lo, s3
	s_load_b64 s[0:1], s[0:1], 0x10
	v_dual_mov_b32 v1, 0 :: v_dual_add_nc_u32 v2, v6, v2
	v_lshlrev_b64 v[0:1], 2, v[0:1]
	s_waitcnt lgkmcnt(0)
	s_delay_alu instid0(VALU_DEP_1) | instskip(NEXT) | instid1(VALU_DEP_2)
	v_add_co_u32 v0, vcc_lo, s0, v0
	v_add_co_ci_u32_e32 v1, vcc_lo, s1, v1, vcc_lo
	global_store_b32 v[0:1], v2, off
.LBB56_6:
	s_nop 0
	s_sendmsg sendmsg(MSG_DEALLOC_VGPRS)
	s_endpgm
	.section	.rodata,"a",@progbits
	.p2align	6, 0x0
	.amdhsa_kernel _ZN7rocprim17ROCPRIM_304000_NS6detail45device_block_merge_mergepath_partition_kernelINS1_37wrapped_merge_sort_block_merge_configINS0_14default_configEsN2at4cuda3cub6detail10OpaqueTypeILi8EEEEEPsjNS1_19radix_merge_compareILb1ELb1EsNS0_19identity_decomposerEEEEEvT0_T1_jPSH_T2_SH_
		.amdhsa_group_segment_fixed_size 0
		.amdhsa_private_segment_fixed_size 0
		.amdhsa_kernarg_size 32
		.amdhsa_user_sgpr_count 15
		.amdhsa_user_sgpr_dispatch_ptr 0
		.amdhsa_user_sgpr_queue_ptr 0
		.amdhsa_user_sgpr_kernarg_segment_ptr 1
		.amdhsa_user_sgpr_dispatch_id 0
		.amdhsa_user_sgpr_private_segment_size 0
		.amdhsa_wavefront_size32 1
		.amdhsa_uses_dynamic_stack 0
		.amdhsa_enable_private_segment 0
		.amdhsa_system_sgpr_workgroup_id_x 1
		.amdhsa_system_sgpr_workgroup_id_y 0
		.amdhsa_system_sgpr_workgroup_id_z 0
		.amdhsa_system_sgpr_workgroup_info 0
		.amdhsa_system_vgpr_workitem_id 0
		.amdhsa_next_free_vgpr 16
		.amdhsa_next_free_sgpr 16
		.amdhsa_reserve_vcc 1
		.amdhsa_float_round_mode_32 0
		.amdhsa_float_round_mode_16_64 0
		.amdhsa_float_denorm_mode_32 3
		.amdhsa_float_denorm_mode_16_64 3
		.amdhsa_dx10_clamp 1
		.amdhsa_ieee_mode 1
		.amdhsa_fp16_overflow 0
		.amdhsa_workgroup_processor_mode 1
		.amdhsa_memory_ordered 1
		.amdhsa_forward_progress 0
		.amdhsa_shared_vgpr_count 0
		.amdhsa_exception_fp_ieee_invalid_op 0
		.amdhsa_exception_fp_denorm_src 0
		.amdhsa_exception_fp_ieee_div_zero 0
		.amdhsa_exception_fp_ieee_overflow 0
		.amdhsa_exception_fp_ieee_underflow 0
		.amdhsa_exception_fp_ieee_inexact 0
		.amdhsa_exception_int_div_zero 0
	.end_amdhsa_kernel
	.section	.text._ZN7rocprim17ROCPRIM_304000_NS6detail45device_block_merge_mergepath_partition_kernelINS1_37wrapped_merge_sort_block_merge_configINS0_14default_configEsN2at4cuda3cub6detail10OpaqueTypeILi8EEEEEPsjNS1_19radix_merge_compareILb1ELb1EsNS0_19identity_decomposerEEEEEvT0_T1_jPSH_T2_SH_,"axG",@progbits,_ZN7rocprim17ROCPRIM_304000_NS6detail45device_block_merge_mergepath_partition_kernelINS1_37wrapped_merge_sort_block_merge_configINS0_14default_configEsN2at4cuda3cub6detail10OpaqueTypeILi8EEEEEPsjNS1_19radix_merge_compareILb1ELb1EsNS0_19identity_decomposerEEEEEvT0_T1_jPSH_T2_SH_,comdat
.Lfunc_end56:
	.size	_ZN7rocprim17ROCPRIM_304000_NS6detail45device_block_merge_mergepath_partition_kernelINS1_37wrapped_merge_sort_block_merge_configINS0_14default_configEsN2at4cuda3cub6detail10OpaqueTypeILi8EEEEEPsjNS1_19radix_merge_compareILb1ELb1EsNS0_19identity_decomposerEEEEEvT0_T1_jPSH_T2_SH_, .Lfunc_end56-_ZN7rocprim17ROCPRIM_304000_NS6detail45device_block_merge_mergepath_partition_kernelINS1_37wrapped_merge_sort_block_merge_configINS0_14default_configEsN2at4cuda3cub6detail10OpaqueTypeILi8EEEEEPsjNS1_19radix_merge_compareILb1ELb1EsNS0_19identity_decomposerEEEEEvT0_T1_jPSH_T2_SH_
                                        ; -- End function
	.section	.AMDGPU.csdata,"",@progbits
; Kernel info:
; codeLenInByte = 468
; NumSgprs: 18
; NumVgprs: 16
; ScratchSize: 0
; MemoryBound: 0
; FloatMode: 240
; IeeeMode: 1
; LDSByteSize: 0 bytes/workgroup (compile time only)
; SGPRBlocks: 2
; VGPRBlocks: 1
; NumSGPRsForWavesPerEU: 18
; NumVGPRsForWavesPerEU: 16
; Occupancy: 16
; WaveLimiterHint : 0
; COMPUTE_PGM_RSRC2:SCRATCH_EN: 0
; COMPUTE_PGM_RSRC2:USER_SGPR: 15
; COMPUTE_PGM_RSRC2:TRAP_HANDLER: 0
; COMPUTE_PGM_RSRC2:TGID_X_EN: 1
; COMPUTE_PGM_RSRC2:TGID_Y_EN: 0
; COMPUTE_PGM_RSRC2:TGID_Z_EN: 0
; COMPUTE_PGM_RSRC2:TIDIG_COMP_CNT: 0
	.section	.text._ZN7rocprim17ROCPRIM_304000_NS6detail35device_block_merge_mergepath_kernelINS1_37wrapped_merge_sort_block_merge_configINS0_14default_configEsN2at4cuda3cub6detail10OpaqueTypeILi8EEEEEPsSC_PSA_SD_jNS1_19radix_merge_compareILb1ELb1EsNS0_19identity_decomposerEEEEEvT0_T1_T2_T3_T4_SL_jT5_PKSL_NS1_7vsmem_tE,"axG",@progbits,_ZN7rocprim17ROCPRIM_304000_NS6detail35device_block_merge_mergepath_kernelINS1_37wrapped_merge_sort_block_merge_configINS0_14default_configEsN2at4cuda3cub6detail10OpaqueTypeILi8EEEEEPsSC_PSA_SD_jNS1_19radix_merge_compareILb1ELb1EsNS0_19identity_decomposerEEEEEvT0_T1_T2_T3_T4_SL_jT5_PKSL_NS1_7vsmem_tE,comdat
	.protected	_ZN7rocprim17ROCPRIM_304000_NS6detail35device_block_merge_mergepath_kernelINS1_37wrapped_merge_sort_block_merge_configINS0_14default_configEsN2at4cuda3cub6detail10OpaqueTypeILi8EEEEEPsSC_PSA_SD_jNS1_19radix_merge_compareILb1ELb1EsNS0_19identity_decomposerEEEEEvT0_T1_T2_T3_T4_SL_jT5_PKSL_NS1_7vsmem_tE ; -- Begin function _ZN7rocprim17ROCPRIM_304000_NS6detail35device_block_merge_mergepath_kernelINS1_37wrapped_merge_sort_block_merge_configINS0_14default_configEsN2at4cuda3cub6detail10OpaqueTypeILi8EEEEEPsSC_PSA_SD_jNS1_19radix_merge_compareILb1ELb1EsNS0_19identity_decomposerEEEEEvT0_T1_T2_T3_T4_SL_jT5_PKSL_NS1_7vsmem_tE
	.globl	_ZN7rocprim17ROCPRIM_304000_NS6detail35device_block_merge_mergepath_kernelINS1_37wrapped_merge_sort_block_merge_configINS0_14default_configEsN2at4cuda3cub6detail10OpaqueTypeILi8EEEEEPsSC_PSA_SD_jNS1_19radix_merge_compareILb1ELb1EsNS0_19identity_decomposerEEEEEvT0_T1_T2_T3_T4_SL_jT5_PKSL_NS1_7vsmem_tE
	.p2align	8
	.type	_ZN7rocprim17ROCPRIM_304000_NS6detail35device_block_merge_mergepath_kernelINS1_37wrapped_merge_sort_block_merge_configINS0_14default_configEsN2at4cuda3cub6detail10OpaqueTypeILi8EEEEEPsSC_PSA_SD_jNS1_19radix_merge_compareILb1ELb1EsNS0_19identity_decomposerEEEEEvT0_T1_T2_T3_T4_SL_jT5_PKSL_NS1_7vsmem_tE,@function
_ZN7rocprim17ROCPRIM_304000_NS6detail35device_block_merge_mergepath_kernelINS1_37wrapped_merge_sort_block_merge_configINS0_14default_configEsN2at4cuda3cub6detail10OpaqueTypeILi8EEEEEPsSC_PSA_SD_jNS1_19radix_merge_compareILb1ELb1EsNS0_19identity_decomposerEEEEEvT0_T1_T2_T3_T4_SL_jT5_PKSL_NS1_7vsmem_tE: ; @_ZN7rocprim17ROCPRIM_304000_NS6detail35device_block_merge_mergepath_kernelINS1_37wrapped_merge_sort_block_merge_configINS0_14default_configEsN2at4cuda3cub6detail10OpaqueTypeILi8EEEEEPsSC_PSA_SD_jNS1_19radix_merge_compareILb1ELb1EsNS0_19identity_decomposerEEEEEvT0_T1_T2_T3_T4_SL_jT5_PKSL_NS1_7vsmem_tE
; %bb.0:
	s_clause 0x1
	s_load_b64 s[24:25], s[0:1], 0x40
	s_load_b128 s[16:19], s[0:1], 0x20
	s_add_u32 s22, s0, 64
	s_addc_u32 s23, s1, 0
	s_waitcnt lgkmcnt(0)
	s_mul_i32 s2, s25, s15
	s_delay_alu instid0(SALU_CYCLE_1) | instskip(NEXT) | instid1(SALU_CYCLE_1)
	s_add_i32 s2, s2, s14
	s_mul_i32 s2, s2, s24
	s_delay_alu instid0(SALU_CYCLE_1) | instskip(NEXT) | instid1(SALU_CYCLE_1)
	s_add_i32 s2, s2, s13
	s_cmp_ge_u32 s2, s18
	s_cbranch_scc1 .LBB57_53
; %bb.1:
	s_load_b64 s[4:5], s[0:1], 0x30
	s_lshr_b32 s30, s16, 10
	s_mov_b32 s15, 0
	s_cmp_lg_u32 s2, s30
	s_mov_b32 s3, s15
	s_cselect_b32 s18, -1, 0
	s_lshl_b64 s[6:7], s[2:3], 2
	v_mov_b32_e32 v4, 0
	s_mov_b32 s21, s15
	v_lshlrev_b32_e32 v5, 1, v0
	s_waitcnt lgkmcnt(0)
	s_add_u32 s4, s4, s6
	s_addc_u32 s5, s5, s7
	s_lshl_b32 s12, s2, 10
	s_load_b64 s[26:27], s[4:5], 0x0
	s_load_b256 s[4:11], s[0:1], 0x0
	global_load_b32 v1, v4, s[22:23] offset:14
	s_lshr_b32 s0, s17, 9
	s_delay_alu instid0(SALU_CYCLE_1) | instskip(NEXT) | instid1(SALU_CYCLE_1)
	s_and_b32 s0, s0, 0x7ffffe
	s_sub_i32 s0, 0, s0
	s_delay_alu instid0(SALU_CYCLE_1)
	s_and_b32 s1, s2, s0
	s_or_b32 s0, s2, s0
	s_lshl_b32 s3, s1, 11
	s_lshl_b32 s1, s1, 10
	s_add_i32 s3, s3, s17
	s_sub_i32 s14, s12, s1
	s_sub_i32 s1, s3, s1
	s_add_i32 s3, s3, s14
	s_min_u32 s25, s16, s1
	s_add_i32 s1, s1, s17
	s_waitcnt lgkmcnt(0)
	s_sub_i32 s14, s3, s26
	s_sub_i32 s3, s3, s27
	s_min_u32 s20, s16, s14
	s_addk_i32 s3, 0x400
	s_cmp_eq_u32 s0, -1
	s_mov_b32 s14, s26
	s_cselect_b32 s3, s1, s3
	s_cselect_b32 s17, s25, s27
	s_min_u32 s3, s3, s16
	s_lshl_b64 s[0:1], s[14:15], 1
	s_sub_i32 s17, s17, s26
	s_sub_i32 s25, s3, s20
	s_add_u32 s26, s4, s0
	s_addc_u32 s27, s5, s1
	s_lshl_b64 s[28:29], s[20:21], 1
	v_cmp_gt_u32_e32 vcc_lo, s17, v0
	s_add_u32 s1, s4, s28
	s_addc_u32 s4, s5, s29
	s_cmp_lt_u32 s13, s24
	s_cselect_b32 s0, 12, 18
	s_delay_alu instid0(SALU_CYCLE_1)
	s_add_u32 s22, s22, s0
	s_addc_u32 s23, s23, 0
	s_cmp_eq_u32 s2, s30
	s_mov_b32 s0, -1
	s_waitcnt vmcnt(0)
	v_lshrrev_b32_e32 v3, 16, v1
	v_and_b32_e32 v1, 0xffff, v1
	global_load_u16 v2, v4, s[22:23]
	v_mul_lo_u32 v1, v1, v3
	s_waitcnt vmcnt(0)
	s_delay_alu instid0(VALU_DEP_1) | instskip(NEXT) | instid1(VALU_DEP_1)
	v_mul_lo_u32 v1, v1, v2
	v_add_nc_u32_e32 v1, v1, v0
	s_cbranch_scc1 .LBB57_3
; %bb.2:
	v_subrev_nc_u32_e32 v3, s17, v0
	v_add_co_u32 v6, s0, s26, v5
	s_delay_alu instid0(VALU_DEP_1) | instskip(NEXT) | instid1(VALU_DEP_3)
	v_add_co_ci_u32_e64 v7, null, s27, 0, s0
	v_lshlrev_b64 v[2:3], 1, v[3:4]
	s_add_i32 s3, s25, s17
	s_delay_alu instid0(VALU_DEP_1) | instskip(NEXT) | instid1(VALU_DEP_1)
	v_add_co_u32 v2, s0, s1, v2
	v_add_co_ci_u32_e64 v3, s0, s4, v3, s0
	s_mov_b32 s0, s15
	s_delay_alu instid0(VALU_DEP_1) | instskip(SKIP_3) | instid1(VALU_DEP_2)
	v_dual_cndmask_b32 v2, v2, v6 :: v_dual_cndmask_b32 v3, v3, v7
	global_load_u16 v6, v[2:3], off
	v_mov_b32_e32 v2, v4
	v_subrev_nc_u32_e32 v3, s17, v1
	v_lshlrev_b64 v[7:8], 1, v[1:2]
	s_delay_alu instid0(VALU_DEP_2) | instskip(NEXT) | instid1(VALU_DEP_2)
	v_lshlrev_b64 v[2:3], 1, v[3:4]
	v_add_co_u32 v4, vcc_lo, s26, v7
	s_delay_alu instid0(VALU_DEP_3) | instskip(NEXT) | instid1(VALU_DEP_3)
	v_add_co_ci_u32_e32 v7, vcc_lo, s27, v8, vcc_lo
	v_add_co_u32 v2, vcc_lo, s1, v2
	s_delay_alu instid0(VALU_DEP_4) | instskip(SKIP_1) | instid1(VALU_DEP_2)
	v_add_co_ci_u32_e32 v3, vcc_lo, s4, v3, vcc_lo
	v_cmp_gt_u32_e32 vcc_lo, s17, v1
	v_dual_cndmask_b32 v3, v3, v7 :: v_dual_cndmask_b32 v2, v2, v4
	global_load_d16_hi_b16 v6, v[2:3], off
	s_and_not1_b32 vcc_lo, exec_lo, s0
	s_cbranch_vccz .LBB57_4
	s_branch .LBB57_9
.LBB57_3:
                                        ; implicit-def: $vgpr6
                                        ; implicit-def: $sgpr3
	s_and_not1_b32 vcc_lo, exec_lo, s0
	s_cbranch_vccnz .LBB57_9
.LBB57_4:
	s_add_i32 s3, s25, s17
	s_mov_b32 s0, exec_lo
                                        ; implicit-def: $vgpr6
	v_cmpx_gt_u32_e64 s3, v0
	s_cbranch_execz .LBB57_6
; %bb.5:
	v_subrev_nc_u32_e32 v2, s17, v0
	v_add_co_u32 v4, s2, s26, v5
	v_mov_b32_e32 v3, 0
	s_waitcnt vmcnt(0)
	v_add_co_ci_u32_e64 v6, null, s27, 0, s2
	s_delay_alu instid0(VALU_DEP_2) | instskip(NEXT) | instid1(VALU_DEP_1)
	v_lshlrev_b64 v[2:3], 1, v[2:3]
	v_add_co_u32 v2, vcc_lo, s1, v2
	s_delay_alu instid0(VALU_DEP_2) | instskip(SKIP_1) | instid1(VALU_DEP_2)
	v_add_co_ci_u32_e32 v3, vcc_lo, s4, v3, vcc_lo
	v_cmp_gt_u32_e32 vcc_lo, s17, v0
	v_dual_cndmask_b32 v2, v2, v4 :: v_dual_cndmask_b32 v3, v3, v6
	global_load_d16_b16 v6, v[2:3], off
.LBB57_6:
	s_or_b32 exec_lo, exec_lo, s0
	s_delay_alu instid0(SALU_CYCLE_1)
	s_mov_b32 s2, exec_lo
	v_cmpx_gt_u32_e64 s3, v1
	s_cbranch_execz .LBB57_8
; %bb.7:
	v_mov_b32_e32 v2, 0
	s_delay_alu instid0(VALU_DEP_1) | instskip(NEXT) | instid1(VALU_DEP_1)
	v_lshlrev_b64 v[3:4], 1, v[1:2]
	v_add_co_u32 v3, vcc_lo, s26, v3
	s_delay_alu instid0(VALU_DEP_2) | instskip(SKIP_2) | instid1(VALU_DEP_1)
	v_add_co_ci_u32_e32 v4, vcc_lo, s27, v4, vcc_lo
	v_cmp_gt_u32_e32 vcc_lo, s17, v1
	v_subrev_nc_u32_e32 v1, s17, v1
	v_lshlrev_b64 v[1:2], 1, v[1:2]
	s_delay_alu instid0(VALU_DEP_1) | instskip(NEXT) | instid1(VALU_DEP_1)
	v_add_co_u32 v1, s0, s1, v1
	v_add_co_ci_u32_e64 v2, s0, s4, v2, s0
	s_delay_alu instid0(VALU_DEP_1)
	v_dual_cndmask_b32 v1, v1, v3 :: v_dual_cndmask_b32 v2, v2, v4
	global_load_d16_hi_b16 v6, v[1:2], off
.LBB57_8:
	s_or_b32 exec_lo, exec_lo, s2
.LBB57_9:
	v_min_u32_e32 v2, s3, v5
	s_mov_b32 s0, exec_lo
	s_waitcnt vmcnt(0)
	ds_store_b16 v5, v6
	ds_store_b16_d16_hi v5, v6 offset:1024
	s_waitcnt lgkmcnt(0)
	s_barrier
	v_sub_nc_u32_e64 v1, v2, s25 clamp
	v_min_u32_e32 v3, s17, v2
	buffer_gl0_inv
	v_cmpx_lt_u32_e64 v1, v3
	s_cbranch_execz .LBB57_13
; %bb.10:
	v_lshlrev_b32_e32 v4, 1, v2
	s_mov_b32 s1, 0
	s_delay_alu instid0(VALU_DEP_1)
	v_lshl_add_u32 v4, s17, 1, v4
	.p2align	6
.LBB57_11:                              ; =>This Inner Loop Header: Depth=1
	v_add_nc_u32_e32 v7, v3, v1
	s_delay_alu instid0(VALU_DEP_1) | instskip(SKIP_1) | instid1(VALU_DEP_2)
	v_lshrrev_b32_e32 v8, 1, v7
	v_and_b32_e32 v7, -2, v7
	v_not_b32_e32 v9, v8
	v_add_nc_u32_e32 v10, 1, v8
	s_delay_alu instid0(VALU_DEP_2)
	v_lshl_add_u32 v9, v9, 1, v4
	ds_load_u16 v7, v7
	ds_load_u16 v9, v9
	s_waitcnt lgkmcnt(1)
	v_and_b32_e32 v7, s19, v7
	s_waitcnt lgkmcnt(0)
	v_and_b32_e32 v9, s19, v9
	s_delay_alu instid0(VALU_DEP_1) | instskip(SKIP_2) | instid1(VALU_DEP_1)
	v_cmp_gt_i16_e32 vcc_lo, v9, v7
	v_cndmask_b32_e32 v3, v3, v8, vcc_lo
	v_cndmask_b32_e32 v1, v10, v1, vcc_lo
	v_cmp_ge_u32_e32 vcc_lo, v1, v3
	s_or_b32 s1, vcc_lo, s1
	s_delay_alu instid0(SALU_CYCLE_1)
	s_and_not1_b32 exec_lo, exec_lo, s1
	s_cbranch_execnz .LBB57_11
; %bb.12:
	s_or_b32 exec_lo, exec_lo, s1
.LBB57_13:
	s_delay_alu instid0(SALU_CYCLE_1) | instskip(SKIP_2) | instid1(VALU_DEP_2)
	s_or_b32 exec_lo, exec_lo, s0
	v_sub_nc_u32_e32 v2, v2, v1
	v_cmp_ge_u32_e32 vcc_lo, s17, v1
                                        ; implicit-def: $vgpr8
                                        ; implicit-def: $vgpr9
	v_add_nc_u32_e32 v2, s17, v2
	s_delay_alu instid0(VALU_DEP_1) | instskip(NEXT) | instid1(VALU_DEP_1)
	v_cmp_ge_u32_e64 s0, s3, v2
	s_or_b32 s0, vcc_lo, s0
	s_delay_alu instid0(SALU_CYCLE_1)
	s_and_saveexec_b32 s4, s0
	s_cbranch_execz .LBB57_19
; %bb.14:
	v_cmp_gt_u32_e32 vcc_lo, s17, v1
                                        ; implicit-def: $vgpr3
	s_and_saveexec_b32 s0, vcc_lo
	s_cbranch_execz .LBB57_16
; %bb.15:
	v_lshlrev_b32_e32 v3, 1, v1
	ds_load_u16 v3, v3
.LBB57_16:
	s_or_b32 exec_lo, exec_lo, s0
	v_cmp_le_u32_e64 s0, s3, v2
	s_mov_b32 s2, exec_lo
                                        ; implicit-def: $vgpr4
	v_cmpx_gt_u32_e64 s3, v2
	s_cbranch_execz .LBB57_18
; %bb.17:
	v_lshlrev_b32_e32 v4, 1, v2
	ds_load_u16 v4, v4
.LBB57_18:
	s_or_b32 exec_lo, exec_lo, s2
	s_waitcnt lgkmcnt(0)
	v_and_b32_e32 v6, s19, v4
	v_and_b32_e32 v7, s19, v3
	s_delay_alu instid0(VALU_DEP_1) | instskip(SKIP_1) | instid1(VALU_DEP_2)
	v_cmp_le_i16_e64 s1, v6, v7
	v_mov_b32_e32 v6, s17
	s_and_b32 s1, vcc_lo, s1
	s_delay_alu instid0(SALU_CYCLE_1) | instskip(SKIP_1) | instid1(VALU_DEP_1)
	s_or_b32 vcc_lo, s0, s1
	v_cndmask_b32_e32 v9, v2, v1, vcc_lo
	v_dual_cndmask_b32 v6, s3, v6 :: v_dual_add_nc_u32 v7, 1, v9
	s_delay_alu instid0(VALU_DEP_1) | instskip(NEXT) | instid1(VALU_DEP_1)
	v_dual_cndmask_b32 v1, v1, v7 :: v_dual_add_nc_u32 v6, -1, v6
	v_min_u32_e32 v6, v7, v6
	v_cndmask_b32_e32 v2, v7, v2, vcc_lo
	s_delay_alu instid0(VALU_DEP_3) | instskip(NEXT) | instid1(VALU_DEP_3)
	v_cmp_gt_u32_e64 s0, s17, v1
	v_lshlrev_b32_e32 v6, 1, v6
	s_delay_alu instid0(VALU_DEP_3) | instskip(SKIP_4) | instid1(VALU_DEP_1)
	v_cmp_le_u32_e64 s2, s3, v2
	ds_load_u16 v6, v6
	s_waitcnt lgkmcnt(0)
	v_cndmask_b32_e32 v10, v6, v4, vcc_lo
	v_dual_cndmask_b32 v6, v3, v6 :: v_dual_cndmask_b32 v3, v4, v3
	v_and_b32_e32 v11, s19, v6
	s_delay_alu instid0(VALU_DEP_3) | instskip(NEXT) | instid1(VALU_DEP_1)
	v_and_b32_e32 v8, s19, v10
	v_cmp_le_i16_e64 s1, v8, v11
	s_delay_alu instid0(VALU_DEP_1) | instskip(NEXT) | instid1(SALU_CYCLE_1)
	s_and_b32 s0, s0, s1
	s_or_b32 vcc_lo, s2, s0
	v_cndmask_b32_e32 v8, v2, v1, vcc_lo
	v_cndmask_b32_e32 v1, v10, v6, vcc_lo
	s_delay_alu instid0(VALU_DEP_1)
	v_perm_b32 v6, v1, v3, 0x5040100
.LBB57_19:
	s_or_b32 exec_lo, exec_lo, s4
	s_lshl_b64 s[0:1], s[14:15], 3
	v_or_b32_e32 v7, 0x200, v0
	s_add_u32 s2, s8, s0
	s_addc_u32 s4, s9, s1
	s_lshl_b64 s[14:15], s[20:21], 3
	v_cmp_gt_u32_e64 s1, s17, v0
	v_cmp_le_u32_e64 s0, s17, v0
	s_add_u32 s8, s8, s14
	s_mov_b32 s5, 0
	s_addc_u32 s9, s9, s15
	s_and_not1_b32 vcc_lo, exec_lo, s18
	s_barrier
	buffer_gl0_inv
	s_cbranch_vccnz .LBB57_21
; %bb.20:
	v_subrev_nc_u32_e32 v1, s17, v0
	v_mov_b32_e32 v2, 0
	v_lshlrev_b32_e32 v12, 3, v0
	s_delay_alu instid0(VALU_DEP_2) | instskip(NEXT) | instid1(VALU_DEP_2)
	v_lshlrev_b64 v[3:4], 3, v[1:2]
	v_add_co_u32 v13, s5, s2, v12
	s_delay_alu instid0(VALU_DEP_1) | instskip(SKIP_1) | instid1(VALU_DEP_3)
	v_add_co_ci_u32_e64 v14, null, s4, 0, s5
	s_mov_b32 s5, -1
	v_add_co_u32 v1, vcc_lo, s8, v3
	s_delay_alu instid0(VALU_DEP_4) | instskip(NEXT) | instid1(VALU_DEP_1)
	v_add_co_ci_u32_e32 v3, vcc_lo, s9, v4, vcc_lo
	v_cndmask_b32_e64 v4, v3, v14, s1
	s_delay_alu instid0(VALU_DEP_3)
	v_cndmask_b32_e64 v3, v1, v13, s1
	v_subrev_nc_u32_e32 v1, s17, v7
	global_load_b64 v[10:11], v[3:4], off
	v_lshlrev_b64 v[1:2], 3, v[1:2]
	v_add_co_u32 v3, vcc_lo, 0x1000, v13
	v_add_co_ci_u32_e32 v4, vcc_lo, 0, v14, vcc_lo
	s_delay_alu instid0(VALU_DEP_3) | instskip(NEXT) | instid1(VALU_DEP_4)
	v_add_co_u32 v1, vcc_lo, s8, v1
	v_add_co_ci_u32_e32 v2, vcc_lo, s9, v2, vcc_lo
	v_cmp_gt_u32_e32 vcc_lo, s17, v7
	s_delay_alu instid0(VALU_DEP_2)
	v_dual_cndmask_b32 v1, v1, v3 :: v_dual_cndmask_b32 v2, v2, v4
	v_or_b32_e32 v4, 0x1000, v12
	s_waitcnt vmcnt(0)
	ds_store_b64 v12, v[10:11]
	s_cbranch_execz .LBB57_22
	s_branch .LBB57_33
.LBB57_21:
                                        ; implicit-def: $vgpr4
                                        ; implicit-def: $vgpr1_vgpr2
.LBB57_22:
	s_mov_b32 s1, 0
                                        ; implicit-def: $vgpr1_vgpr2
	s_and_saveexec_b32 s13, s0
	s_delay_alu instid0(SALU_CYCLE_1)
	s_xor_b32 s0, exec_lo, s13
	s_cbranch_execnz .LBB57_54
; %bb.23:
	s_and_not1_saveexec_b32 s0, s0
	s_cbranch_execnz .LBB57_57
.LBB57_24:
	s_or_b32 exec_lo, exec_lo, s0
	s_and_saveexec_b32 s0, s1
	s_cbranch_execz .LBB57_26
.LBB57_25:
	global_load_b64 v[1:2], v[1:2], off
	v_mad_u32_u24 v3, v0, 6, v5
	s_waitcnt vmcnt(0)
	ds_store_b64 v3, v[1:2]
.LBB57_26:
	s_or_b32 exec_lo, exec_lo, s0
	s_delay_alu instid0(SALU_CYCLE_1)
	s_mov_b32 s0, exec_lo
                                        ; implicit-def: $vgpr4
                                        ; implicit-def: $vgpr1_vgpr2
	v_cmpx_le_u32_e64 s17, v7
	s_xor_b32 s0, exec_lo, s0
	s_cbranch_execz .LBB57_30
; %bb.27:
	v_subrev_nc_u32_e32 v3, s17, v7
	s_mov_b32 s13, s5
	s_mov_b32 s1, exec_lo
                                        ; implicit-def: $vgpr4
                                        ; implicit-def: $vgpr1_vgpr2
	s_delay_alu instid0(VALU_DEP_1)
	v_cmpx_gt_u32_e64 s25, v3
; %bb.28:
	v_mov_b32_e32 v4, 0
	v_mul_u32_u24_e32 v10, 6, v0
	s_or_b32 s13, s5, exec_lo
	s_delay_alu instid0(VALU_DEP_2) | instskip(NEXT) | instid1(VALU_DEP_2)
	v_lshlrev_b64 v[1:2], 3, v[3:4]
	v_add3_u32 v4, v5, v10, 0x1000
	s_delay_alu instid0(VALU_DEP_2) | instskip(NEXT) | instid1(VALU_DEP_3)
	v_add_co_u32 v1, vcc_lo, s8, v1
	v_add_co_ci_u32_e32 v2, vcc_lo, s9, v2, vcc_lo
; %bb.29:
	s_or_b32 exec_lo, exec_lo, s1
	s_delay_alu instid0(SALU_CYCLE_1) | instskip(SKIP_1) | instid1(SALU_CYCLE_1)
	s_and_not1_b32 s1, s5, exec_lo
	s_and_b32 s5, s13, exec_lo
	s_or_b32 s5, s1, s5
.LBB57_30:
	s_and_not1_saveexec_b32 s0, s0
; %bb.31:
	v_lshlrev_b32_e32 v1, 3, v7
	v_mul_u32_u24_e32 v3, 6, v0
	s_or_b32 s5, s5, exec_lo
	s_delay_alu instid0(VALU_DEP_2) | instskip(NEXT) | instid1(VALU_DEP_1)
	v_add_co_u32 v1, s1, s2, v1
	v_add_co_ci_u32_e64 v2, null, s4, 0, s1
	s_delay_alu instid0(VALU_DEP_3)
	v_add3_u32 v4, v5, v3, 0x1000
; %bb.32:
	s_or_b32 exec_lo, exec_lo, s0
.LBB57_33:
	s_and_saveexec_b32 s0, s5
	s_cbranch_execz .LBB57_35
; %bb.34:
	global_load_b64 v[1:2], v[1:2], off
	s_waitcnt vmcnt(0)
	ds_store_b64 v4, v[1:2]
.LBB57_35:
	s_or_b32 exec_lo, exec_lo, s0
	v_add_nc_u32_e32 v1, s12, v5
	s_and_not1_b32 vcc_lo, exec_lo, s18
	s_waitcnt lgkmcnt(0)
	s_barrier
	buffer_gl0_inv
	s_cbranch_vccnz .LBB57_37
; %bb.36:
	v_lshlrev_b32_e32 v2, 3, v9
	s_mov_b32 s0, -1
	ds_load_b64 v[3:4], v2
	v_mov_b32_e32 v2, 0
	s_delay_alu instid0(VALU_DEP_1) | instskip(NEXT) | instid1(VALU_DEP_1)
	v_lshlrev_b64 v[10:11], 3, v[1:2]
	v_add_co_u32 v10, vcc_lo, s10, v10
	s_delay_alu instid0(VALU_DEP_2)
	v_add_co_ci_u32_e32 v11, vcc_lo, s11, v11, vcc_lo
	s_waitcnt lgkmcnt(0)
	global_store_b64 v[10:11], v[3:4], off
	s_cbranch_execz .LBB57_38
	s_branch .LBB57_43
.LBB57_37:
	s_mov_b32 s0, 0
.LBB57_38:
	s_mov_b32 s1, exec_lo
	v_cmpx_gt_u32_e64 s3, v5
	s_cbranch_execz .LBB57_40
; %bb.39:
	v_lshlrev_b32_e32 v2, 3, v9
	ds_load_b64 v[3:4], v2
	v_mov_b32_e32 v2, 0
	s_delay_alu instid0(VALU_DEP_1) | instskip(NEXT) | instid1(VALU_DEP_1)
	v_lshlrev_b64 v[9:10], 3, v[1:2]
	v_add_co_u32 v9, vcc_lo, s10, v9
	s_delay_alu instid0(VALU_DEP_2)
	v_add_co_ci_u32_e32 v10, vcc_lo, s11, v10, vcc_lo
	s_waitcnt lgkmcnt(0)
	global_store_b64 v[9:10], v[3:4], off
.LBB57_40:
	s_or_b32 exec_lo, exec_lo, s1
	v_or_b32_e32 v2, 1, v5
	s_mov_b32 s1, exec_lo
	s_delay_alu instid0(VALU_DEP_1)
	v_cmpx_gt_u32_e64 s3, v2
; %bb.41:
	v_mov_b32_e32 v2, 0
	s_or_b32 s0, s0, exec_lo
; %bb.42:
	s_or_b32 exec_lo, exec_lo, s1
.LBB57_43:
	s_and_saveexec_b32 s1, s0
	s_cbranch_execz .LBB57_45
; %bb.44:
	v_lshlrev_b32_e32 v3, 3, v8
	v_lshlrev_b64 v[1:2], 3, v[1:2]
	ds_load_b64 v[3:4], v3
	v_add_co_u32 v1, vcc_lo, s10, v1
	v_add_co_ci_u32_e32 v2, vcc_lo, s11, v2, vcc_lo
	s_waitcnt lgkmcnt(0)
	global_store_b64 v[1:2], v[3:4], off offset:8
.LBB57_45:
	s_or_b32 exec_lo, exec_lo, s1
	v_lshrrev_b32_e32 v1, 3, v0
	v_lshrrev_b32_e32 v2, 4, v0
	;; [unrolled: 1-line block ×3, first 2 shown]
	s_mov_b32 s13, 0
	s_waitcnt_vscnt null, 0x0
	v_and_b32_e32 v1, 60, v1
	s_lshl_b64 s[0:1], s[12:13], 1
	v_and_b32_e32 v2, 28, v2
	v_and_b32_e32 v4, 60, v3
	s_add_u32 s0, s6, s0
	v_lshl_add_u32 v1, v5, 1, v1
	s_barrier
	buffer_gl0_inv
	s_barrier
	buffer_gl0_inv
	s_addc_u32 s1, s7, s1
	ds_store_b32 v1, v6
	v_add_co_u32 v1, s0, s0, v5
	v_add_nc_u32_e32 v3, v5, v2
	v_add_nc_u32_e32 v6, v5, v4
	v_add_co_ci_u32_e64 v2, null, s1, 0, s0
	s_and_b32 vcc_lo, exec_lo, s18
	s_waitcnt lgkmcnt(0)
	s_cbranch_vccz .LBB57_47
; %bb.46:
	s_barrier
	buffer_gl0_inv
	ds_load_u16 v5, v3
	ds_load_u16 v4, v6 offset:1024
	s_mov_b32 s13, -1
	s_waitcnt lgkmcnt(1)
	global_store_b16 v[1:2], v5, off
	s_cbranch_execz .LBB57_48
	s_branch .LBB57_51
.LBB57_47:
                                        ; implicit-def: $vgpr4
.LBB57_48:
	s_waitcnt lgkmcnt(0)
	s_waitcnt_vscnt null, 0x0
	s_barrier
	buffer_gl0_inv
	ds_load_u16 v4, v6 offset:1024
	s_sub_i32 s0, s16, s12
	s_mov_b32 s1, exec_lo
	v_cmpx_gt_u32_e64 s0, v0
	s_cbranch_execz .LBB57_50
; %bb.49:
	ds_load_u16 v0, v3
	s_waitcnt lgkmcnt(0)
	global_store_b16 v[1:2], v0, off
.LBB57_50:
	s_or_b32 exec_lo, exec_lo, s1
	v_cmp_gt_u32_e64 s13, s0, v7
.LBB57_51:
	s_delay_alu instid0(VALU_DEP_1)
	s_and_saveexec_b32 s0, s13
	s_cbranch_execz .LBB57_53
; %bb.52:
	s_waitcnt lgkmcnt(0)
	global_store_b16 v[1:2], v4, off offset:1024
.LBB57_53:
	s_nop 0
	s_sendmsg sendmsg(MSG_DEALLOC_VGPRS)
	s_endpgm
.LBB57_54:
	v_subrev_nc_u32_e32 v3, s17, v0
	s_mov_b32 s13, exec_lo
                                        ; implicit-def: $vgpr1_vgpr2
	s_delay_alu instid0(VALU_DEP_1)
	v_cmpx_gt_u32_e64 s25, v3
	s_xor_b32 s13, exec_lo, s13
; %bb.55:
	v_mov_b32_e32 v4, 0
	s_mov_b32 s1, exec_lo
	s_delay_alu instid0(VALU_DEP_1) | instskip(NEXT) | instid1(VALU_DEP_1)
	v_lshlrev_b64 v[1:2], 3, v[3:4]
	v_add_co_u32 v1, vcc_lo, s8, v1
	s_delay_alu instid0(VALU_DEP_2)
	v_add_co_ci_u32_e32 v2, vcc_lo, s9, v2, vcc_lo
; %bb.56:
	s_or_b32 exec_lo, exec_lo, s13
	s_delay_alu instid0(SALU_CYCLE_1)
	s_and_b32 s1, s1, exec_lo
	s_and_not1_saveexec_b32 s0, s0
	s_cbranch_execz .LBB57_24
.LBB57_57:
	v_lshlrev_b32_e32 v1, 3, v0
	s_or_b32 s1, s1, exec_lo
	s_delay_alu instid0(VALU_DEP_1) | instskip(NEXT) | instid1(VALU_DEP_1)
	v_add_co_u32 v1, s13, s2, v1
	v_add_co_ci_u32_e64 v2, null, s4, 0, s13
	s_or_b32 exec_lo, exec_lo, s0
	s_and_saveexec_b32 s0, s1
	s_cbranch_execnz .LBB57_25
	s_branch .LBB57_26
	.section	.rodata,"a",@progbits
	.p2align	6, 0x0
	.amdhsa_kernel _ZN7rocprim17ROCPRIM_304000_NS6detail35device_block_merge_mergepath_kernelINS1_37wrapped_merge_sort_block_merge_configINS0_14default_configEsN2at4cuda3cub6detail10OpaqueTypeILi8EEEEEPsSC_PSA_SD_jNS1_19radix_merge_compareILb1ELb1EsNS0_19identity_decomposerEEEEEvT0_T1_T2_T3_T4_SL_jT5_PKSL_NS1_7vsmem_tE
		.amdhsa_group_segment_fixed_size 8208
		.amdhsa_private_segment_fixed_size 0
		.amdhsa_kernarg_size 320
		.amdhsa_user_sgpr_count 13
		.amdhsa_user_sgpr_dispatch_ptr 0
		.amdhsa_user_sgpr_queue_ptr 0
		.amdhsa_user_sgpr_kernarg_segment_ptr 1
		.amdhsa_user_sgpr_dispatch_id 0
		.amdhsa_user_sgpr_private_segment_size 0
		.amdhsa_wavefront_size32 1
		.amdhsa_uses_dynamic_stack 0
		.amdhsa_enable_private_segment 0
		.amdhsa_system_sgpr_workgroup_id_x 1
		.amdhsa_system_sgpr_workgroup_id_y 1
		.amdhsa_system_sgpr_workgroup_id_z 1
		.amdhsa_system_sgpr_workgroup_info 0
		.amdhsa_system_vgpr_workitem_id 0
		.amdhsa_next_free_vgpr 15
		.amdhsa_next_free_sgpr 31
		.amdhsa_reserve_vcc 1
		.amdhsa_float_round_mode_32 0
		.amdhsa_float_round_mode_16_64 0
		.amdhsa_float_denorm_mode_32 3
		.amdhsa_float_denorm_mode_16_64 3
		.amdhsa_dx10_clamp 1
		.amdhsa_ieee_mode 1
		.amdhsa_fp16_overflow 0
		.amdhsa_workgroup_processor_mode 1
		.amdhsa_memory_ordered 1
		.amdhsa_forward_progress 0
		.amdhsa_shared_vgpr_count 0
		.amdhsa_exception_fp_ieee_invalid_op 0
		.amdhsa_exception_fp_denorm_src 0
		.amdhsa_exception_fp_ieee_div_zero 0
		.amdhsa_exception_fp_ieee_overflow 0
		.amdhsa_exception_fp_ieee_underflow 0
		.amdhsa_exception_fp_ieee_inexact 0
		.amdhsa_exception_int_div_zero 0
	.end_amdhsa_kernel
	.section	.text._ZN7rocprim17ROCPRIM_304000_NS6detail35device_block_merge_mergepath_kernelINS1_37wrapped_merge_sort_block_merge_configINS0_14default_configEsN2at4cuda3cub6detail10OpaqueTypeILi8EEEEEPsSC_PSA_SD_jNS1_19radix_merge_compareILb1ELb1EsNS0_19identity_decomposerEEEEEvT0_T1_T2_T3_T4_SL_jT5_PKSL_NS1_7vsmem_tE,"axG",@progbits,_ZN7rocprim17ROCPRIM_304000_NS6detail35device_block_merge_mergepath_kernelINS1_37wrapped_merge_sort_block_merge_configINS0_14default_configEsN2at4cuda3cub6detail10OpaqueTypeILi8EEEEEPsSC_PSA_SD_jNS1_19radix_merge_compareILb1ELb1EsNS0_19identity_decomposerEEEEEvT0_T1_T2_T3_T4_SL_jT5_PKSL_NS1_7vsmem_tE,comdat
.Lfunc_end57:
	.size	_ZN7rocprim17ROCPRIM_304000_NS6detail35device_block_merge_mergepath_kernelINS1_37wrapped_merge_sort_block_merge_configINS0_14default_configEsN2at4cuda3cub6detail10OpaqueTypeILi8EEEEEPsSC_PSA_SD_jNS1_19radix_merge_compareILb1ELb1EsNS0_19identity_decomposerEEEEEvT0_T1_T2_T3_T4_SL_jT5_PKSL_NS1_7vsmem_tE, .Lfunc_end57-_ZN7rocprim17ROCPRIM_304000_NS6detail35device_block_merge_mergepath_kernelINS1_37wrapped_merge_sort_block_merge_configINS0_14default_configEsN2at4cuda3cub6detail10OpaqueTypeILi8EEEEEPsSC_PSA_SD_jNS1_19radix_merge_compareILb1ELb1EsNS0_19identity_decomposerEEEEEvT0_T1_T2_T3_T4_SL_jT5_PKSL_NS1_7vsmem_tE
                                        ; -- End function
	.section	.AMDGPU.csdata,"",@progbits
; Kernel info:
; codeLenInByte = 2468
; NumSgprs: 33
; NumVgprs: 15
; ScratchSize: 0
; MemoryBound: 1
; FloatMode: 240
; IeeeMode: 1
; LDSByteSize: 8208 bytes/workgroup (compile time only)
; SGPRBlocks: 4
; VGPRBlocks: 1
; NumSGPRsForWavesPerEU: 33
; NumVGPRsForWavesPerEU: 15
; Occupancy: 16
; WaveLimiterHint : 1
; COMPUTE_PGM_RSRC2:SCRATCH_EN: 0
; COMPUTE_PGM_RSRC2:USER_SGPR: 13
; COMPUTE_PGM_RSRC2:TRAP_HANDLER: 0
; COMPUTE_PGM_RSRC2:TGID_X_EN: 1
; COMPUTE_PGM_RSRC2:TGID_Y_EN: 1
; COMPUTE_PGM_RSRC2:TGID_Z_EN: 1
; COMPUTE_PGM_RSRC2:TIDIG_COMP_CNT: 0
	.section	.text._ZN7rocprim17ROCPRIM_304000_NS6detail33device_block_merge_oddeven_kernelINS1_37wrapped_merge_sort_block_merge_configINS0_14default_configEsN2at4cuda3cub6detail10OpaqueTypeILi8EEEEEPsSC_PSA_SD_jNS1_19radix_merge_compareILb1ELb1EsNS0_19identity_decomposerEEEEEvT0_T1_T2_T3_T4_SL_T5_,"axG",@progbits,_ZN7rocprim17ROCPRIM_304000_NS6detail33device_block_merge_oddeven_kernelINS1_37wrapped_merge_sort_block_merge_configINS0_14default_configEsN2at4cuda3cub6detail10OpaqueTypeILi8EEEEEPsSC_PSA_SD_jNS1_19radix_merge_compareILb1ELb1EsNS0_19identity_decomposerEEEEEvT0_T1_T2_T3_T4_SL_T5_,comdat
	.protected	_ZN7rocprim17ROCPRIM_304000_NS6detail33device_block_merge_oddeven_kernelINS1_37wrapped_merge_sort_block_merge_configINS0_14default_configEsN2at4cuda3cub6detail10OpaqueTypeILi8EEEEEPsSC_PSA_SD_jNS1_19radix_merge_compareILb1ELb1EsNS0_19identity_decomposerEEEEEvT0_T1_T2_T3_T4_SL_T5_ ; -- Begin function _ZN7rocprim17ROCPRIM_304000_NS6detail33device_block_merge_oddeven_kernelINS1_37wrapped_merge_sort_block_merge_configINS0_14default_configEsN2at4cuda3cub6detail10OpaqueTypeILi8EEEEEPsSC_PSA_SD_jNS1_19radix_merge_compareILb1ELb1EsNS0_19identity_decomposerEEEEEvT0_T1_T2_T3_T4_SL_T5_
	.globl	_ZN7rocprim17ROCPRIM_304000_NS6detail33device_block_merge_oddeven_kernelINS1_37wrapped_merge_sort_block_merge_configINS0_14default_configEsN2at4cuda3cub6detail10OpaqueTypeILi8EEEEEPsSC_PSA_SD_jNS1_19radix_merge_compareILb1ELb1EsNS0_19identity_decomposerEEEEEvT0_T1_T2_T3_T4_SL_T5_
	.p2align	8
	.type	_ZN7rocprim17ROCPRIM_304000_NS6detail33device_block_merge_oddeven_kernelINS1_37wrapped_merge_sort_block_merge_configINS0_14default_configEsN2at4cuda3cub6detail10OpaqueTypeILi8EEEEEPsSC_PSA_SD_jNS1_19radix_merge_compareILb1ELb1EsNS0_19identity_decomposerEEEEEvT0_T1_T2_T3_T4_SL_T5_,@function
_ZN7rocprim17ROCPRIM_304000_NS6detail33device_block_merge_oddeven_kernelINS1_37wrapped_merge_sort_block_merge_configINS0_14default_configEsN2at4cuda3cub6detail10OpaqueTypeILi8EEEEEPsSC_PSA_SD_jNS1_19radix_merge_compareILb1ELb1EsNS0_19identity_decomposerEEEEEvT0_T1_T2_T3_T4_SL_T5_: ; @_ZN7rocprim17ROCPRIM_304000_NS6detail33device_block_merge_oddeven_kernelINS1_37wrapped_merge_sort_block_merge_configINS0_14default_configEsN2at4cuda3cub6detail10OpaqueTypeILi8EEEEEPsSC_PSA_SD_jNS1_19radix_merge_compareILb1ELb1EsNS0_19identity_decomposerEEEEEvT0_T1_T2_T3_T4_SL_T5_
; %bb.0:
	s_load_b128 s[16:19], s[0:1], 0x20
	s_waitcnt lgkmcnt(0)
	s_lshr_b32 s2, s16, 8
	s_delay_alu instid0(SALU_CYCLE_1) | instskip(SKIP_4) | instid1(SALU_CYCLE_1)
	s_cmp_lg_u32 s15, s2
	s_cselect_b32 s4, -1, 0
	s_cmp_eq_u32 s15, s2
	s_cselect_b32 s3, -1, 0
	s_lshl_b32 s12, s15, 8
	s_sub_i32 s2, s16, s12
	s_delay_alu instid0(SALU_CYCLE_1) | instskip(NEXT) | instid1(VALU_DEP_1)
	v_cmp_gt_u32_e64 s2, s2, v0
	s_or_b32 s4, s4, s2
	s_delay_alu instid0(SALU_CYCLE_1)
	s_and_saveexec_b32 s5, s4
	s_cbranch_execz .LBB58_26
; %bb.1:
	s_load_b256 s[4:11], s[0:1], 0x0
	s_mov_b32 s13, 0
	v_lshlrev_b32_e32 v1, 3, v0
	s_lshl_b64 s[0:1], s[12:13], 1
	v_lshlrev_b32_e32 v3, 1, v0
	v_add_nc_u32_e32 v5, s12, v0
	s_waitcnt lgkmcnt(0)
	s_add_u32 s0, s4, s0
	s_addc_u32 s1, s5, s1
	s_lshl_b64 s[20:21], s[12:13], 3
	s_delay_alu instid0(SALU_CYCLE_1) | instskip(SKIP_4) | instid1(SALU_CYCLE_1)
	s_add_u32 s8, s8, s20
	s_addc_u32 s9, s9, s21
	global_load_b64 v[1:2], v1, s[8:9]
	global_load_u16 v7, v3, s[0:1]
	s_lshr_b32 s0, s17, 8
	s_sub_i32 s1, 0, s0
	s_delay_alu instid0(SALU_CYCLE_1) | instskip(NEXT) | instid1(SALU_CYCLE_1)
	s_and_b32 s1, s15, s1
	s_and_b32 s0, s1, s0
	s_lshl_b32 s9, s1, 8
	s_sub_i32 s1, 0, s17
	s_cmp_eq_u32 s0, 0
	s_cselect_b32 s0, -1, 0
	s_delay_alu instid0(SALU_CYCLE_1) | instskip(SKIP_1) | instid1(SALU_CYCLE_1)
	s_and_b32 s8, s0, exec_lo
	s_cselect_b32 s1, s17, s1
	s_add_i32 s1, s1, s9
	s_delay_alu instid0(SALU_CYCLE_1)
	s_cmp_lt_u32 s1, s16
	s_cbranch_scc1 .LBB58_6
; %bb.2:
	s_and_b32 vcc_lo, exec_lo, s3
	s_cbranch_vccz .LBB58_7
; %bb.3:
	s_mov_b32 s8, 0
	s_mov_b32 s12, exec_lo
                                        ; implicit-def: $vgpr3_vgpr4
	v_cmpx_gt_u32_e64 s16, v5
	s_cbranch_execz .LBB58_5
; %bb.4:
	v_mov_b32_e32 v6, 0
	s_mov_b32 s13, exec_lo
	s_delay_alu instid0(VALU_DEP_1) | instskip(SKIP_1) | instid1(VALU_DEP_2)
	v_lshlrev_b64 v[3:4], 1, v[5:6]
	v_lshlrev_b64 v[8:9], 3, v[5:6]
	v_add_co_u32 v10, vcc_lo, s6, v3
	s_delay_alu instid0(VALU_DEP_3) | instskip(NEXT) | instid1(VALU_DEP_3)
	v_add_co_ci_u32_e32 v11, vcc_lo, s7, v4, vcc_lo
	v_add_co_u32 v3, vcc_lo, s10, v8
	s_delay_alu instid0(VALU_DEP_4)
	v_add_co_ci_u32_e32 v4, vcc_lo, s11, v9, vcc_lo
	s_waitcnt vmcnt(0)
	global_store_b16 v[10:11], v7, off
.LBB58_5:
	s_or_b32 exec_lo, exec_lo, s12
	s_delay_alu instid0(SALU_CYCLE_1)
	s_and_b32 vcc_lo, exec_lo, s8
	s_cbranch_vccnz .LBB58_8
	s_branch .LBB58_9
.LBB58_6:
                                        ; implicit-def: $vgpr3_vgpr4
	s_cbranch_execnz .LBB58_10
	s_branch .LBB58_24
.LBB58_7:
                                        ; implicit-def: $vgpr3_vgpr4
	s_cbranch_execz .LBB58_9
.LBB58_8:
	v_mov_b32_e32 v6, 0
	s_or_b32 s13, s13, exec_lo
	s_delay_alu instid0(VALU_DEP_1) | instskip(SKIP_1) | instid1(VALU_DEP_2)
	v_lshlrev_b64 v[3:4], 1, v[5:6]
	v_lshlrev_b64 v[8:9], 3, v[5:6]
	v_add_co_u32 v10, vcc_lo, s6, v3
	s_delay_alu instid0(VALU_DEP_3) | instskip(NEXT) | instid1(VALU_DEP_3)
	v_add_co_ci_u32_e32 v11, vcc_lo, s7, v4, vcc_lo
	v_add_co_u32 v3, vcc_lo, s10, v8
	s_delay_alu instid0(VALU_DEP_4)
	v_add_co_ci_u32_e32 v4, vcc_lo, s11, v9, vcc_lo
	s_waitcnt vmcnt(0)
	global_store_b16 v[10:11], v7, off
.LBB58_9:
	s_branch .LBB58_24
.LBB58_10:
	s_min_u32 s8, s1, s16
	s_and_b32 vcc_lo, exec_lo, s3
	s_add_i32 s12, s9, s8
	s_min_u32 s9, s9, s8
	v_subrev_nc_u32_e32 v0, s12, v5
	s_add_i32 s12, s8, s17
	s_delay_alu instid0(SALU_CYCLE_1) | instskip(NEXT) | instid1(VALU_DEP_1)
	s_min_u32 s3, s12, s16
	v_add_nc_u32_e32 v0, s9, v0
	s_cbranch_vccz .LBB58_18
; %bb.11:
                                        ; implicit-def: $vgpr3_vgpr4
	s_and_saveexec_b32 s9, s2
	s_cbranch_execz .LBB58_17
; %bb.12:
	v_mov_b32_e32 v3, s8
	s_cmp_ge_u32 s1, s3
	s_cbranch_scc1 .LBB58_16
; %bb.13:
	s_waitcnt vmcnt(0)
	v_dual_mov_b32 v5, s3 :: v_dual_and_b32 v4, s18, v7
	v_mov_b32_e32 v3, s8
	s_mov_b32 s2, 0
	.p2align	6
.LBB58_14:                              ; =>This Inner Loop Header: Depth=1
	s_delay_alu instid0(VALU_DEP_1) | instskip(NEXT) | instid1(VALU_DEP_1)
	v_add_nc_u32_e32 v6, v3, v5
	v_and_b32_e32 v8, -2, v6
	v_lshrrev_b32_e32 v6, 1, v6
	global_load_u16 v8, v8, s[4:5]
	s_waitcnt vmcnt(0)
	v_and_b32_e32 v8, s18, v8
	s_delay_alu instid0(VALU_DEP_1) | instskip(SKIP_3) | instid1(VALU_DEP_1)
	v_cmp_gt_i16_e32 vcc_lo, v8, v4
	v_cndmask_b32_e64 v9, 0, 1, vcc_lo
	v_cmp_le_i16_e32 vcc_lo, v4, v8
	v_cndmask_b32_e64 v8, 0, 1, vcc_lo
	v_cndmask_b32_e64 v8, v8, v9, s0
	v_add_nc_u32_e32 v9, 1, v6
	s_delay_alu instid0(VALU_DEP_2) | instskip(NEXT) | instid1(VALU_DEP_1)
	v_and_b32_e32 v8, 1, v8
	v_cmp_eq_u32_e32 vcc_lo, 1, v8
	s_delay_alu instid0(VALU_DEP_3) | instskip(SKIP_1) | instid1(VALU_DEP_1)
	v_cndmask_b32_e32 v3, v3, v9, vcc_lo
	v_cndmask_b32_e32 v5, v6, v5, vcc_lo
	v_cmp_ge_u32_e32 vcc_lo, v3, v5
	s_or_b32 s2, vcc_lo, s2
	s_delay_alu instid0(SALU_CYCLE_1)
	s_and_not1_b32 exec_lo, exec_lo, s2
	s_cbranch_execnz .LBB58_14
; %bb.15:
	s_or_b32 exec_lo, exec_lo, s2
.LBB58_16:
	s_delay_alu instid0(VALU_DEP_1) | instskip(SKIP_1) | instid1(VALU_DEP_1)
	v_dual_mov_b32 v4, 0 :: v_dual_add_nc_u32 v3, v3, v0
	s_or_b32 s13, s13, exec_lo
	v_lshlrev_b64 v[5:6], 1, v[3:4]
	v_lshlrev_b64 v[3:4], 3, v[3:4]
	s_delay_alu instid0(VALU_DEP_2) | instskip(NEXT) | instid1(VALU_DEP_3)
	v_add_co_u32 v5, vcc_lo, s6, v5
	v_add_co_ci_u32_e32 v6, vcc_lo, s7, v6, vcc_lo
	s_delay_alu instid0(VALU_DEP_3) | instskip(NEXT) | instid1(VALU_DEP_4)
	v_add_co_u32 v3, vcc_lo, s10, v3
	v_add_co_ci_u32_e32 v4, vcc_lo, s11, v4, vcc_lo
	s_waitcnt vmcnt(0)
	global_store_b16 v[5:6], v7, off
.LBB58_17:
	s_or_b32 exec_lo, exec_lo, s9
	s_branch .LBB58_24
.LBB58_18:
                                        ; implicit-def: $vgpr3_vgpr4
	s_cbranch_execz .LBB58_24
; %bb.19:
	v_mov_b32_e32 v3, s8
	s_cmp_ge_u32 s1, s3
	s_cbranch_scc1 .LBB58_23
; %bb.20:
	s_waitcnt vmcnt(0)
	v_dual_mov_b32 v5, s3 :: v_dual_and_b32 v4, s18, v7
	v_mov_b32_e32 v3, s8
	s_mov_b32 s1, 0
	.p2align	6
.LBB58_21:                              ; =>This Inner Loop Header: Depth=1
	s_delay_alu instid0(VALU_DEP_1) | instskip(NEXT) | instid1(VALU_DEP_1)
	v_add_nc_u32_e32 v6, v3, v5
	v_and_b32_e32 v8, -2, v6
	v_lshrrev_b32_e32 v6, 1, v6
	global_load_u16 v8, v8, s[4:5]
	s_waitcnt vmcnt(0)
	v_and_b32_e32 v8, s18, v8
	s_delay_alu instid0(VALU_DEP_1) | instskip(SKIP_3) | instid1(VALU_DEP_1)
	v_cmp_gt_i16_e32 vcc_lo, v8, v4
	v_cndmask_b32_e64 v9, 0, 1, vcc_lo
	v_cmp_le_i16_e32 vcc_lo, v4, v8
	v_cndmask_b32_e64 v8, 0, 1, vcc_lo
	v_cndmask_b32_e64 v8, v8, v9, s0
	v_add_nc_u32_e32 v9, 1, v6
	s_delay_alu instid0(VALU_DEP_2) | instskip(NEXT) | instid1(VALU_DEP_1)
	v_and_b32_e32 v8, 1, v8
	v_cmp_eq_u32_e32 vcc_lo, 1, v8
	s_delay_alu instid0(VALU_DEP_3) | instskip(SKIP_1) | instid1(VALU_DEP_1)
	v_cndmask_b32_e32 v3, v3, v9, vcc_lo
	v_cndmask_b32_e32 v5, v6, v5, vcc_lo
	v_cmp_ge_u32_e32 vcc_lo, v3, v5
	s_or_b32 s1, vcc_lo, s1
	s_delay_alu instid0(SALU_CYCLE_1)
	s_and_not1_b32 exec_lo, exec_lo, s1
	s_cbranch_execnz .LBB58_21
; %bb.22:
	s_or_b32 exec_lo, exec_lo, s1
.LBB58_23:
	s_delay_alu instid0(VALU_DEP_1) | instskip(SKIP_1) | instid1(VALU_DEP_1)
	v_dual_mov_b32 v4, 0 :: v_dual_add_nc_u32 v3, v3, v0
	s_mov_b32 s13, -1
	v_lshlrev_b64 v[5:6], 1, v[3:4]
	v_lshlrev_b64 v[3:4], 3, v[3:4]
	s_delay_alu instid0(VALU_DEP_2) | instskip(NEXT) | instid1(VALU_DEP_3)
	v_add_co_u32 v5, vcc_lo, s6, v5
	v_add_co_ci_u32_e32 v6, vcc_lo, s7, v6, vcc_lo
	s_delay_alu instid0(VALU_DEP_3) | instskip(NEXT) | instid1(VALU_DEP_4)
	v_add_co_u32 v3, vcc_lo, s10, v3
	v_add_co_ci_u32_e32 v4, vcc_lo, s11, v4, vcc_lo
	s_waitcnt vmcnt(0)
	global_store_b16 v[5:6], v7, off
.LBB58_24:
	s_and_b32 exec_lo, exec_lo, s13
	s_cbranch_execz .LBB58_26
; %bb.25:
	s_waitcnt vmcnt(1)
	global_store_b64 v[3:4], v[1:2], off
.LBB58_26:
	s_nop 0
	s_sendmsg sendmsg(MSG_DEALLOC_VGPRS)
	s_endpgm
	.section	.rodata,"a",@progbits
	.p2align	6, 0x0
	.amdhsa_kernel _ZN7rocprim17ROCPRIM_304000_NS6detail33device_block_merge_oddeven_kernelINS1_37wrapped_merge_sort_block_merge_configINS0_14default_configEsN2at4cuda3cub6detail10OpaqueTypeILi8EEEEEPsSC_PSA_SD_jNS1_19radix_merge_compareILb1ELb1EsNS0_19identity_decomposerEEEEEvT0_T1_T2_T3_T4_SL_T5_
		.amdhsa_group_segment_fixed_size 0
		.amdhsa_private_segment_fixed_size 0
		.amdhsa_kernarg_size 44
		.amdhsa_user_sgpr_count 15
		.amdhsa_user_sgpr_dispatch_ptr 0
		.amdhsa_user_sgpr_queue_ptr 0
		.amdhsa_user_sgpr_kernarg_segment_ptr 1
		.amdhsa_user_sgpr_dispatch_id 0
		.amdhsa_user_sgpr_private_segment_size 0
		.amdhsa_wavefront_size32 1
		.amdhsa_uses_dynamic_stack 0
		.amdhsa_enable_private_segment 0
		.amdhsa_system_sgpr_workgroup_id_x 1
		.amdhsa_system_sgpr_workgroup_id_y 0
		.amdhsa_system_sgpr_workgroup_id_z 0
		.amdhsa_system_sgpr_workgroup_info 0
		.amdhsa_system_vgpr_workitem_id 0
		.amdhsa_next_free_vgpr 12
		.amdhsa_next_free_sgpr 22
		.amdhsa_reserve_vcc 1
		.amdhsa_float_round_mode_32 0
		.amdhsa_float_round_mode_16_64 0
		.amdhsa_float_denorm_mode_32 3
		.amdhsa_float_denorm_mode_16_64 3
		.amdhsa_dx10_clamp 1
		.amdhsa_ieee_mode 1
		.amdhsa_fp16_overflow 0
		.amdhsa_workgroup_processor_mode 1
		.amdhsa_memory_ordered 1
		.amdhsa_forward_progress 0
		.amdhsa_shared_vgpr_count 0
		.amdhsa_exception_fp_ieee_invalid_op 0
		.amdhsa_exception_fp_denorm_src 0
		.amdhsa_exception_fp_ieee_div_zero 0
		.amdhsa_exception_fp_ieee_overflow 0
		.amdhsa_exception_fp_ieee_underflow 0
		.amdhsa_exception_fp_ieee_inexact 0
		.amdhsa_exception_int_div_zero 0
	.end_amdhsa_kernel
	.section	.text._ZN7rocprim17ROCPRIM_304000_NS6detail33device_block_merge_oddeven_kernelINS1_37wrapped_merge_sort_block_merge_configINS0_14default_configEsN2at4cuda3cub6detail10OpaqueTypeILi8EEEEEPsSC_PSA_SD_jNS1_19radix_merge_compareILb1ELb1EsNS0_19identity_decomposerEEEEEvT0_T1_T2_T3_T4_SL_T5_,"axG",@progbits,_ZN7rocprim17ROCPRIM_304000_NS6detail33device_block_merge_oddeven_kernelINS1_37wrapped_merge_sort_block_merge_configINS0_14default_configEsN2at4cuda3cub6detail10OpaqueTypeILi8EEEEEPsSC_PSA_SD_jNS1_19radix_merge_compareILb1ELb1EsNS0_19identity_decomposerEEEEEvT0_T1_T2_T3_T4_SL_T5_,comdat
.Lfunc_end58:
	.size	_ZN7rocprim17ROCPRIM_304000_NS6detail33device_block_merge_oddeven_kernelINS1_37wrapped_merge_sort_block_merge_configINS0_14default_configEsN2at4cuda3cub6detail10OpaqueTypeILi8EEEEEPsSC_PSA_SD_jNS1_19radix_merge_compareILb1ELb1EsNS0_19identity_decomposerEEEEEvT0_T1_T2_T3_T4_SL_T5_, .Lfunc_end58-_ZN7rocprim17ROCPRIM_304000_NS6detail33device_block_merge_oddeven_kernelINS1_37wrapped_merge_sort_block_merge_configINS0_14default_configEsN2at4cuda3cub6detail10OpaqueTypeILi8EEEEEPsSC_PSA_SD_jNS1_19radix_merge_compareILb1ELb1EsNS0_19identity_decomposerEEEEEvT0_T1_T2_T3_T4_SL_T5_
                                        ; -- End function
	.section	.AMDGPU.csdata,"",@progbits
; Kernel info:
; codeLenInByte = 964
; NumSgprs: 24
; NumVgprs: 12
; ScratchSize: 0
; MemoryBound: 0
; FloatMode: 240
; IeeeMode: 1
; LDSByteSize: 0 bytes/workgroup (compile time only)
; SGPRBlocks: 2
; VGPRBlocks: 1
; NumSGPRsForWavesPerEU: 24
; NumVGPRsForWavesPerEU: 12
; Occupancy: 16
; WaveLimiterHint : 0
; COMPUTE_PGM_RSRC2:SCRATCH_EN: 0
; COMPUTE_PGM_RSRC2:USER_SGPR: 15
; COMPUTE_PGM_RSRC2:TRAP_HANDLER: 0
; COMPUTE_PGM_RSRC2:TGID_X_EN: 1
; COMPUTE_PGM_RSRC2:TGID_Y_EN: 0
; COMPUTE_PGM_RSRC2:TGID_Z_EN: 0
; COMPUTE_PGM_RSRC2:TIDIG_COMP_CNT: 0
	.section	.text._ZN7rocprim17ROCPRIM_304000_NS6detail26onesweep_histograms_kernelINS1_34wrapped_radix_sort_onesweep_configINS0_14default_configEsN2at4cuda3cub6detail10OpaqueTypeILi8EEEEELb1EPKsmNS0_19identity_decomposerEEEvT1_PT2_SG_SG_T3_jj,"axG",@progbits,_ZN7rocprim17ROCPRIM_304000_NS6detail26onesweep_histograms_kernelINS1_34wrapped_radix_sort_onesweep_configINS0_14default_configEsN2at4cuda3cub6detail10OpaqueTypeILi8EEEEELb1EPKsmNS0_19identity_decomposerEEEvT1_PT2_SG_SG_T3_jj,comdat
	.protected	_ZN7rocprim17ROCPRIM_304000_NS6detail26onesweep_histograms_kernelINS1_34wrapped_radix_sort_onesweep_configINS0_14default_configEsN2at4cuda3cub6detail10OpaqueTypeILi8EEEEELb1EPKsmNS0_19identity_decomposerEEEvT1_PT2_SG_SG_T3_jj ; -- Begin function _ZN7rocprim17ROCPRIM_304000_NS6detail26onesweep_histograms_kernelINS1_34wrapped_radix_sort_onesweep_configINS0_14default_configEsN2at4cuda3cub6detail10OpaqueTypeILi8EEEEELb1EPKsmNS0_19identity_decomposerEEEvT1_PT2_SG_SG_T3_jj
	.globl	_ZN7rocprim17ROCPRIM_304000_NS6detail26onesweep_histograms_kernelINS1_34wrapped_radix_sort_onesweep_configINS0_14default_configEsN2at4cuda3cub6detail10OpaqueTypeILi8EEEEELb1EPKsmNS0_19identity_decomposerEEEvT1_PT2_SG_SG_T3_jj
	.p2align	8
	.type	_ZN7rocprim17ROCPRIM_304000_NS6detail26onesweep_histograms_kernelINS1_34wrapped_radix_sort_onesweep_configINS0_14default_configEsN2at4cuda3cub6detail10OpaqueTypeILi8EEEEELb1EPKsmNS0_19identity_decomposerEEEvT1_PT2_SG_SG_T3_jj,@function
_ZN7rocprim17ROCPRIM_304000_NS6detail26onesweep_histograms_kernelINS1_34wrapped_radix_sort_onesweep_configINS0_14default_configEsN2at4cuda3cub6detail10OpaqueTypeILi8EEEEELb1EPKsmNS0_19identity_decomposerEEEvT1_PT2_SG_SG_T3_jj: ; @_ZN7rocprim17ROCPRIM_304000_NS6detail26onesweep_histograms_kernelINS1_34wrapped_radix_sort_onesweep_configINS0_14default_configEsN2at4cuda3cub6detail10OpaqueTypeILi8EEEEELb1EPKsmNS0_19identity_decomposerEEEvT1_PT2_SG_SG_T3_jj
; %bb.0:
	s_clause 0x1
	s_load_b256 s[4:11], s[0:1], 0x0
	s_load_b64 s[12:13], s[0:1], 0x24
	s_mov_b32 s2, s15
	s_mov_b32 s3, 0
	v_lshlrev_b32_e32 v5, 1, v0
	s_lshl_b64 s[0:1], s[2:3], 13
	s_waitcnt lgkmcnt(0)
	v_cmp_ge_u64_e64 s9, s[2:3], s[10:11]
	s_add_u32 s4, s4, s0
	s_addc_u32 s5, s5, s1
	s_mov_b32 s0, -1
	s_delay_alu instid0(VALU_DEP_1)
	s_and_b32 vcc_lo, exec_lo, s9
	s_cbranch_vccz .LBB59_34
; %bb.1:
	s_lshl_b32 s0, s10, 12
                                        ; implicit-def: $vgpr1_vgpr2
	s_delay_alu instid0(SALU_CYCLE_1) | instskip(SKIP_1) | instid1(VALU_DEP_1)
	s_sub_i32 s3, s8, s0
	v_add_co_u32 v3, s0, s4, v5
	v_add_co_ci_u32_e64 v4, null, s5, 0, s0
	v_cmp_gt_u32_e64 s2, s3, v0
	s_delay_alu instid0(VALU_DEP_1)
	s_and_saveexec_b32 s0, s2
	s_cbranch_execz .LBB59_3
; %bb.2:
	global_load_d16_b16 v1, v[3:4], off
.LBB59_3:
	s_or_b32 exec_lo, exec_lo, s0
	v_or_b32_e32 v6, 0x400, v0
	s_delay_alu instid0(VALU_DEP_1) | instskip(NEXT) | instid1(VALU_DEP_1)
	v_cmp_gt_u32_e64 s1, s3, v6
	s_and_saveexec_b32 s0, s1
	s_cbranch_execz .LBB59_5
; %bb.4:
	global_load_d16_hi_b16 v1, v[3:4], off offset:2048
.LBB59_5:
	s_or_b32 exec_lo, exec_lo, s0
	v_or_b32_e32 v6, 0x800, v0
	s_delay_alu instid0(VALU_DEP_1) | instskip(NEXT) | instid1(VALU_DEP_1)
	v_cmp_gt_u32_e64 s0, s3, v6
	s_and_saveexec_b32 s8, s0
	s_cbranch_execz .LBB59_7
; %bb.6:
	v_add_co_u32 v6, vcc_lo, 0x1000, v3
	v_add_co_ci_u32_e32 v7, vcc_lo, 0, v4, vcc_lo
	global_load_d16_b16 v2, v[6:7], off
.LBB59_7:
	s_or_b32 exec_lo, exec_lo, s8
	v_or_b32_e32 v6, 0xc00, v0
	s_delay_alu instid0(VALU_DEP_1)
	v_cmp_gt_u32_e32 vcc_lo, s3, v6
	s_and_saveexec_b32 s8, vcc_lo
	s_cbranch_execz .LBB59_9
; %bb.8:
	v_add_co_u32 v3, s3, 0x1000, v3
	s_delay_alu instid0(VALU_DEP_1)
	v_add_co_ci_u32_e64 v4, s3, 0, v4, s3
	global_load_d16_hi_b16 v2, v[3:4], off offset:2048
.LBB59_9:
	s_or_b32 exec_lo, exec_lo, s8
	v_or_b32_e32 v3, 0xfffffc00, v0
	v_lshlrev_b32_e32 v4, 2, v0
	v_mov_b32_e32 v6, 0
	s_mov_b32 s3, 0
.LBB59_10:                              ; =>This Inner Loop Header: Depth=1
	s_delay_alu instid0(VALU_DEP_3) | instskip(NEXT) | instid1(VALU_DEP_1)
	v_add_co_u32 v3, s8, 0x400, v3
	s_xor_b32 s8, s8, -1
	ds_store_b32 v4, v6
	v_add_nc_u32_e32 v4, 0x1000, v4
	s_and_b32 s8, exec_lo, s8
	s_delay_alu instid0(SALU_CYCLE_1) | instskip(NEXT) | instid1(SALU_CYCLE_1)
	s_or_b32 s3, s8, s3
	s_and_not1_b32 exec_lo, exec_lo, s3
	s_cbranch_execnz .LBB59_10
; %bb.11:
	s_or_b32 exec_lo, exec_lo, s3
	s_cmp_gt_u32 s13, s12
	s_waitcnt vmcnt(0) lgkmcnt(0)
	s_cselect_b32 s3, -1, 0
	s_cmp_le_u32 s13, s12
	s_barrier
	buffer_gl0_inv
	s_cbranch_scc1 .LBB59_28
; %bb.12:
	v_dual_mov_b32 v6, 1 :: v_dual_and_b32 v3, 3, v0
	v_xor_b32_e32 v4, 0x7fff, v1
	s_sub_i32 s8, s13, s12
	s_mov_b32 s10, s12
	s_delay_alu instid0(VALU_DEP_2) | instskip(SKIP_1) | instid1(VALU_DEP_1)
	v_lshlrev_b32_e32 v3, 2, v3
	s_mov_b32 s9, s8
	v_dual_mov_b32 v7, v3 :: v_dual_and_b32 v4, 0xffff, v4
	s_branch .LBB59_14
	.p2align	6
.LBB59_13:                              ;   in Loop: Header=BB59_14 Depth=1
	s_or_b32 exec_lo, exec_lo, s11
	v_add_nc_u32_e32 v7, 0x1000, v7
	s_add_i32 s10, s10, 8
	s_add_i32 s9, s9, -8
	s_cmp_ge_u32 s10, s13
	s_cbranch_scc1 .LBB59_16
.LBB59_14:                              ; =>This Inner Loop Header: Depth=1
	s_and_saveexec_b32 s11, s2
	s_cbranch_execz .LBB59_13
; %bb.15:                               ;   in Loop: Header=BB59_14 Depth=1
	s_delay_alu instid0(VALU_DEP_1)
	v_lshrrev_b32_e32 v8, s10, v4
	s_min_u32 s14, s9, 8
	s_delay_alu instid0(VALU_DEP_1) | instid1(SALU_CYCLE_1)
	v_bfe_u32 v8, v8, 0, s14
	s_delay_alu instid0(VALU_DEP_1)
	v_lshl_add_u32 v8, v8, 4, v7
	ds_add_u32 v8, v6
	s_branch .LBB59_13
.LBB59_16:
	v_lshrrev_b32_e32 v1, 16, v1
	v_mov_b32_e32 v6, v3
	s_mov_b32 s2, s8
	s_mov_b32 s9, s12
	s_delay_alu instid0(VALU_DEP_2) | instskip(NEXT) | instid1(VALU_DEP_1)
	v_xor_b32_e32 v4, 0x7fff, v1
	v_dual_mov_b32 v1, 1 :: v_dual_and_b32 v4, 0xffff, v4
	s_branch .LBB59_18
	.p2align	6
.LBB59_17:                              ;   in Loop: Header=BB59_18 Depth=1
	s_or_b32 exec_lo, exec_lo, s10
	v_add_nc_u32_e32 v6, 0x1000, v6
	s_add_i32 s9, s9, 8
	s_add_i32 s2, s2, -8
	s_cmp_lt_u32 s9, s13
	s_cbranch_scc0 .LBB59_20
.LBB59_18:                              ; =>This Inner Loop Header: Depth=1
	s_and_saveexec_b32 s10, s1
	s_cbranch_execz .LBB59_17
; %bb.19:                               ;   in Loop: Header=BB59_18 Depth=1
	s_delay_alu instid0(VALU_DEP_1)
	v_lshrrev_b32_e32 v7, s9, v4
	s_min_u32 s11, s2, 8
	s_delay_alu instid0(VALU_DEP_1) | instid1(SALU_CYCLE_1)
	v_bfe_u32 v7, v7, 0, s11
	s_delay_alu instid0(VALU_DEP_1)
	v_lshl_add_u32 v7, v7, 4, v6
	ds_add_u32 v7, v1
	s_branch .LBB59_17
.LBB59_20:
	v_xor_b32_e32 v4, 0x7fff, v2
	v_dual_mov_b32 v1, 1 :: v_dual_mov_b32 v6, v3
	s_mov_b32 s1, s8
	s_mov_b32 s2, s12
	s_delay_alu instid0(VALU_DEP_2)
	v_and_b32_e32 v4, 0xffff, v4
	s_branch .LBB59_22
	.p2align	6
.LBB59_21:                              ;   in Loop: Header=BB59_22 Depth=1
	s_or_b32 exec_lo, exec_lo, s9
	v_add_nc_u32_e32 v6, 0x1000, v6
	s_add_i32 s2, s2, 8
	s_add_i32 s1, s1, -8
	s_cmp_lt_u32 s2, s13
	s_cbranch_scc0 .LBB59_24
.LBB59_22:                              ; =>This Inner Loop Header: Depth=1
	s_and_saveexec_b32 s9, s0
	s_cbranch_execz .LBB59_21
; %bb.23:                               ;   in Loop: Header=BB59_22 Depth=1
	s_delay_alu instid0(VALU_DEP_1)
	v_lshrrev_b32_e32 v7, s2, v4
	s_min_u32 s10, s1, 8
	s_delay_alu instid0(VALU_DEP_1) | instid1(SALU_CYCLE_1)
	v_bfe_u32 v7, v7, 0, s10
	s_delay_alu instid0(VALU_DEP_1)
	v_lshl_add_u32 v7, v7, 4, v6
	ds_add_u32 v7, v1
	s_branch .LBB59_21
.LBB59_24:
	v_lshrrev_b32_e32 v1, 16, v2
	s_mov_b32 s0, s12
	v_mov_b32_e32 v2, 1
	s_delay_alu instid0(VALU_DEP_2) | instskip(NEXT) | instid1(VALU_DEP_1)
	v_xor_b32_e32 v1, 0x7fff, v1
	v_and_b32_e32 v1, 0xffff, v1
	s_branch .LBB59_26
	.p2align	6
.LBB59_25:                              ;   in Loop: Header=BB59_26 Depth=1
	s_or_b32 exec_lo, exec_lo, s1
	v_add_nc_u32_e32 v3, 0x1000, v3
	s_add_i32 s0, s0, 8
	s_add_i32 s8, s8, -8
	s_cmp_lt_u32 s0, s13
	s_cbranch_scc0 .LBB59_28
.LBB59_26:                              ; =>This Inner Loop Header: Depth=1
	s_and_saveexec_b32 s1, vcc_lo
	s_cbranch_execz .LBB59_25
; %bb.27:                               ;   in Loop: Header=BB59_26 Depth=1
	s_delay_alu instid0(VALU_DEP_1)
	v_lshrrev_b32_e32 v4, s0, v1
	s_min_u32 s2, s8, 8
	s_delay_alu instid0(VALU_DEP_1) | instid1(SALU_CYCLE_1)
	v_bfe_u32 v4, v4, 0, s2
	s_delay_alu instid0(VALU_DEP_1)
	v_lshl_add_u32 v4, v4, 4, v3
	ds_add_u32 v4, v2
	s_branch .LBB59_25
.LBB59_28:
	s_and_b32 vcc_lo, exec_lo, s3
	s_waitcnt lgkmcnt(0)
	s_barrier
	buffer_gl0_inv
	s_cbranch_vccz .LBB59_33
; %bb.29:
	v_cmp_gt_u32_e32 vcc_lo, 0x100, v0
	v_dual_mov_b32 v2, 0 :: v_dual_lshlrev_b32 v3, 4, v0
	v_mov_b32_e32 v1, v0
	s_mov_b32 s1, s12
	s_set_inst_prefetch_distance 0x1
	s_branch .LBB59_31
	.p2align	6
.LBB59_30:                              ;   in Loop: Header=BB59_31 Depth=1
	s_or_b32 exec_lo, exec_lo, s2
	v_add_nc_u32_e32 v1, 0x100, v1
	v_add_nc_u32_e32 v3, 0x1000, v3
	s_add_i32 s1, s1, 8
	s_delay_alu instid0(SALU_CYCLE_1)
	s_cmp_lt_u32 s1, s13
	s_cbranch_scc0 .LBB59_33
.LBB59_31:                              ; =>This Inner Loop Header: Depth=1
	s_and_saveexec_b32 s2, vcc_lo
	s_cbranch_execz .LBB59_30
; %bb.32:                               ;   in Loop: Header=BB59_31 Depth=1
	ds_load_2addr_b32 v[6:7], v3 offset1:1
	ds_load_2addr_b32 v[8:9], v3 offset0:2 offset1:3
	v_lshlrev_b64 v[10:11], 3, v[1:2]
	s_waitcnt lgkmcnt(1)
	v_add_nc_u32_e32 v4, v7, v6
	s_delay_alu instid0(VALU_DEP_2) | instskip(NEXT) | instid1(VALU_DEP_1)
	v_add_co_u32 v6, s0, s6, v10
	v_add_co_ci_u32_e64 v7, s0, s7, v11, s0
	s_waitcnt lgkmcnt(0)
	s_delay_alu instid0(VALU_DEP_3)
	v_add3_u32 v8, v4, v8, v9
	v_mov_b32_e32 v9, v2
	global_atomic_add_u64 v[6:7], v[8:9], off
	s_branch .LBB59_30
.LBB59_33:
	s_set_inst_prefetch_distance 0x2
	s_mov_b32 s0, 0
.LBB59_34:
	s_delay_alu instid0(SALU_CYCLE_1)
	s_and_b32 vcc_lo, exec_lo, s0
	s_cbranch_vccz .LBB59_58
; %bb.35:
	v_add_co_u32 v1, s0, s4, v5
	s_delay_alu instid0(VALU_DEP_1) | instskip(SKIP_1) | instid1(VALU_DEP_2)
	v_add_co_ci_u32_e64 v2, null, s5, 0, s0
	s_cmp_eq_u32 s12, 0
	v_add_co_u32 v1, vcc_lo, 0x1000, v1
	s_delay_alu instid0(VALU_DEP_2)
	v_add_co_ci_u32_e32 v2, vcc_lo, 0, v2, vcc_lo
	s_cselect_b32 s0, -1, 0
	s_cmp_eq_u32 s13, 16
	s_clause 0x3
	global_load_u16 v7, v5, s[4:5] offset:2048
	global_load_u16 v6, v[1:2], off
	global_load_u16 v5, v5, s[4:5]
	global_load_u16 v4, v[1:2], off offset:2048
	s_cselect_b32 s1, -1, 0
	v_or_b32_e32 v8, 0xfffffc00, v0
	v_lshlrev_b32_e32 v3, 2, v0
	s_and_b32 s1, s0, s1
	s_mov_b32 s0, 0
	s_and_b32 vcc_lo, exec_lo, s1
	s_mov_b32 s1, -1
	s_cbranch_vccnz .LBB59_53
; %bb.36:
	v_or_b32_e32 v1, 0xfffffc00, v0
	v_dual_mov_b32 v9, 0 :: v_dual_lshlrev_b32 v2, 2, v0
.LBB59_37:                              ; =>This Inner Loop Header: Depth=1
	s_delay_alu instid0(VALU_DEP_2) | instskip(NEXT) | instid1(VALU_DEP_1)
	v_add_co_u32 v1, s1, 0x400, v1
	s_xor_b32 s1, s1, -1
	ds_store_b32 v2, v9
	v_add_nc_u32_e32 v2, 0x1000, v2
	s_and_b32 s1, exec_lo, s1
	s_delay_alu instid0(SALU_CYCLE_1) | instskip(NEXT) | instid1(SALU_CYCLE_1)
	s_or_b32 s0, s1, s0
	s_and_not1_b32 exec_lo, exec_lo, s0
	s_cbranch_execnz .LBB59_37
; %bb.38:
	s_or_b32 exec_lo, exec_lo, s0
	s_cmp_gt_u32 s13, s12
	s_waitcnt vmcnt(0) lgkmcnt(0)
	s_waitcnt_vscnt null, 0x0
	s_cselect_b32 s0, -1, 0
	s_cmp_le_u32 s13, s12
	s_barrier
	buffer_gl0_inv
	s_cbranch_scc1 .LBB59_47
; %bb.39:
	v_and_b32_e32 v1, 3, v0
	v_xor_b32_e32 v2, 0x7fff, v5
	s_sub_i32 s1, s13, s12
	s_mov_b32 s3, s12
	s_mov_b32 s2, s1
	v_lshlrev_b32_e32 v1, 2, v1
	v_dual_mov_b32 v9, 1 :: v_dual_and_b32 v2, 0xffff, v2
	s_delay_alu instid0(VALU_DEP_2)
	v_mov_b32_e32 v10, v1
.LBB59_40:                              ; =>This Inner Loop Header: Depth=1
	s_delay_alu instid0(VALU_DEP_2)
	v_lshrrev_b32_e32 v11, s3, v2
	s_min_u32 s4, s2, 8
	s_add_i32 s3, s3, 8
	s_add_i32 s2, s2, -8
	s_cmp_ge_u32 s3, s13
	v_bfe_u32 v11, v11, 0, s4
	s_delay_alu instid0(VALU_DEP_1)
	v_lshl_add_u32 v11, v11, 4, v10
	v_add_nc_u32_e32 v10, 0x1000, v10
	ds_add_u32 v11, v9
	s_cbranch_scc0 .LBB59_40
; %bb.41:
	v_xor_b32_e32 v9, 0x7fff, v7
	v_mov_b32_e32 v2, 1
	v_mov_b32_e32 v10, v1
	s_mov_b32 s2, s1
	s_mov_b32 s3, s12
	v_and_b32_e32 v9, 0xffff, v9
.LBB59_42:                              ; =>This Inner Loop Header: Depth=1
	s_delay_alu instid0(VALU_DEP_1)
	v_lshrrev_b32_e32 v11, s3, v9
	s_min_u32 s4, s2, 8
	s_add_i32 s3, s3, 8
	s_add_i32 s2, s2, -8
	s_cmp_lt_u32 s3, s13
	v_bfe_u32 v11, v11, 0, s4
	s_delay_alu instid0(VALU_DEP_1)
	v_lshl_add_u32 v11, v11, 4, v10
	v_add_nc_u32_e32 v10, 0x1000, v10
	ds_add_u32 v11, v2
	s_cbranch_scc1 .LBB59_42
; %bb.43:
	v_xor_b32_e32 v9, 0x7fff, v6
	v_mov_b32_e32 v2, 1
	v_mov_b32_e32 v10, v1
	s_mov_b32 s2, s1
	s_mov_b32 s3, s12
	v_and_b32_e32 v9, 0xffff, v9
.LBB59_44:                              ; =>This Inner Loop Header: Depth=1
	s_delay_alu instid0(VALU_DEP_1)
	v_lshrrev_b32_e32 v11, s3, v9
	s_min_u32 s4, s2, 8
	s_add_i32 s3, s3, 8
	s_add_i32 s2, s2, -8
	s_cmp_lt_u32 s3, s13
	v_bfe_u32 v11, v11, 0, s4
	s_delay_alu instid0(VALU_DEP_1)
	v_lshl_add_u32 v11, v11, 4, v10
	v_add_nc_u32_e32 v10, 0x1000, v10
	ds_add_u32 v11, v2
	s_cbranch_scc1 .LBB59_44
; %bb.45:
	v_xor_b32_e32 v2, 0x7fff, v4
	s_mov_b32 s2, s12
	s_delay_alu instid0(VALU_DEP_1)
	v_dual_mov_b32 v9, 1 :: v_dual_and_b32 v2, 0xffff, v2
.LBB59_46:                              ; =>This Inner Loop Header: Depth=1
	s_delay_alu instid0(VALU_DEP_1)
	v_lshrrev_b32_e32 v10, s2, v2
	s_min_u32 s3, s1, 8
	s_add_i32 s2, s2, 8
	s_add_i32 s1, s1, -8
	s_cmp_lt_u32 s2, s13
	v_bfe_u32 v10, v10, 0, s3
	s_delay_alu instid0(VALU_DEP_1)
	v_lshl_add_u32 v10, v10, 4, v1
	v_add_nc_u32_e32 v1, 0x1000, v1
	ds_add_u32 v10, v9
	s_cbranch_scc1 .LBB59_46
.LBB59_47:
	s_and_b32 vcc_lo, exec_lo, s0
	s_waitcnt lgkmcnt(0)
	s_barrier
	buffer_gl0_inv
	s_cbranch_vccz .LBB59_52
; %bb.48:
	v_cmp_gt_u32_e32 vcc_lo, 0x100, v0
	v_dual_mov_b32 v2, 0 :: v_dual_lshlrev_b32 v9, 4, v0
	v_mov_b32_e32 v1, v0
	s_set_inst_prefetch_distance 0x1
	s_branch .LBB59_50
	.p2align	6
.LBB59_49:                              ;   in Loop: Header=BB59_50 Depth=1
	s_or_b32 exec_lo, exec_lo, s1
	v_add_nc_u32_e32 v1, 0x100, v1
	v_add_nc_u32_e32 v9, 0x1000, v9
	s_add_i32 s12, s12, 8
	s_delay_alu instid0(SALU_CYCLE_1)
	s_cmp_ge_u32 s12, s13
	s_cbranch_scc1 .LBB59_52
.LBB59_50:                              ; =>This Inner Loop Header: Depth=1
	s_and_saveexec_b32 s1, vcc_lo
	s_cbranch_execz .LBB59_49
; %bb.51:                               ;   in Loop: Header=BB59_50 Depth=1
	ds_load_2addr_b32 v[10:11], v9 offset1:1
	ds_load_2addr_b32 v[12:13], v9 offset0:2 offset1:3
	v_lshlrev_b64 v[14:15], 3, v[1:2]
	s_waitcnt lgkmcnt(1)
	v_add_nc_u32_e32 v16, v11, v10
	s_delay_alu instid0(VALU_DEP_2) | instskip(NEXT) | instid1(VALU_DEP_1)
	v_add_co_u32 v10, s0, s6, v14
	v_add_co_ci_u32_e64 v11, s0, s7, v15, s0
	s_waitcnt lgkmcnt(0)
	s_delay_alu instid0(VALU_DEP_3)
	v_add3_u32 v12, v16, v12, v13
	v_mov_b32_e32 v13, v2
	global_atomic_add_u64 v[10:11], v[12:13], off
	s_branch .LBB59_49
.LBB59_52:
	s_set_inst_prefetch_distance 0x2
	s_mov_b32 s1, 0
.LBB59_53:
	s_delay_alu instid0(SALU_CYCLE_1)
	s_and_b32 vcc_lo, exec_lo, s1
	s_cbranch_vccz .LBB59_58
; %bb.54:
	v_dual_mov_b32 v1, 0 :: v_dual_mov_b32 v2, v3
	s_mov_b32 s0, 0
.LBB59_55:                              ; =>This Inner Loop Header: Depth=1
	v_add_co_u32 v8, s1, 0x400, v8
	s_delay_alu instid0(VALU_DEP_1) | instskip(SKIP_3) | instid1(SALU_CYCLE_1)
	s_xor_b32 s1, s1, -1
	ds_store_b32 v2, v1
	v_add_nc_u32_e32 v2, 0x1000, v2
	s_and_b32 s1, exec_lo, s1
	s_or_b32 s0, s1, s0
	s_delay_alu instid0(SALU_CYCLE_1)
	s_and_not1_b32 exec_lo, exec_lo, s0
	s_cbranch_execnz .LBB59_55
; %bb.56:
	s_or_b32 exec_lo, exec_lo, s0
	s_waitcnt vmcnt(1)
	v_xor_b32_e32 v1, 0x7fff, v5
	v_xor_b32_e32 v2, 0x7fff, v7
	v_xor_b32_e32 v5, 0x7fff, v6
	v_and_b32_e32 v6, 3, v0
	s_waitcnt vmcnt(0)
	v_xor_b32_e32 v4, 0x7fff, v4
	v_and_b32_e32 v1, 0xffff, v1
	v_dual_mov_b32 v9, 1 :: v_dual_and_b32 v2, 0xffff, v2
	v_and_b32_e32 v5, 0xffff, v5
	s_delay_alu instid0(VALU_DEP_4) | instskip(NEXT) | instid1(VALU_DEP_4)
	v_and_b32_e32 v4, 0xffff, v4
	v_lshlrev_b32_e32 v7, 2, v1
	v_lshrrev_b32_e32 v1, 6, v1
	v_lshlrev_b32_e32 v8, 2, v2
	v_lshrrev_b32_e32 v2, 6, v2
	v_lshlrev_b32_e32 v10, 2, v5
	v_and_or_b32 v7, 0x3fc, v7, v6
	v_and_or_b32 v1, 0x3fc, v1, v6
	;; [unrolled: 1-line block ×3, first 2 shown]
	v_lshrrev_b32_e32 v5, 6, v5
	s_waitcnt lgkmcnt(0)
	s_waitcnt_vscnt null, 0x0
	v_lshlrev_b32_e32 v7, 2, v7
	v_lshlrev_b32_e32 v1, 2, v1
	;; [unrolled: 1-line block ×3, first 2 shown]
	s_barrier
	buffer_gl0_inv
	ds_add_u32 v7, v9
	ds_add_u32 v1, v9 offset:4096
	ds_add_u32 v8, v9
	v_lshlrev_b32_e32 v1, 2, v4
	v_lshrrev_b32_e32 v4, 6, v4
	v_and_or_b32 v2, 0x3fc, v2, v6
	v_and_or_b32 v7, 0x3fc, v10, v6
	;; [unrolled: 1-line block ×5, first 2 shown]
	v_lshlrev_b32_e32 v2, 2, v2
	v_lshlrev_b32_e32 v6, 2, v7
	;; [unrolled: 1-line block ×5, first 2 shown]
	ds_add_u32 v2, v9 offset:4096
	ds_add_u32 v6, v9
	ds_add_u32 v5, v9 offset:4096
	ds_add_u32 v1, v9
	ds_add_u32 v4, v9 offset:4096
	s_waitcnt lgkmcnt(0)
	s_barrier
	buffer_gl0_inv
	s_mov_b32 s0, exec_lo
	v_cmpx_gt_u32_e32 0x100, v0
	s_cbranch_execz .LBB59_58
; %bb.57:
	v_lshlrev_b32_e32 v5, 2, v3
	v_lshlrev_b32_e32 v6, 3, v0
	ds_load_2addr_b32 v[1:2], v5 offset1:1
	ds_load_2addr_b32 v[3:4], v5 offset0:2 offset1:3
	s_waitcnt lgkmcnt(1)
	v_dual_mov_b32 v1, 0 :: v_dual_add_nc_u32 v2, v2, v1
	s_waitcnt lgkmcnt(0)
	s_delay_alu instid0(VALU_DEP_1)
	v_add3_u32 v0, v2, v3, v4
	v_add_nc_u32_e32 v2, 0x1000, v5
	global_atomic_add_u64 v6, v[0:1], s[6:7]
	v_add_nc_u32_e32 v0, 0x1008, v5
	ds_load_2addr_b32 v[2:3], v2 offset1:1
	ds_load_2addr_b32 v[4:5], v0 offset1:1
	s_waitcnt lgkmcnt(1)
	v_add_nc_u32_e32 v0, v3, v2
	s_waitcnt lgkmcnt(0)
	s_delay_alu instid0(VALU_DEP_1)
	v_add3_u32 v0, v0, v4, v5
	global_atomic_add_u64 v6, v[0:1], s[6:7] offset:2048
.LBB59_58:
	s_nop 0
	s_sendmsg sendmsg(MSG_DEALLOC_VGPRS)
	s_endpgm
	.section	.rodata,"a",@progbits
	.p2align	6, 0x0
	.amdhsa_kernel _ZN7rocprim17ROCPRIM_304000_NS6detail26onesweep_histograms_kernelINS1_34wrapped_radix_sort_onesweep_configINS0_14default_configEsN2at4cuda3cub6detail10OpaqueTypeILi8EEEEELb1EPKsmNS0_19identity_decomposerEEEvT1_PT2_SG_SG_T3_jj
		.amdhsa_group_segment_fixed_size 8192
		.amdhsa_private_segment_fixed_size 0
		.amdhsa_kernarg_size 44
		.amdhsa_user_sgpr_count 15
		.amdhsa_user_sgpr_dispatch_ptr 0
		.amdhsa_user_sgpr_queue_ptr 0
		.amdhsa_user_sgpr_kernarg_segment_ptr 1
		.amdhsa_user_sgpr_dispatch_id 0
		.amdhsa_user_sgpr_private_segment_size 0
		.amdhsa_wavefront_size32 1
		.amdhsa_uses_dynamic_stack 0
		.amdhsa_enable_private_segment 0
		.amdhsa_system_sgpr_workgroup_id_x 1
		.amdhsa_system_sgpr_workgroup_id_y 0
		.amdhsa_system_sgpr_workgroup_id_z 0
		.amdhsa_system_sgpr_workgroup_info 0
		.amdhsa_system_vgpr_workitem_id 0
		.amdhsa_next_free_vgpr 17
		.amdhsa_next_free_sgpr 16
		.amdhsa_reserve_vcc 1
		.amdhsa_float_round_mode_32 0
		.amdhsa_float_round_mode_16_64 0
		.amdhsa_float_denorm_mode_32 3
		.amdhsa_float_denorm_mode_16_64 3
		.amdhsa_dx10_clamp 1
		.amdhsa_ieee_mode 1
		.amdhsa_fp16_overflow 0
		.amdhsa_workgroup_processor_mode 1
		.amdhsa_memory_ordered 1
		.amdhsa_forward_progress 0
		.amdhsa_shared_vgpr_count 0
		.amdhsa_exception_fp_ieee_invalid_op 0
		.amdhsa_exception_fp_denorm_src 0
		.amdhsa_exception_fp_ieee_div_zero 0
		.amdhsa_exception_fp_ieee_overflow 0
		.amdhsa_exception_fp_ieee_underflow 0
		.amdhsa_exception_fp_ieee_inexact 0
		.amdhsa_exception_int_div_zero 0
	.end_amdhsa_kernel
	.section	.text._ZN7rocprim17ROCPRIM_304000_NS6detail26onesweep_histograms_kernelINS1_34wrapped_radix_sort_onesweep_configINS0_14default_configEsN2at4cuda3cub6detail10OpaqueTypeILi8EEEEELb1EPKsmNS0_19identity_decomposerEEEvT1_PT2_SG_SG_T3_jj,"axG",@progbits,_ZN7rocprim17ROCPRIM_304000_NS6detail26onesweep_histograms_kernelINS1_34wrapped_radix_sort_onesweep_configINS0_14default_configEsN2at4cuda3cub6detail10OpaqueTypeILi8EEEEELb1EPKsmNS0_19identity_decomposerEEEvT1_PT2_SG_SG_T3_jj,comdat
.Lfunc_end59:
	.size	_ZN7rocprim17ROCPRIM_304000_NS6detail26onesweep_histograms_kernelINS1_34wrapped_radix_sort_onesweep_configINS0_14default_configEsN2at4cuda3cub6detail10OpaqueTypeILi8EEEEELb1EPKsmNS0_19identity_decomposerEEEvT1_PT2_SG_SG_T3_jj, .Lfunc_end59-_ZN7rocprim17ROCPRIM_304000_NS6detail26onesweep_histograms_kernelINS1_34wrapped_radix_sort_onesweep_configINS0_14default_configEsN2at4cuda3cub6detail10OpaqueTypeILi8EEEEELb1EPKsmNS0_19identity_decomposerEEEvT1_PT2_SG_SG_T3_jj
                                        ; -- End function
	.section	.AMDGPU.csdata,"",@progbits
; Kernel info:
; codeLenInByte = 2512
; NumSgprs: 18
; NumVgprs: 17
; ScratchSize: 0
; MemoryBound: 0
; FloatMode: 240
; IeeeMode: 1
; LDSByteSize: 8192 bytes/workgroup (compile time only)
; SGPRBlocks: 2
; VGPRBlocks: 2
; NumSGPRsForWavesPerEU: 18
; NumVGPRsForWavesPerEU: 17
; Occupancy: 16
; WaveLimiterHint : 1
; COMPUTE_PGM_RSRC2:SCRATCH_EN: 0
; COMPUTE_PGM_RSRC2:USER_SGPR: 15
; COMPUTE_PGM_RSRC2:TRAP_HANDLER: 0
; COMPUTE_PGM_RSRC2:TGID_X_EN: 1
; COMPUTE_PGM_RSRC2:TGID_Y_EN: 0
; COMPUTE_PGM_RSRC2:TGID_Z_EN: 0
; COMPUTE_PGM_RSRC2:TIDIG_COMP_CNT: 0
	.section	.text._ZN7rocprim17ROCPRIM_304000_NS6detail31onesweep_scan_histograms_kernelINS1_34wrapped_radix_sort_onesweep_configINS0_14default_configEsN2at4cuda3cub6detail10OpaqueTypeILi8EEEEEmEEvPT0_,"axG",@progbits,_ZN7rocprim17ROCPRIM_304000_NS6detail31onesweep_scan_histograms_kernelINS1_34wrapped_radix_sort_onesweep_configINS0_14default_configEsN2at4cuda3cub6detail10OpaqueTypeILi8EEEEEmEEvPT0_,comdat
	.protected	_ZN7rocprim17ROCPRIM_304000_NS6detail31onesweep_scan_histograms_kernelINS1_34wrapped_radix_sort_onesweep_configINS0_14default_configEsN2at4cuda3cub6detail10OpaqueTypeILi8EEEEEmEEvPT0_ ; -- Begin function _ZN7rocprim17ROCPRIM_304000_NS6detail31onesweep_scan_histograms_kernelINS1_34wrapped_radix_sort_onesweep_configINS0_14default_configEsN2at4cuda3cub6detail10OpaqueTypeILi8EEEEEmEEvPT0_
	.globl	_ZN7rocprim17ROCPRIM_304000_NS6detail31onesweep_scan_histograms_kernelINS1_34wrapped_radix_sort_onesweep_configINS0_14default_configEsN2at4cuda3cub6detail10OpaqueTypeILi8EEEEEmEEvPT0_
	.p2align	8
	.type	_ZN7rocprim17ROCPRIM_304000_NS6detail31onesweep_scan_histograms_kernelINS1_34wrapped_radix_sort_onesweep_configINS0_14default_configEsN2at4cuda3cub6detail10OpaqueTypeILi8EEEEEmEEvPT0_,@function
_ZN7rocprim17ROCPRIM_304000_NS6detail31onesweep_scan_histograms_kernelINS1_34wrapped_radix_sort_onesweep_configINS0_14default_configEsN2at4cuda3cub6detail10OpaqueTypeILi8EEEEEmEEvPT0_: ; @_ZN7rocprim17ROCPRIM_304000_NS6detail31onesweep_scan_histograms_kernelINS1_34wrapped_radix_sort_onesweep_configINS0_14default_configEsN2at4cuda3cub6detail10OpaqueTypeILi8EEEEEmEEvPT0_
; %bb.0:
	s_load_b64 s[0:1], s[0:1], 0x0
	s_lshl_b32 s2, s15, 8
	s_mov_b32 s3, 0
	v_cmp_gt_u32_e32 vcc_lo, 0x100, v0
	s_lshl_b64 s[2:3], s[2:3], 3
	v_lshlrev_b32_e32 v5, 3, v0
                                        ; implicit-def: $vgpr1_vgpr2
	s_waitcnt lgkmcnt(0)
	s_add_u32 s8, s0, s2
	s_addc_u32 s9, s1, s3
	s_and_saveexec_b32 s0, vcc_lo
	s_cbranch_execz .LBB60_2
; %bb.1:
	global_load_b64 v[1:2], v5, s[8:9]
.LBB60_2:
	s_or_b32 exec_lo, exec_lo, s0
	v_mbcnt_lo_u32_b32 v6, -1, 0
	s_waitcnt vmcnt(0)
	v_mov_b32_dpp v8, v1 row_shr:1 row_mask:0xf bank_mask:0xf
	v_mov_b32_dpp v7, v2 row_shr:1 row_mask:0xf bank_mask:0xf
	s_delay_alu instid0(VALU_DEP_3) | instskip(NEXT) | instid1(VALU_DEP_1)
	v_dual_mov_b32 v3, v1 :: v_dual_and_b32 v4, 15, v6
	v_cmp_ne_u32_e64 s0, 0, v4
	s_delay_alu instid0(VALU_DEP_1)
	s_and_saveexec_b32 s2, s0
; %bb.3:
	v_add_co_u32 v3, s1, v1, v8
	s_delay_alu instid0(VALU_DEP_1) | instskip(NEXT) | instid1(VALU_DEP_2)
	v_add_co_ci_u32_e64 v2, s1, 0, v2, s1
	v_add_co_u32 v1, s1, 0, v3
	s_delay_alu instid0(VALU_DEP_1)
	v_add_co_ci_u32_e64 v2, s1, v7, v2, s1
; %bb.4:
	s_or_b32 exec_lo, exec_lo, s2
	v_mov_b32_dpp v8, v3 row_shr:2 row_mask:0xf bank_mask:0xf
	s_delay_alu instid0(VALU_DEP_2) | instskip(SKIP_1) | instid1(VALU_DEP_1)
	v_mov_b32_dpp v7, v2 row_shr:2 row_mask:0xf bank_mask:0xf
	v_cmp_lt_u32_e64 s1, 1, v4
	s_and_saveexec_b32 s3, s1
; %bb.5:
	s_delay_alu instid0(VALU_DEP_3) | instskip(NEXT) | instid1(VALU_DEP_1)
	v_add_co_u32 v3, s2, v1, v8
	v_add_co_ci_u32_e64 v2, s2, 0, v2, s2
	s_delay_alu instid0(VALU_DEP_2) | instskip(NEXT) | instid1(VALU_DEP_1)
	v_add_co_u32 v1, s2, 0, v3
	v_add_co_ci_u32_e64 v2, s2, v7, v2, s2
; %bb.6:
	s_or_b32 exec_lo, exec_lo, s3
	v_mov_b32_dpp v8, v3 row_shr:4 row_mask:0xf bank_mask:0xf
	s_delay_alu instid0(VALU_DEP_2) | instskip(SKIP_1) | instid1(VALU_DEP_1)
	v_mov_b32_dpp v7, v2 row_shr:4 row_mask:0xf bank_mask:0xf
	v_cmp_lt_u32_e64 s2, 3, v4
	s_and_saveexec_b32 s4, s2
; %bb.7:
	s_delay_alu instid0(VALU_DEP_3) | instskip(NEXT) | instid1(VALU_DEP_1)
	v_add_co_u32 v3, s3, v1, v8
	v_add_co_ci_u32_e64 v2, s3, 0, v2, s3
	s_delay_alu instid0(VALU_DEP_2) | instskip(NEXT) | instid1(VALU_DEP_1)
	v_add_co_u32 v1, s3, 0, v3
	v_add_co_ci_u32_e64 v2, s3, v7, v2, s3
; %bb.8:
	s_or_b32 exec_lo, exec_lo, s4
	v_mov_b32_dpp v8, v3 row_shr:8 row_mask:0xf bank_mask:0xf
	s_delay_alu instid0(VALU_DEP_2) | instskip(SKIP_1) | instid1(VALU_DEP_1)
	v_mov_b32_dpp v7, v2 row_shr:8 row_mask:0xf bank_mask:0xf
	v_cmp_lt_u32_e64 s3, 7, v4
	s_and_saveexec_b32 s5, s3
; %bb.9:
	s_delay_alu instid0(VALU_DEP_3) | instskip(NEXT) | instid1(VALU_DEP_1)
	v_add_co_u32 v3, s4, v1, v8
	v_add_co_ci_u32_e64 v2, s4, 0, v2, s4
	s_delay_alu instid0(VALU_DEP_2) | instskip(NEXT) | instid1(VALU_DEP_1)
	v_add_co_u32 v1, s4, 0, v3
	v_add_co_ci_u32_e64 v2, s4, v7, v2, s4
; %bb.10:
	s_or_b32 exec_lo, exec_lo, s5
	ds_swizzle_b32 v4, v3 offset:swizzle(BROADCAST,32,15)
	ds_swizzle_b32 v3, v2 offset:swizzle(BROADCAST,32,15)
	v_and_b32_e32 v7, 16, v6
	s_delay_alu instid0(VALU_DEP_1) | instskip(NEXT) | instid1(VALU_DEP_1)
	v_cmp_ne_u32_e64 s4, 0, v7
	s_and_saveexec_b32 s6, s4
	s_cbranch_execz .LBB60_12
; %bb.11:
	s_waitcnt lgkmcnt(1)
	v_add_co_u32 v1, s5, v1, v4
	s_delay_alu instid0(VALU_DEP_1) | instskip(NEXT) | instid1(VALU_DEP_2)
	v_add_co_ci_u32_e64 v2, s5, 0, v2, s5
	v_add_co_u32 v1, s5, v1, 0
	s_waitcnt lgkmcnt(0)
	s_delay_alu instid0(VALU_DEP_2)
	v_add_co_ci_u32_e64 v2, s5, v2, v3, s5
.LBB60_12:
	s_or_b32 exec_lo, exec_lo, s6
	s_waitcnt lgkmcnt(0)
	v_and_b32_e32 v3, 31, v0
	v_lshrrev_b32_e32 v7, 5, v0
	s_mov_b32 s6, exec_lo
	s_delay_alu instid0(VALU_DEP_2)
	v_cmpx_eq_u32_e32 31, v3
	s_cbranch_execz .LBB60_14
; %bb.13:
	s_delay_alu instid0(VALU_DEP_2)
	v_lshlrev_b32_e32 v3, 3, v7
	ds_store_b64 v3, v[1:2]
.LBB60_14:
	s_or_b32 exec_lo, exec_lo, s6
	v_cmp_lt_u32_e64 s5, 31, v0
	s_mov_b32 s7, exec_lo
	s_waitcnt lgkmcnt(0)
	s_barrier
	buffer_gl0_inv
	v_cmpx_gt_u32_e32 32, v0
	s_cbranch_execz .LBB60_26
; %bb.15:
	ds_load_b64 v[3:4], v5
	s_waitcnt lgkmcnt(0)
	v_mov_b32_dpp v9, v3 row_shr:1 row_mask:0xf bank_mask:0xf
	v_mov_b32_dpp v8, v4 row_shr:1 row_mask:0xf bank_mask:0xf
	v_mov_b32_e32 v0, v3
	s_and_saveexec_b32 s6, s0
; %bb.16:
	s_delay_alu instid0(VALU_DEP_3) | instskip(NEXT) | instid1(VALU_DEP_1)
	v_add_co_u32 v0, s0, v3, v9
	v_add_co_ci_u32_e64 v4, s0, 0, v4, s0
	s_delay_alu instid0(VALU_DEP_2) | instskip(NEXT) | instid1(VALU_DEP_1)
	v_add_co_u32 v3, s0, 0, v0
	v_add_co_ci_u32_e64 v4, s0, v8, v4, s0
; %bb.17:
	s_or_b32 exec_lo, exec_lo, s6
	v_mov_b32_dpp v9, v0 row_shr:2 row_mask:0xf bank_mask:0xf
	s_delay_alu instid0(VALU_DEP_2)
	v_mov_b32_dpp v8, v4 row_shr:2 row_mask:0xf bank_mask:0xf
	s_and_saveexec_b32 s6, s1
; %bb.18:
	s_delay_alu instid0(VALU_DEP_2) | instskip(NEXT) | instid1(VALU_DEP_1)
	v_add_co_u32 v0, s0, v3, v9
	v_add_co_ci_u32_e64 v4, s0, 0, v4, s0
	s_delay_alu instid0(VALU_DEP_2) | instskip(NEXT) | instid1(VALU_DEP_1)
	v_add_co_u32 v3, s0, 0, v0
	v_add_co_ci_u32_e64 v4, s0, v8, v4, s0
; %bb.19:
	s_or_b32 exec_lo, exec_lo, s6
	v_mov_b32_dpp v9, v0 row_shr:4 row_mask:0xf bank_mask:0xf
	s_delay_alu instid0(VALU_DEP_2)
	v_mov_b32_dpp v8, v4 row_shr:4 row_mask:0xf bank_mask:0xf
	s_and_saveexec_b32 s1, s2
; %bb.20:
	s_delay_alu instid0(VALU_DEP_2) | instskip(NEXT) | instid1(VALU_DEP_1)
	;; [unrolled: 13-line block ×3, first 2 shown]
	v_add_co_u32 v0, s0, v3, v9
	v_add_co_ci_u32_e64 v4, s0, 0, v4, s0
	s_delay_alu instid0(VALU_DEP_2) | instskip(NEXT) | instid1(VALU_DEP_1)
	v_add_co_u32 v3, s0, 0, v0
	v_add_co_ci_u32_e64 v4, s0, v8, v4, s0
; %bb.23:
	s_or_b32 exec_lo, exec_lo, s1
	ds_swizzle_b32 v8, v0 offset:swizzle(BROADCAST,32,15)
	ds_swizzle_b32 v0, v4 offset:swizzle(BROADCAST,32,15)
	s_and_saveexec_b32 s1, s4
	s_cbranch_execz .LBB60_25
; %bb.24:
	s_waitcnt lgkmcnt(1)
	v_add_co_u32 v3, s0, v3, v8
	s_delay_alu instid0(VALU_DEP_1) | instskip(NEXT) | instid1(VALU_DEP_2)
	v_add_co_ci_u32_e64 v4, s0, 0, v4, s0
	v_add_co_u32 v3, s0, v3, 0
	s_waitcnt lgkmcnt(0)
	s_delay_alu instid0(VALU_DEP_2)
	v_add_co_ci_u32_e64 v4, s0, v4, v0, s0
.LBB60_25:
	s_or_b32 exec_lo, exec_lo, s1
	ds_store_b64 v5, v[3:4]
.LBB60_26:
	s_or_b32 exec_lo, exec_lo, s7
	v_mov_b32_e32 v3, 0
	v_mov_b32_e32 v4, 0
	s_waitcnt lgkmcnt(0)
	s_barrier
	buffer_gl0_inv
	s_and_saveexec_b32 s0, s5
	s_cbranch_execz .LBB60_28
; %bb.27:
	v_lshl_add_u32 v0, v7, 3, -8
	ds_load_b64 v[3:4], v0
.LBB60_28:
	s_or_b32 exec_lo, exec_lo, s0
	v_add_nc_u32_e32 v0, -1, v6
	s_delay_alu instid0(VALU_DEP_1) | instskip(NEXT) | instid1(VALU_DEP_1)
	v_cmp_gt_i32_e64 s0, 0, v0
	v_cndmask_b32_e64 v0, v0, v6, s0
	s_delay_alu instid0(VALU_DEP_1) | instskip(SKIP_2) | instid1(VALU_DEP_1)
	v_lshlrev_b32_e32 v7, 2, v0
	s_waitcnt lgkmcnt(0)
	v_add_co_u32 v0, s0, v3, v1
	v_add_co_ci_u32_e64 v1, s0, v4, v2, s0
	ds_bpermute_b32 v0, v7, v0
	ds_bpermute_b32 v1, v7, v1
	s_and_saveexec_b32 s0, vcc_lo
	s_cbranch_execz .LBB60_30
; %bb.29:
	v_cmp_eq_u32_e32 vcc_lo, 0, v6
	s_waitcnt lgkmcnt(0)
	v_dual_cndmask_b32 v1, v1, v4 :: v_dual_cndmask_b32 v0, v0, v3
	global_store_b64 v5, v[0:1], s[8:9]
.LBB60_30:
	s_nop 0
	s_sendmsg sendmsg(MSG_DEALLOC_VGPRS)
	s_endpgm
	.section	.rodata,"a",@progbits
	.p2align	6, 0x0
	.amdhsa_kernel _ZN7rocprim17ROCPRIM_304000_NS6detail31onesweep_scan_histograms_kernelINS1_34wrapped_radix_sort_onesweep_configINS0_14default_configEsN2at4cuda3cub6detail10OpaqueTypeILi8EEEEEmEEvPT0_
		.amdhsa_group_segment_fixed_size 256
		.amdhsa_private_segment_fixed_size 0
		.amdhsa_kernarg_size 8
		.amdhsa_user_sgpr_count 15
		.amdhsa_user_sgpr_dispatch_ptr 0
		.amdhsa_user_sgpr_queue_ptr 0
		.amdhsa_user_sgpr_kernarg_segment_ptr 1
		.amdhsa_user_sgpr_dispatch_id 0
		.amdhsa_user_sgpr_private_segment_size 0
		.amdhsa_wavefront_size32 1
		.amdhsa_uses_dynamic_stack 0
		.amdhsa_enable_private_segment 0
		.amdhsa_system_sgpr_workgroup_id_x 1
		.amdhsa_system_sgpr_workgroup_id_y 0
		.amdhsa_system_sgpr_workgroup_id_z 0
		.amdhsa_system_sgpr_workgroup_info 0
		.amdhsa_system_vgpr_workitem_id 0
		.amdhsa_next_free_vgpr 10
		.amdhsa_next_free_sgpr 16
		.amdhsa_reserve_vcc 1
		.amdhsa_float_round_mode_32 0
		.amdhsa_float_round_mode_16_64 0
		.amdhsa_float_denorm_mode_32 3
		.amdhsa_float_denorm_mode_16_64 3
		.amdhsa_dx10_clamp 1
		.amdhsa_ieee_mode 1
		.amdhsa_fp16_overflow 0
		.amdhsa_workgroup_processor_mode 1
		.amdhsa_memory_ordered 1
		.amdhsa_forward_progress 0
		.amdhsa_shared_vgpr_count 0
		.amdhsa_exception_fp_ieee_invalid_op 0
		.amdhsa_exception_fp_denorm_src 0
		.amdhsa_exception_fp_ieee_div_zero 0
		.amdhsa_exception_fp_ieee_overflow 0
		.amdhsa_exception_fp_ieee_underflow 0
		.amdhsa_exception_fp_ieee_inexact 0
		.amdhsa_exception_int_div_zero 0
	.end_amdhsa_kernel
	.section	.text._ZN7rocprim17ROCPRIM_304000_NS6detail31onesweep_scan_histograms_kernelINS1_34wrapped_radix_sort_onesweep_configINS0_14default_configEsN2at4cuda3cub6detail10OpaqueTypeILi8EEEEEmEEvPT0_,"axG",@progbits,_ZN7rocprim17ROCPRIM_304000_NS6detail31onesweep_scan_histograms_kernelINS1_34wrapped_radix_sort_onesweep_configINS0_14default_configEsN2at4cuda3cub6detail10OpaqueTypeILi8EEEEEmEEvPT0_,comdat
.Lfunc_end60:
	.size	_ZN7rocprim17ROCPRIM_304000_NS6detail31onesweep_scan_histograms_kernelINS1_34wrapped_radix_sort_onesweep_configINS0_14default_configEsN2at4cuda3cub6detail10OpaqueTypeILi8EEEEEmEEvPT0_, .Lfunc_end60-_ZN7rocprim17ROCPRIM_304000_NS6detail31onesweep_scan_histograms_kernelINS1_34wrapped_radix_sort_onesweep_configINS0_14default_configEsN2at4cuda3cub6detail10OpaqueTypeILi8EEEEEmEEvPT0_
                                        ; -- End function
	.section	.AMDGPU.csdata,"",@progbits
; Kernel info:
; codeLenInByte = 1104
; NumSgprs: 18
; NumVgprs: 10
; ScratchSize: 0
; MemoryBound: 0
; FloatMode: 240
; IeeeMode: 1
; LDSByteSize: 256 bytes/workgroup (compile time only)
; SGPRBlocks: 2
; VGPRBlocks: 1
; NumSGPRsForWavesPerEU: 18
; NumVGPRsForWavesPerEU: 10
; Occupancy: 16
; WaveLimiterHint : 0
; COMPUTE_PGM_RSRC2:SCRATCH_EN: 0
; COMPUTE_PGM_RSRC2:USER_SGPR: 15
; COMPUTE_PGM_RSRC2:TRAP_HANDLER: 0
; COMPUTE_PGM_RSRC2:TGID_X_EN: 1
; COMPUTE_PGM_RSRC2:TGID_Y_EN: 0
; COMPUTE_PGM_RSRC2:TGID_Z_EN: 0
; COMPUTE_PGM_RSRC2:TIDIG_COMP_CNT: 0
	.section	.text._ZN7rocprim17ROCPRIM_304000_NS6detail16transform_kernelINS1_24wrapped_transform_configINS0_14default_configEsEEsPKsPsNS0_8identityIsEEEEvT1_mT2_T3_,"axG",@progbits,_ZN7rocprim17ROCPRIM_304000_NS6detail16transform_kernelINS1_24wrapped_transform_configINS0_14default_configEsEEsPKsPsNS0_8identityIsEEEEvT1_mT2_T3_,comdat
	.protected	_ZN7rocprim17ROCPRIM_304000_NS6detail16transform_kernelINS1_24wrapped_transform_configINS0_14default_configEsEEsPKsPsNS0_8identityIsEEEEvT1_mT2_T3_ ; -- Begin function _ZN7rocprim17ROCPRIM_304000_NS6detail16transform_kernelINS1_24wrapped_transform_configINS0_14default_configEsEEsPKsPsNS0_8identityIsEEEEvT1_mT2_T3_
	.globl	_ZN7rocprim17ROCPRIM_304000_NS6detail16transform_kernelINS1_24wrapped_transform_configINS0_14default_configEsEEsPKsPsNS0_8identityIsEEEEvT1_mT2_T3_
	.p2align	8
	.type	_ZN7rocprim17ROCPRIM_304000_NS6detail16transform_kernelINS1_24wrapped_transform_configINS0_14default_configEsEEsPKsPsNS0_8identityIsEEEEvT1_mT2_T3_,@function
_ZN7rocprim17ROCPRIM_304000_NS6detail16transform_kernelINS1_24wrapped_transform_configINS0_14default_configEsEEsPKsPsNS0_8identityIsEEEEvT1_mT2_T3_: ; @_ZN7rocprim17ROCPRIM_304000_NS6detail16transform_kernelINS1_24wrapped_transform_configINS0_14default_configEsEEsPKsPsNS0_8identityIsEEEEvT1_mT2_T3_
; %bb.0:
	s_clause 0x2
	s_load_b32 s10, s[0:1], 0x20
	s_load_b128 s[4:7], s[0:1], 0x0
	s_load_b64 s[2:3], s[0:1], 0x10
	s_mov_b32 s1, 0
	s_lshl_b32 s0, s15, 11
	v_lshlrev_b32_e32 v3, 1, v0
	s_lshl_b64 s[8:9], s[0:1], 1
	s_waitcnt lgkmcnt(0)
	s_add_i32 s10, s10, -1
	s_add_u32 s4, s4, s8
	s_addc_u32 s5, s5, s9
	v_add_co_u32 v1, s4, s4, v3
	s_delay_alu instid0(VALU_DEP_1)
	v_add_co_ci_u32_e64 v2, null, s5, 0, s4
	s_cmp_lg_u32 s15, s10
	s_mov_b32 s4, -1
	s_cbranch_scc0 .LBB61_2
; %bb.1:
	s_clause 0x1
	global_load_u16 v5, v[1:2], off
	global_load_u16 v4, v[1:2], off offset:2048
	s_add_u32 s10, s2, s8
	s_addc_u32 s11, s3, s9
	s_mov_b32 s1, -1
	s_waitcnt vmcnt(1)
	global_store_b16 v3, v5, s[10:11]
	s_cbranch_execz .LBB61_3
	s_branch .LBB61_10
.LBB61_2:
                                        ; implicit-def: $vgpr4
	s_and_not1_b32 vcc_lo, exec_lo, s4
	s_cbranch_vccnz .LBB61_10
.LBB61_3:
	s_sub_i32 s0, s6, s0
                                        ; implicit-def: $vgpr5
	s_delay_alu instid0(SALU_CYCLE_1)
	v_cmp_gt_u32_e32 vcc_lo, s0, v0
	s_and_saveexec_b32 s4, vcc_lo
	s_cbranch_execz .LBB61_5
; %bb.4:
	global_load_d16_b16 v5, v[1:2], off
.LBB61_5:
	s_or_b32 exec_lo, exec_lo, s4
	v_or_b32_e32 v0, 0x400, v0
	s_delay_alu instid0(VALU_DEP_1) | instskip(NEXT) | instid1(VALU_DEP_1)
	v_cmp_gt_u32_e64 s0, s0, v0
	s_and_saveexec_b32 s4, s0
	s_cbranch_execnz .LBB61_13
; %bb.6:
	s_or_b32 exec_lo, exec_lo, s4
	s_and_saveexec_b32 s4, vcc_lo
	s_cbranch_execnz .LBB61_14
.LBB61_7:
	s_or_b32 exec_lo, exec_lo, s4
                                        ; implicit-def: $vgpr4
	s_and_saveexec_b32 s4, s0
	s_cbranch_execz .LBB61_9
.LBB61_8:
	s_waitcnt vmcnt(0)
	v_lshrrev_b32_e32 v4, 16, v5
	s_or_b32 s1, s1, exec_lo
.LBB61_9:
	s_or_b32 exec_lo, exec_lo, s4
.LBB61_10:
	s_and_saveexec_b32 s0, s1
	s_cbranch_execnz .LBB61_12
; %bb.11:
	s_nop 0
	s_sendmsg sendmsg(MSG_DEALLOC_VGPRS)
	s_endpgm
.LBB61_12:
	s_add_u32 s0, s2, s8
	s_addc_u32 s1, s3, s9
	s_waitcnt vmcnt(0)
	global_store_b16 v3, v4, s[0:1] offset:2048
	s_nop 0
	s_sendmsg sendmsg(MSG_DEALLOC_VGPRS)
	s_endpgm
.LBB61_13:
	global_load_d16_hi_b16 v5, v[1:2], off offset:2048
	s_or_b32 exec_lo, exec_lo, s4
	s_and_saveexec_b32 s4, vcc_lo
	s_cbranch_execz .LBB61_7
.LBB61_14:
	s_add_u32 s6, s2, s8
	s_addc_u32 s7, s3, s9
	s_waitcnt vmcnt(0)
	global_store_b16 v3, v5, s[6:7]
	s_or_b32 exec_lo, exec_lo, s4
                                        ; implicit-def: $vgpr4
	s_and_saveexec_b32 s4, s0
	s_cbranch_execnz .LBB61_8
	s_branch .LBB61_9
	.section	.rodata,"a",@progbits
	.p2align	6, 0x0
	.amdhsa_kernel _ZN7rocprim17ROCPRIM_304000_NS6detail16transform_kernelINS1_24wrapped_transform_configINS0_14default_configEsEEsPKsPsNS0_8identityIsEEEEvT1_mT2_T3_
		.amdhsa_group_segment_fixed_size 0
		.amdhsa_private_segment_fixed_size 0
		.amdhsa_kernarg_size 288
		.amdhsa_user_sgpr_count 15
		.amdhsa_user_sgpr_dispatch_ptr 0
		.amdhsa_user_sgpr_queue_ptr 0
		.amdhsa_user_sgpr_kernarg_segment_ptr 1
		.amdhsa_user_sgpr_dispatch_id 0
		.amdhsa_user_sgpr_private_segment_size 0
		.amdhsa_wavefront_size32 1
		.amdhsa_uses_dynamic_stack 0
		.amdhsa_enable_private_segment 0
		.amdhsa_system_sgpr_workgroup_id_x 1
		.amdhsa_system_sgpr_workgroup_id_y 0
		.amdhsa_system_sgpr_workgroup_id_z 0
		.amdhsa_system_sgpr_workgroup_info 0
		.amdhsa_system_vgpr_workitem_id 0
		.amdhsa_next_free_vgpr 6
		.amdhsa_next_free_sgpr 16
		.amdhsa_reserve_vcc 1
		.amdhsa_float_round_mode_32 0
		.amdhsa_float_round_mode_16_64 0
		.amdhsa_float_denorm_mode_32 3
		.amdhsa_float_denorm_mode_16_64 3
		.amdhsa_dx10_clamp 1
		.amdhsa_ieee_mode 1
		.amdhsa_fp16_overflow 0
		.amdhsa_workgroup_processor_mode 1
		.amdhsa_memory_ordered 1
		.amdhsa_forward_progress 0
		.amdhsa_shared_vgpr_count 0
		.amdhsa_exception_fp_ieee_invalid_op 0
		.amdhsa_exception_fp_denorm_src 0
		.amdhsa_exception_fp_ieee_div_zero 0
		.amdhsa_exception_fp_ieee_overflow 0
		.amdhsa_exception_fp_ieee_underflow 0
		.amdhsa_exception_fp_ieee_inexact 0
		.amdhsa_exception_int_div_zero 0
	.end_amdhsa_kernel
	.section	.text._ZN7rocprim17ROCPRIM_304000_NS6detail16transform_kernelINS1_24wrapped_transform_configINS0_14default_configEsEEsPKsPsNS0_8identityIsEEEEvT1_mT2_T3_,"axG",@progbits,_ZN7rocprim17ROCPRIM_304000_NS6detail16transform_kernelINS1_24wrapped_transform_configINS0_14default_configEsEEsPKsPsNS0_8identityIsEEEEvT1_mT2_T3_,comdat
.Lfunc_end61:
	.size	_ZN7rocprim17ROCPRIM_304000_NS6detail16transform_kernelINS1_24wrapped_transform_configINS0_14default_configEsEEsPKsPsNS0_8identityIsEEEEvT1_mT2_T3_, .Lfunc_end61-_ZN7rocprim17ROCPRIM_304000_NS6detail16transform_kernelINS1_24wrapped_transform_configINS0_14default_configEsEEsPKsPsNS0_8identityIsEEEEvT1_mT2_T3_
                                        ; -- End function
	.section	.AMDGPU.csdata,"",@progbits
; Kernel info:
; codeLenInByte = 360
; NumSgprs: 18
; NumVgprs: 6
; ScratchSize: 0
; MemoryBound: 0
; FloatMode: 240
; IeeeMode: 1
; LDSByteSize: 0 bytes/workgroup (compile time only)
; SGPRBlocks: 2
; VGPRBlocks: 0
; NumSGPRsForWavesPerEU: 18
; NumVGPRsForWavesPerEU: 6
; Occupancy: 16
; WaveLimiterHint : 1
; COMPUTE_PGM_RSRC2:SCRATCH_EN: 0
; COMPUTE_PGM_RSRC2:USER_SGPR: 15
; COMPUTE_PGM_RSRC2:TRAP_HANDLER: 0
; COMPUTE_PGM_RSRC2:TGID_X_EN: 1
; COMPUTE_PGM_RSRC2:TGID_Y_EN: 0
; COMPUTE_PGM_RSRC2:TGID_Z_EN: 0
; COMPUTE_PGM_RSRC2:TIDIG_COMP_CNT: 0
	.section	.text._ZN7rocprim17ROCPRIM_304000_NS6detail25onesweep_iteration_kernelINS1_34wrapped_radix_sort_onesweep_configINS0_14default_configEsN2at4cuda3cub6detail10OpaqueTypeILi8EEEEELb1EPKsPsPKSA_PSA_mNS0_19identity_decomposerEEEvT1_T2_T3_T4_jPT5_SO_PNS1_23onesweep_lookback_stateET6_jjj,"axG",@progbits,_ZN7rocprim17ROCPRIM_304000_NS6detail25onesweep_iteration_kernelINS1_34wrapped_radix_sort_onesweep_configINS0_14default_configEsN2at4cuda3cub6detail10OpaqueTypeILi8EEEEELb1EPKsPsPKSA_PSA_mNS0_19identity_decomposerEEEvT1_T2_T3_T4_jPT5_SO_PNS1_23onesweep_lookback_stateET6_jjj,comdat
	.protected	_ZN7rocprim17ROCPRIM_304000_NS6detail25onesweep_iteration_kernelINS1_34wrapped_radix_sort_onesweep_configINS0_14default_configEsN2at4cuda3cub6detail10OpaqueTypeILi8EEEEELb1EPKsPsPKSA_PSA_mNS0_19identity_decomposerEEEvT1_T2_T3_T4_jPT5_SO_PNS1_23onesweep_lookback_stateET6_jjj ; -- Begin function _ZN7rocprim17ROCPRIM_304000_NS6detail25onesweep_iteration_kernelINS1_34wrapped_radix_sort_onesweep_configINS0_14default_configEsN2at4cuda3cub6detail10OpaqueTypeILi8EEEEELb1EPKsPsPKSA_PSA_mNS0_19identity_decomposerEEEvT1_T2_T3_T4_jPT5_SO_PNS1_23onesweep_lookback_stateET6_jjj
	.globl	_ZN7rocprim17ROCPRIM_304000_NS6detail25onesweep_iteration_kernelINS1_34wrapped_radix_sort_onesweep_configINS0_14default_configEsN2at4cuda3cub6detail10OpaqueTypeILi8EEEEELb1EPKsPsPKSA_PSA_mNS0_19identity_decomposerEEEvT1_T2_T3_T4_jPT5_SO_PNS1_23onesweep_lookback_stateET6_jjj
	.p2align	8
	.type	_ZN7rocprim17ROCPRIM_304000_NS6detail25onesweep_iteration_kernelINS1_34wrapped_radix_sort_onesweep_configINS0_14default_configEsN2at4cuda3cub6detail10OpaqueTypeILi8EEEEELb1EPKsPsPKSA_PSA_mNS0_19identity_decomposerEEEvT1_T2_T3_T4_jPT5_SO_PNS1_23onesweep_lookback_stateET6_jjj,@function
_ZN7rocprim17ROCPRIM_304000_NS6detail25onesweep_iteration_kernelINS1_34wrapped_radix_sort_onesweep_configINS0_14default_configEsN2at4cuda3cub6detail10OpaqueTypeILi8EEEEELb1EPKsPsPKSA_PSA_mNS0_19identity_decomposerEEEvT1_T2_T3_T4_jPT5_SO_PNS1_23onesweep_lookback_stateET6_jjj: ; @_ZN7rocprim17ROCPRIM_304000_NS6detail25onesweep_iteration_kernelINS1_34wrapped_radix_sort_onesweep_configINS0_14default_configEsN2at4cuda3cub6detail10OpaqueTypeILi8EEEEELb1EPKsPsPKSA_PSA_mNS0_19identity_decomposerEEEvT1_T2_T3_T4_jPT5_SO_PNS1_23onesweep_lookback_stateET6_jjj
; %bb.0:
	s_clause 0x3
	s_load_b128 s[28:31], s[0:1], 0x44
	s_load_b256 s[16:23], s[0:1], 0x0
	s_load_b128 s[24:27], s[0:1], 0x28
	s_load_b64 s[12:13], s[0:1], 0x38
	v_and_b32_e32 v1, 0x3ff, v0
	v_mbcnt_lo_u32_b32 v12, -1, 0
	s_waitcnt lgkmcnt(0)
	s_cmp_ge_u32 s15, s30
	s_cbranch_scc0 .LBB62_66
; %bb.1:
	s_load_b32 s6, s[0:1], 0x20
	s_mov_b32 s4, 0x80008000
	s_lshl_b32 s7, s30, 12
	s_mov_b32 s5, s4
	v_lshlrev_b32_e32 v11, 2, v1
	s_lshl_b32 s30, s15, 12
	s_mov_b32 s31, 0
	v_lshlrev_b32_e32 v2, 1, v12
	s_lshl_b64 s[2:3], s[30:31], 1
	v_and_b32_e32 v10, 0xf80, v11
	s_delay_alu instid0(VALU_DEP_1)
	v_lshlrev_b32_e32 v3, 1, v10
	s_waitcnt lgkmcnt(0)
	s_sub_i32 s34, s6, s7
	s_add_u32 s2, s16, s2
	s_addc_u32 s3, s17, s3
	v_add_co_u32 v2, s2, s2, v2
	s_delay_alu instid0(VALU_DEP_1) | instskip(NEXT) | instid1(VALU_DEP_2)
	v_add_co_ci_u32_e64 v5, null, s3, 0, s2
	v_add_co_u32 v4, s2, v2, v3
	v_dual_mov_b32 v2, s4 :: v_dual_mov_b32 v3, s5
	v_or_b32_e32 v6, v12, v10
	s_delay_alu instid0(VALU_DEP_4) | instskip(NEXT) | instid1(VALU_DEP_2)
	v_add_co_ci_u32_e64 v5, s2, 0, v5, s2
	v_cmp_gt_u32_e32 vcc_lo, s34, v6
	s_and_saveexec_b32 s2, vcc_lo
	s_cbranch_execz .LBB62_3
; %bb.2:
	v_bfrev_b32_e32 v2, 1
	v_mov_b32_e32 v3, 0x80008000
	global_load_d16_b16 v2, v[4:5], off
.LBB62_3:
	s_or_b32 exec_lo, exec_lo, s2
	v_add_nc_u32_e32 v7, 32, v6
	s_delay_alu instid0(VALU_DEP_1) | instskip(NEXT) | instid1(VALU_DEP_1)
	v_cmp_gt_u32_e64 s2, s34, v7
	s_and_saveexec_b32 s3, s2
	s_cbranch_execz .LBB62_5
; %bb.4:
	global_load_d16_hi_b16 v2, v[4:5], off offset:64
.LBB62_5:
	s_or_b32 exec_lo, exec_lo, s3
	v_add_nc_u32_e32 v7, 64, v6
	s_delay_alu instid0(VALU_DEP_1) | instskip(NEXT) | instid1(VALU_DEP_1)
	v_cmp_gt_u32_e64 s3, s34, v7
	s_and_saveexec_b32 s4, s3
	s_cbranch_execz .LBB62_7
; %bb.6:
	global_load_d16_b16 v3, v[4:5], off offset:128
.LBB62_7:
	s_or_b32 exec_lo, exec_lo, s4
	v_add_nc_u32_e32 v6, 0x60, v6
	s_delay_alu instid0(VALU_DEP_1) | instskip(NEXT) | instid1(VALU_DEP_1)
	v_cmp_gt_u32_e64 s4, s34, v6
	s_and_saveexec_b32 s5, s4
	s_cbranch_execz .LBB62_9
; %bb.8:
	global_load_d16_hi_b16 v3, v[4:5], off offset:192
.LBB62_9:
	s_or_b32 exec_lo, exec_lo, s5
	s_clause 0x1
	s_load_b32 s5, s[0:1], 0x5c
	s_load_b32 s14, s[0:1], 0x50
	s_waitcnt vmcnt(0)
	v_xor_b32_e32 v13, 0x7fff, v2
	s_add_u32 s6, s0, 0x50
	s_addc_u32 s7, s1, 0
	s_delay_alu instid0(VALU_DEP_1) | instskip(NEXT) | instid1(VALU_DEP_1)
	v_and_b32_e32 v4, 0xffff, v13
	v_lshrrev_b32_e32 v4, s28, v4
	s_waitcnt lgkmcnt(0)
	s_lshr_b32 s8, s5, 16
	s_cmp_lt_u32 s15, s14
	s_cselect_b32 s5, 12, 18
	s_delay_alu instid0(SALU_CYCLE_1) | instskip(SKIP_2) | instid1(SALU_CYCLE_1)
	s_add_u32 s6, s6, s5
	s_addc_u32 s7, s7, 0
	s_lshl_b32 s5, -1, s29
	s_not_b32 s33, s5
	s_delay_alu instid0(SALU_CYCLE_1) | instskip(SKIP_2) | instid1(VALU_DEP_3)
	v_and_b32_e32 v8, s33, v4
	v_mov_b32_e32 v6, 0
	v_bfe_u32 v4, v0, 10, 10
	v_and_b32_e32 v5, 1, v8
	global_load_u16 v7, v6, s[6:7]
	v_lshlrev_b32_e32 v9, 30, v8
	v_lshlrev_b32_e32 v14, 29, v8
	v_lshlrev_b32_e32 v15, 28, v8
	v_add_co_u32 v5, s5, v5, -1
	s_delay_alu instid0(VALU_DEP_1)
	v_cndmask_b32_e64 v16, 0, 1, s5
	v_not_b32_e32 v20, v9
	v_cmp_gt_i32_e64 s6, 0, v9
	v_not_b32_e32 v9, v14
	v_lshlrev_b32_e32 v17, 27, v8
	v_cmp_ne_u32_e64 s5, 0, v16
	v_ashrrev_i32_e32 v20, 31, v20
	v_lshlrev_b32_e32 v18, 26, v8
	v_ashrrev_i32_e32 v9, 31, v9
	v_lshlrev_b32_e32 v19, 25, v8
	v_xor_b32_e32 v5, s5, v5
	v_cmp_gt_i32_e64 s5, 0, v14
	v_not_b32_e32 v14, v15
	v_xor_b32_e32 v20, s6, v20
	v_cmp_gt_i32_e64 s6, 0, v15
	v_and_b32_e32 v5, exec_lo, v5
	v_not_b32_e32 v15, v17
	v_ashrrev_i32_e32 v14, 31, v14
	v_xor_b32_e32 v9, s5, v9
	v_cmp_gt_i32_e64 s5, 0, v17
	v_and_b32_e32 v5, v5, v20
	v_not_b32_e32 v17, v18
	v_ashrrev_i32_e32 v15, 31, v15
	v_xor_b32_e32 v14, s6, v14
	v_lshlrev_b32_e32 v16, 24, v8
	v_and_b32_e32 v5, v5, v9
	v_cmp_gt_i32_e64 s6, 0, v18
	v_not_b32_e32 v9, v19
	v_ashrrev_i32_e32 v17, 31, v17
	v_xor_b32_e32 v15, s5, v15
	v_and_b32_e32 v5, v5, v14
	v_cmp_gt_i32_e64 s5, 0, v19
	v_not_b32_e32 v14, v16
	v_ashrrev_i32_e32 v9, 31, v9
	v_xor_b32_e32 v17, s6, v17
	v_and_b32_e32 v5, v5, v15
	v_bfe_u32 v15, v0, 20, 10
	v_cmp_gt_i32_e64 s6, 0, v16
	v_ashrrev_i32_e32 v14, 31, v14
	v_xor_b32_e32 v9, s5, v9
	v_and_b32_e32 v5, v5, v17
	v_mad_u32_u24 v15, v15, s8, v4
	v_mul_u32_u24_e32 v16, 9, v1
	v_xor_b32_e32 v14, s6, v14
	s_delay_alu instid0(VALU_DEP_4) | instskip(NEXT) | instid1(VALU_DEP_3)
	v_and_b32_e32 v9, v5, v9
	v_lshlrev_b32_e32 v16, 2, v16
	ds_store_2addr_b32 v16, v6, v6 offset0:32 offset1:33
	ds_store_2addr_b32 v16, v6, v6 offset0:34 offset1:35
	;; [unrolled: 1-line block ×4, first 2 shown]
	ds_store_b32 v16, v6 offset:160
	v_mul_u32_u24_e32 v6, 33, v8
	s_waitcnt vmcnt(0) lgkmcnt(0)
	s_barrier
	buffer_gl0_inv
	; wave barrier
	v_mad_u64_u32 v[4:5], null, v15, v7, v[1:2]
	v_and_b32_e32 v5, v9, v14
	s_delay_alu instid0(VALU_DEP_1) | instskip(NEXT) | instid1(VALU_DEP_3)
	v_mbcnt_lo_u32_b32 v14, v5, 0
	v_lshrrev_b32_e32 v4, 5, v4
	v_cmp_ne_u32_e64 s6, 0, v5
	s_delay_alu instid0(VALU_DEP_3) | instskip(NEXT) | instid1(VALU_DEP_3)
	v_cmp_eq_u32_e64 s5, 0, v14
	v_add_lshl_u32 v17, v4, v6, 2
	s_delay_alu instid0(VALU_DEP_2) | instskip(NEXT) | instid1(SALU_CYCLE_1)
	s_and_b32 s6, s6, s5
	s_and_saveexec_b32 s5, s6
	s_cbranch_execz .LBB62_11
; %bb.10:
	v_bcnt_u32_b32 v5, v5, 0
	ds_store_b32 v17, v5 offset:128
.LBB62_11:
	s_or_b32 exec_lo, exec_lo, s5
	v_lshrrev_b32_e32 v2, 16, v2
	; wave barrier
	s_delay_alu instid0(VALU_DEP_1) | instskip(NEXT) | instid1(VALU_DEP_1)
	v_xor_b32_e32 v15, 0x7fff, v2
	v_and_b32_e32 v2, 0xffff, v15
	s_delay_alu instid0(VALU_DEP_1) | instskip(NEXT) | instid1(VALU_DEP_1)
	v_lshrrev_b32_e32 v2, s28, v2
	v_and_b32_e32 v2, s33, v2
	s_delay_alu instid0(VALU_DEP_1)
	v_and_b32_e32 v5, 1, v2
	v_lshlrev_b32_e32 v6, 30, v2
	v_lshlrev_b32_e32 v7, 29, v2
	;; [unrolled: 1-line block ×4, first 2 shown]
	v_add_co_u32 v5, s5, v5, -1
	s_delay_alu instid0(VALU_DEP_1)
	v_cndmask_b32_e64 v9, 0, 1, s5
	v_not_b32_e32 v21, v6
	v_cmp_gt_i32_e64 s6, 0, v6
	v_not_b32_e32 v6, v7
	v_lshlrev_b32_e32 v19, 26, v2
	v_cmp_ne_u32_e64 s5, 0, v9
	v_ashrrev_i32_e32 v21, 31, v21
	v_lshlrev_b32_e32 v20, 25, v2
	v_ashrrev_i32_e32 v6, 31, v6
	v_lshlrev_b32_e32 v9, 24, v2
	v_xor_b32_e32 v5, s5, v5
	v_cmp_gt_i32_e64 s5, 0, v7
	v_not_b32_e32 v7, v8
	v_xor_b32_e32 v21, s6, v21
	v_cmp_gt_i32_e64 s6, 0, v8
	v_and_b32_e32 v5, exec_lo, v5
	v_not_b32_e32 v8, v18
	v_ashrrev_i32_e32 v7, 31, v7
	v_xor_b32_e32 v6, s5, v6
	v_cmp_gt_i32_e64 s5, 0, v18
	v_and_b32_e32 v5, v5, v21
	v_not_b32_e32 v18, v19
	v_ashrrev_i32_e32 v8, 31, v8
	v_xor_b32_e32 v7, s6, v7
	v_cmp_gt_i32_e64 s6, 0, v19
	v_and_b32_e32 v5, v5, v6
	;; [unrolled: 5-line block ×3, first 2 shown]
	v_not_b32_e32 v7, v9
	v_ashrrev_i32_e32 v6, 31, v6
	v_xor_b32_e32 v18, s6, v18
	v_mul_u32_u24_e32 v2, 33, v2
	v_and_b32_e32 v5, v5, v8
	v_cmp_gt_i32_e64 s6, 0, v9
	v_ashrrev_i32_e32 v7, 31, v7
	v_xor_b32_e32 v6, s5, v6
	v_add_lshl_u32 v21, v4, v2, 2
	v_and_b32_e32 v5, v5, v18
	s_delay_alu instid0(VALU_DEP_4) | instskip(SKIP_2) | instid1(VALU_DEP_1)
	v_xor_b32_e32 v2, s6, v7
	ds_load_b32 v18, v21 offset:128
	v_and_b32_e32 v5, v5, v6
	; wave barrier
	v_and_b32_e32 v2, v5, v2
	s_delay_alu instid0(VALU_DEP_1) | instskip(SKIP_1) | instid1(VALU_DEP_2)
	v_mbcnt_lo_u32_b32 v19, v2, 0
	v_cmp_ne_u32_e64 s6, 0, v2
	v_cmp_eq_u32_e64 s5, 0, v19
	s_delay_alu instid0(VALU_DEP_1) | instskip(NEXT) | instid1(SALU_CYCLE_1)
	s_and_b32 s6, s6, s5
	s_and_saveexec_b32 s5, s6
	s_cbranch_execz .LBB62_13
; %bb.12:
	s_waitcnt lgkmcnt(0)
	v_bcnt_u32_b32 v2, v2, v18
	ds_store_b32 v21, v2 offset:128
.LBB62_13:
	s_or_b32 exec_lo, exec_lo, s5
	v_xor_b32_e32 v20, 0x7fff, v3
	; wave barrier
	s_delay_alu instid0(VALU_DEP_1) | instskip(NEXT) | instid1(VALU_DEP_1)
	v_and_b32_e32 v2, 0xffff, v20
	v_lshrrev_b32_e32 v2, s28, v2
	s_delay_alu instid0(VALU_DEP_1) | instskip(NEXT) | instid1(VALU_DEP_1)
	v_and_b32_e32 v2, s33, v2
	v_and_b32_e32 v5, 1, v2
	v_lshlrev_b32_e32 v6, 30, v2
	v_lshlrev_b32_e32 v7, 29, v2
	;; [unrolled: 1-line block ×4, first 2 shown]
	v_add_co_u32 v5, s5, v5, -1
	s_delay_alu instid0(VALU_DEP_1)
	v_cndmask_b32_e64 v9, 0, 1, s5
	v_not_b32_e32 v25, v6
	v_cmp_gt_i32_e64 s6, 0, v6
	v_not_b32_e32 v6, v7
	v_lshlrev_b32_e32 v23, 26, v2
	v_cmp_ne_u32_e64 s5, 0, v9
	v_ashrrev_i32_e32 v25, 31, v25
	v_lshlrev_b32_e32 v24, 25, v2
	v_ashrrev_i32_e32 v6, 31, v6
	v_lshlrev_b32_e32 v9, 24, v2
	v_xor_b32_e32 v5, s5, v5
	v_cmp_gt_i32_e64 s5, 0, v7
	v_not_b32_e32 v7, v8
	v_xor_b32_e32 v25, s6, v25
	v_cmp_gt_i32_e64 s6, 0, v8
	v_and_b32_e32 v5, exec_lo, v5
	v_not_b32_e32 v8, v22
	v_ashrrev_i32_e32 v7, 31, v7
	v_xor_b32_e32 v6, s5, v6
	v_cmp_gt_i32_e64 s5, 0, v22
	v_and_b32_e32 v5, v5, v25
	v_not_b32_e32 v22, v23
	v_ashrrev_i32_e32 v8, 31, v8
	v_xor_b32_e32 v7, s6, v7
	v_cmp_gt_i32_e64 s6, 0, v23
	v_and_b32_e32 v5, v5, v6
	;; [unrolled: 5-line block ×3, first 2 shown]
	v_not_b32_e32 v7, v9
	v_ashrrev_i32_e32 v6, 31, v6
	v_xor_b32_e32 v22, s6, v22
	v_mul_u32_u24_e32 v2, 33, v2
	v_and_b32_e32 v5, v5, v8
	v_cmp_gt_i32_e64 s6, 0, v9
	v_ashrrev_i32_e32 v7, 31, v7
	v_xor_b32_e32 v6, s5, v6
	v_add_lshl_u32 v25, v4, v2, 2
	v_and_b32_e32 v5, v5, v22
	s_delay_alu instid0(VALU_DEP_4) | instskip(SKIP_2) | instid1(VALU_DEP_1)
	v_xor_b32_e32 v2, s6, v7
	ds_load_b32 v22, v25 offset:128
	v_and_b32_e32 v5, v5, v6
	; wave barrier
	v_and_b32_e32 v2, v5, v2
	s_delay_alu instid0(VALU_DEP_1) | instskip(SKIP_1) | instid1(VALU_DEP_2)
	v_mbcnt_lo_u32_b32 v23, v2, 0
	v_cmp_ne_u32_e64 s6, 0, v2
	v_cmp_eq_u32_e64 s5, 0, v23
	s_delay_alu instid0(VALU_DEP_1) | instskip(NEXT) | instid1(SALU_CYCLE_1)
	s_and_b32 s6, s6, s5
	s_and_saveexec_b32 s5, s6
	s_cbranch_execz .LBB62_15
; %bb.14:
	s_waitcnt lgkmcnt(0)
	v_bcnt_u32_b32 v2, v2, v22
	ds_store_b32 v25, v2 offset:128
.LBB62_15:
	s_or_b32 exec_lo, exec_lo, s5
	v_lshrrev_b32_e32 v2, 16, v3
	; wave barrier
	v_add_nc_u32_e32 v29, 0x80, v16
	s_delay_alu instid0(VALU_DEP_2) | instskip(NEXT) | instid1(VALU_DEP_1)
	v_xor_b32_e32 v24, 0x7fff, v2
	v_and_b32_e32 v2, 0xffff, v24
	s_delay_alu instid0(VALU_DEP_1) | instskip(NEXT) | instid1(VALU_DEP_1)
	v_lshrrev_b32_e32 v2, s28, v2
	v_and_b32_e32 v2, s33, v2
	s_delay_alu instid0(VALU_DEP_1)
	v_and_b32_e32 v3, 1, v2
	v_lshlrev_b32_e32 v5, 30, v2
	v_lshlrev_b32_e32 v6, 29, v2
	;; [unrolled: 1-line block ×4, first 2 shown]
	v_add_co_u32 v3, s5, v3, -1
	s_delay_alu instid0(VALU_DEP_1)
	v_cndmask_b32_e64 v8, 0, 1, s5
	v_not_b32_e32 v28, v5
	v_cmp_gt_i32_e64 s6, 0, v5
	v_not_b32_e32 v5, v6
	v_lshlrev_b32_e32 v26, 26, v2
	v_cmp_ne_u32_e64 s5, 0, v8
	v_ashrrev_i32_e32 v28, 31, v28
	v_lshlrev_b32_e32 v27, 25, v2
	v_ashrrev_i32_e32 v5, 31, v5
	v_lshlrev_b32_e32 v8, 24, v2
	v_xor_b32_e32 v3, s5, v3
	v_cmp_gt_i32_e64 s5, 0, v6
	v_not_b32_e32 v6, v7
	v_xor_b32_e32 v28, s6, v28
	v_cmp_gt_i32_e64 s6, 0, v7
	v_and_b32_e32 v3, exec_lo, v3
	v_not_b32_e32 v7, v9
	v_ashrrev_i32_e32 v6, 31, v6
	v_xor_b32_e32 v5, s5, v5
	v_cmp_gt_i32_e64 s5, 0, v9
	v_and_b32_e32 v3, v3, v28
	v_not_b32_e32 v9, v26
	v_ashrrev_i32_e32 v7, 31, v7
	v_xor_b32_e32 v6, s6, v6
	v_cmp_gt_i32_e64 s6, 0, v26
	v_and_b32_e32 v3, v3, v5
	;; [unrolled: 5-line block ×3, first 2 shown]
	v_not_b32_e32 v6, v8
	v_ashrrev_i32_e32 v5, 31, v5
	v_xor_b32_e32 v9, s6, v9
	v_mul_u32_u24_e32 v2, 33, v2
	v_and_b32_e32 v3, v3, v7
	v_cmp_gt_i32_e64 s6, 0, v8
	v_ashrrev_i32_e32 v6, 31, v6
	v_xor_b32_e32 v5, s5, v5
	v_add_lshl_u32 v28, v4, v2, 2
	v_and_b32_e32 v3, v3, v9
	s_delay_alu instid0(VALU_DEP_4) | instskip(SKIP_2) | instid1(VALU_DEP_1)
	v_xor_b32_e32 v2, s6, v6
	ds_load_b32 v26, v28 offset:128
	v_and_b32_e32 v3, v3, v5
	; wave barrier
	v_and_b32_e32 v2, v3, v2
	s_delay_alu instid0(VALU_DEP_1) | instskip(SKIP_1) | instid1(VALU_DEP_2)
	v_mbcnt_lo_u32_b32 v27, v2, 0
	v_cmp_ne_u32_e64 s6, 0, v2
	v_cmp_eq_u32_e64 s5, 0, v27
	s_delay_alu instid0(VALU_DEP_1) | instskip(NEXT) | instid1(SALU_CYCLE_1)
	s_and_b32 s6, s6, s5
	s_and_saveexec_b32 s5, s6
	s_cbranch_execz .LBB62_17
; %bb.16:
	s_waitcnt lgkmcnt(0)
	v_bcnt_u32_b32 v2, v2, v26
	ds_store_b32 v28, v2 offset:128
.LBB62_17:
	s_or_b32 exec_lo, exec_lo, s5
	; wave barrier
	s_waitcnt lgkmcnt(0)
	s_barrier
	buffer_gl0_inv
	ds_load_2addr_b32 v[8:9], v16 offset0:32 offset1:33
	ds_load_2addr_b32 v[6:7], v29 offset0:2 offset1:3
	;; [unrolled: 1-line block ×4, first 2 shown]
	ds_load_b32 v30, v29 offset:32
	v_and_b32_e32 v33, 16, v12
	v_and_b32_e32 v34, 31, v1
	s_mov_b32 s11, exec_lo
	s_delay_alu instid0(VALU_DEP_2) | instskip(SKIP_3) | instid1(VALU_DEP_1)
	v_cmp_eq_u32_e64 s9, 0, v33
	s_waitcnt lgkmcnt(3)
	v_add3_u32 v31, v9, v8, v6
	s_waitcnt lgkmcnt(2)
	v_add3_u32 v31, v31, v7, v4
	s_waitcnt lgkmcnt(1)
	s_delay_alu instid0(VALU_DEP_1) | instskip(SKIP_1) | instid1(VALU_DEP_1)
	v_add3_u32 v31, v31, v5, v2
	s_waitcnt lgkmcnt(0)
	v_add3_u32 v30, v31, v3, v30
	v_and_b32_e32 v31, 15, v12
	s_delay_alu instid0(VALU_DEP_2) | instskip(NEXT) | instid1(VALU_DEP_2)
	v_mov_b32_dpp v32, v30 row_shr:1 row_mask:0xf bank_mask:0xf
	v_cmp_eq_u32_e64 s5, 0, v31
	v_cmp_lt_u32_e64 s6, 1, v31
	v_cmp_lt_u32_e64 s7, 3, v31
	;; [unrolled: 1-line block ×3, first 2 shown]
	s_delay_alu instid0(VALU_DEP_4) | instskip(NEXT) | instid1(VALU_DEP_1)
	v_cndmask_b32_e64 v32, v32, 0, s5
	v_add_nc_u32_e32 v30, v32, v30
	s_delay_alu instid0(VALU_DEP_1) | instskip(NEXT) | instid1(VALU_DEP_1)
	v_mov_b32_dpp v32, v30 row_shr:2 row_mask:0xf bank_mask:0xf
	v_cndmask_b32_e64 v32, 0, v32, s6
	s_delay_alu instid0(VALU_DEP_1) | instskip(NEXT) | instid1(VALU_DEP_1)
	v_add_nc_u32_e32 v30, v30, v32
	v_mov_b32_dpp v32, v30 row_shr:4 row_mask:0xf bank_mask:0xf
	s_delay_alu instid0(VALU_DEP_1) | instskip(NEXT) | instid1(VALU_DEP_1)
	v_cndmask_b32_e64 v32, 0, v32, s7
	v_add_nc_u32_e32 v30, v30, v32
	s_delay_alu instid0(VALU_DEP_1) | instskip(NEXT) | instid1(VALU_DEP_1)
	v_mov_b32_dpp v32, v30 row_shr:8 row_mask:0xf bank_mask:0xf
	v_cndmask_b32_e64 v31, 0, v32, s8
	v_bfe_i32 v32, v12, 4, 1
	s_delay_alu instid0(VALU_DEP_2) | instskip(SKIP_4) | instid1(VALU_DEP_2)
	v_add_nc_u32_e32 v30, v30, v31
	ds_swizzle_b32 v31, v30 offset:swizzle(BROADCAST,32,15)
	s_waitcnt lgkmcnt(0)
	v_and_b32_e32 v32, v32, v31
	v_lshrrev_b32_e32 v31, 5, v1
	v_add_nc_u32_e32 v30, v30, v32
	v_cmpx_eq_u32_e32 31, v34
	s_cbranch_execz .LBB62_19
; %bb.18:
	s_delay_alu instid0(VALU_DEP_3)
	v_lshlrev_b32_e32 v32, 2, v31
	ds_store_b32 v32, v30
.LBB62_19:
	s_or_b32 exec_lo, exec_lo, s11
	v_cmp_lt_u32_e64 s10, 31, v1
	s_mov_b32 s35, exec_lo
	s_waitcnt lgkmcnt(0)
	s_barrier
	buffer_gl0_inv
	v_cmpx_gt_u32_e32 32, v1
	s_cbranch_execz .LBB62_21
; %bb.20:
	ds_load_b32 v32, v11
	s_waitcnt lgkmcnt(0)
	v_mov_b32_dpp v33, v32 row_shr:1 row_mask:0xf bank_mask:0xf
	s_delay_alu instid0(VALU_DEP_1) | instskip(NEXT) | instid1(VALU_DEP_1)
	v_cndmask_b32_e64 v33, v33, 0, s5
	v_add_nc_u32_e32 v32, v33, v32
	s_delay_alu instid0(VALU_DEP_1) | instskip(NEXT) | instid1(VALU_DEP_1)
	v_mov_b32_dpp v33, v32 row_shr:2 row_mask:0xf bank_mask:0xf
	v_cndmask_b32_e64 v33, 0, v33, s6
	s_delay_alu instid0(VALU_DEP_1) | instskip(NEXT) | instid1(VALU_DEP_1)
	v_add_nc_u32_e32 v32, v32, v33
	v_mov_b32_dpp v33, v32 row_shr:4 row_mask:0xf bank_mask:0xf
	s_delay_alu instid0(VALU_DEP_1) | instskip(NEXT) | instid1(VALU_DEP_1)
	v_cndmask_b32_e64 v33, 0, v33, s7
	v_add_nc_u32_e32 v32, v32, v33
	s_delay_alu instid0(VALU_DEP_1) | instskip(NEXT) | instid1(VALU_DEP_1)
	v_mov_b32_dpp v33, v32 row_shr:8 row_mask:0xf bank_mask:0xf
	v_cndmask_b32_e64 v33, 0, v33, s8
	s_delay_alu instid0(VALU_DEP_1) | instskip(SKIP_3) | instid1(VALU_DEP_1)
	v_add_nc_u32_e32 v32, v32, v33
	ds_swizzle_b32 v33, v32 offset:swizzle(BROADCAST,32,15)
	s_waitcnt lgkmcnt(0)
	v_cndmask_b32_e64 v33, v33, 0, s9
	v_add_nc_u32_e32 v32, v32, v33
	ds_store_b32 v11, v32
.LBB62_21:
	s_or_b32 exec_lo, exec_lo, s35
	v_mov_b32_e32 v11, 0
	s_waitcnt lgkmcnt(0)
	s_barrier
	buffer_gl0_inv
	s_and_saveexec_b32 s5, s10
	s_cbranch_execz .LBB62_23
; %bb.22:
	v_lshl_add_u32 v11, v31, 2, -4
	ds_load_b32 v11, v11
.LBB62_23:
	s_or_b32 exec_lo, exec_lo, s5
	v_add_nc_u32_e32 v31, -1, v12
	s_waitcnt lgkmcnt(0)
	v_add_nc_u32_e32 v30, v11, v30
	s_delay_alu instid0(VALU_DEP_2) | instskip(NEXT) | instid1(VALU_DEP_1)
	v_cmp_gt_i32_e64 s5, 0, v31
	v_cndmask_b32_e64 v31, v31, v12, s5
	v_cmp_eq_u32_e64 s5, 0, v12
	s_delay_alu instid0(VALU_DEP_2) | instskip(SKIP_4) | instid1(VALU_DEP_1)
	v_lshlrev_b32_e32 v31, 2, v31
	ds_bpermute_b32 v30, v31, v30
	s_waitcnt lgkmcnt(0)
	v_cndmask_b32_e64 v11, v30, v11, s5
	v_cmp_ne_u32_e64 s5, 0, v1
	v_cndmask_b32_e64 v11, 0, v11, s5
	v_cmp_gt_u32_e64 s5, 0x100, v1
	s_delay_alu instid0(VALU_DEP_2) | instskip(NEXT) | instid1(VALU_DEP_1)
	v_add_nc_u32_e32 v8, v11, v8
	v_add_nc_u32_e32 v9, v8, v9
	s_delay_alu instid0(VALU_DEP_1) | instskip(NEXT) | instid1(VALU_DEP_1)
	v_add_nc_u32_e32 v6, v9, v6
	v_add_nc_u32_e32 v7, v6, v7
	s_delay_alu instid0(VALU_DEP_1) | instskip(NEXT) | instid1(VALU_DEP_1)
	;; [unrolled: 3-line block ×3, first 2 shown]
	v_add_nc_u32_e32 v2, v5, v2
	v_add_nc_u32_e32 v3, v2, v3
	ds_store_2addr_b32 v16, v11, v8 offset0:32 offset1:33
	ds_store_2addr_b32 v29, v9, v6 offset0:2 offset1:3
	;; [unrolled: 1-line block ×4, first 2 shown]
	ds_store_b32 v29, v3 offset:32
	s_waitcnt lgkmcnt(0)
	s_barrier
	buffer_gl0_inv
	ds_load_b32 v2, v17 offset:128
	ds_load_b32 v3, v21 offset:128
	;; [unrolled: 1-line block ×4, first 2 shown]
                                        ; implicit-def: $vgpr16
                                        ; implicit-def: $vgpr17
	s_and_saveexec_b32 s7, s5
	s_cbranch_execz .LBB62_27
; %bb.24:
	v_mul_u32_u24_e32 v6, 33, v1
	s_mov_b32 s8, exec_lo
	s_delay_alu instid0(VALU_DEP_1)
	v_dual_mov_b32 v6, 0x1000 :: v_dual_lshlrev_b32 v7, 2, v6
	ds_load_b32 v16, v7 offset:128
	v_cmpx_ne_u32_e32 0xff, v1
	s_cbranch_execz .LBB62_26
; %bb.25:
	ds_load_b32 v6, v7 offset:260
.LBB62_26:
	s_or_b32 exec_lo, exec_lo, s8
	s_waitcnt lgkmcnt(0)
	v_sub_nc_u32_e32 v17, v6, v16
.LBB62_27:
	s_or_b32 exec_lo, exec_lo, s7
	s_waitcnt lgkmcnt(3)
	v_add_nc_u32_e32 v21, v2, v14
	s_waitcnt lgkmcnt(2)
	v_add3_u32 v19, v19, v18, v3
	s_waitcnt lgkmcnt(1)
	v_add3_u32 v18, v23, v22, v4
	;; [unrolled: 2-line block ×3, first 2 shown]
	v_lshlrev_b32_e32 v2, 1, v21
	v_lshlrev_b32_e32 v3, 1, v19
	;; [unrolled: 1-line block ×3, first 2 shown]
	s_delay_alu instid0(VALU_DEP_4)
	v_lshlrev_b32_e32 v5, 1, v14
	s_barrier
	buffer_gl0_inv
	ds_store_b16 v2, v13 offset:2048
	ds_store_b16 v3, v15 offset:2048
	;; [unrolled: 1-line block ×4, first 2 shown]
	s_waitcnt lgkmcnt(0)
	s_barrier
	buffer_gl0_inv
	s_and_saveexec_b32 s7, s5
	s_cbranch_execz .LBB62_37
; %bb.28:
	v_lshl_or_b32 v4, s15, 8, v1
	v_dual_mov_b32 v5, 0 :: v_dual_mov_b32 v8, 0
	s_mov_b32 s8, 0
	s_mov_b32 s9, s15
	s_delay_alu instid0(VALU_DEP_1) | instskip(SKIP_1) | instid1(VALU_DEP_2)
	v_lshlrev_b64 v[2:3], 2, v[4:5]
	v_or_b32_e32 v4, 2.0, v17
	v_add_co_u32 v2, s6, s12, v2
	s_delay_alu instid0(VALU_DEP_1)
	v_add_co_ci_u32_e64 v3, s6, s13, v3, s6
                                        ; implicit-def: $sgpr6
	global_store_b32 v[2:3], v4, off
	s_branch .LBB62_30
	.p2align	6
.LBB62_29:                              ;   in Loop: Header=BB62_30 Depth=1
	s_or_b32 exec_lo, exec_lo, s10
	v_and_b32_e32 v6, 0x3fffffff, v9
	v_cmp_eq_u32_e64 s6, 0x80000000, v4
	s_delay_alu instid0(VALU_DEP_2) | instskip(NEXT) | instid1(VALU_DEP_2)
	v_add_nc_u32_e32 v8, v6, v8
	s_and_b32 s10, exec_lo, s6
	s_delay_alu instid0(SALU_CYCLE_1) | instskip(NEXT) | instid1(SALU_CYCLE_1)
	s_or_b32 s8, s10, s8
	s_and_not1_b32 exec_lo, exec_lo, s8
	s_cbranch_execz .LBB62_36
.LBB62_30:                              ; =>This Loop Header: Depth=1
                                        ;     Child Loop BB62_33 Depth 2
	s_or_b32 s6, s6, exec_lo
	s_cmp_eq_u32 s9, 0
	s_cbranch_scc1 .LBB62_35
; %bb.31:                               ;   in Loop: Header=BB62_30 Depth=1
	s_add_i32 s9, s9, -1
	s_mov_b32 s10, exec_lo
	v_lshl_or_b32 v4, s9, 8, v1
	s_delay_alu instid0(VALU_DEP_1) | instskip(NEXT) | instid1(VALU_DEP_1)
	v_lshlrev_b64 v[6:7], 2, v[4:5]
	v_add_co_u32 v6, s6, s12, v6
	s_delay_alu instid0(VALU_DEP_1) | instskip(SKIP_3) | instid1(VALU_DEP_1)
	v_add_co_ci_u32_e64 v7, s6, s13, v7, s6
	global_load_b32 v9, v[6:7], off glc
	s_waitcnt vmcnt(0)
	v_and_b32_e32 v4, -2.0, v9
	v_cmpx_eq_u32_e32 0, v4
	s_cbranch_execz .LBB62_29
; %bb.32:                               ;   in Loop: Header=BB62_30 Depth=1
	s_mov_b32 s11, 0
.LBB62_33:                              ;   Parent Loop BB62_30 Depth=1
                                        ; =>  This Inner Loop Header: Depth=2
	global_load_b32 v9, v[6:7], off glc
	s_waitcnt vmcnt(0)
	v_and_b32_e32 v4, -2.0, v9
	s_delay_alu instid0(VALU_DEP_1) | instskip(NEXT) | instid1(VALU_DEP_1)
	v_cmp_ne_u32_e64 s6, 0, v4
	s_or_b32 s11, s6, s11
	s_delay_alu instid0(SALU_CYCLE_1)
	s_and_not1_b32 exec_lo, exec_lo, s11
	s_cbranch_execnz .LBB62_33
; %bb.34:                               ;   in Loop: Header=BB62_30 Depth=1
	s_or_b32 exec_lo, exec_lo, s11
	s_branch .LBB62_29
.LBB62_35:                              ;   in Loop: Header=BB62_30 Depth=1
                                        ; implicit-def: $sgpr9
	s_and_b32 s10, exec_lo, s6
	s_delay_alu instid0(SALU_CYCLE_1) | instskip(NEXT) | instid1(SALU_CYCLE_1)
	s_or_b32 s8, s10, s8
	s_and_not1_b32 exec_lo, exec_lo, s8
	s_cbranch_execnz .LBB62_30
.LBB62_36:
	s_or_b32 exec_lo, exec_lo, s8
	v_add_nc_u32_e32 v4, v8, v17
	v_lshlrev_b32_e32 v5, 3, v1
	s_delay_alu instid0(VALU_DEP_2) | instskip(SKIP_3) | instid1(VALU_DEP_1)
	v_or_b32_e32 v4, 0x80000000, v4
	global_store_b32 v[2:3], v4, off
	global_load_b64 v[2:3], v5, s[24:25]
	v_sub_co_u32 v4, s6, v8, v16
	v_sub_co_ci_u32_e64 v6, null, 0, 0, s6
	s_waitcnt vmcnt(0)
	s_delay_alu instid0(VALU_DEP_2) | instskip(NEXT) | instid1(VALU_DEP_1)
	v_add_co_u32 v2, s6, v4, v2
	v_add_co_ci_u32_e64 v3, s6, v6, v3, s6
	ds_store_b64 v5, v[2:3]
.LBB62_37:
	s_or_b32 exec_lo, exec_lo, s7
	v_cmp_gt_u32_e64 s6, s34, v1
	v_lshlrev_b32_e32 v22, 1, v1
	s_waitcnt lgkmcnt(0)
	s_waitcnt_vscnt null, 0x0
	s_barrier
	buffer_gl0_inv
	s_and_saveexec_b32 s8, s6
	s_cbranch_execz .LBB62_39
; %bb.38:
	ds_load_u16 v4, v22 offset:2048
	s_waitcnt lgkmcnt(0)
	v_and_b32_e32 v2, 0xffff, v4
	v_xor_b32_e32 v4, 0x7fff, v4
	s_delay_alu instid0(VALU_DEP_2) | instskip(NEXT) | instid1(VALU_DEP_1)
	v_lshrrev_b32_e32 v2, s28, v2
	v_and_b32_e32 v2, s33, v2
	s_delay_alu instid0(VALU_DEP_1) | instskip(SKIP_3) | instid1(VALU_DEP_1)
	v_lshlrev_b32_e32 v2, 3, v2
	ds_load_b64 v[2:3], v2
	s_waitcnt lgkmcnt(0)
	v_lshlrev_b64 v[2:3], 1, v[2:3]
	v_add_co_u32 v2, s7, s18, v2
	s_delay_alu instid0(VALU_DEP_1) | instskip(NEXT) | instid1(VALU_DEP_2)
	v_add_co_ci_u32_e64 v3, s7, s19, v3, s7
	v_add_co_u32 v2, s7, v2, v22
	s_delay_alu instid0(VALU_DEP_1)
	v_add_co_ci_u32_e64 v3, s7, 0, v3, s7
	global_store_b16 v[2:3], v4, off
.LBB62_39:
	s_or_b32 exec_lo, exec_lo, s8
	v_or_b32_e32 v13, 0x400, v1
	s_delay_alu instid0(VALU_DEP_1) | instskip(NEXT) | instid1(VALU_DEP_1)
	v_cmp_gt_u32_e64 s7, s34, v13
	s_and_saveexec_b32 s9, s7
	s_cbranch_execz .LBB62_41
; %bb.40:
	ds_load_u16 v4, v22 offset:4096
	s_waitcnt lgkmcnt(0)
	v_and_b32_e32 v2, 0xffff, v4
	v_xor_b32_e32 v4, 0x7fff, v4
	s_delay_alu instid0(VALU_DEP_2) | instskip(NEXT) | instid1(VALU_DEP_1)
	v_lshrrev_b32_e32 v2, s28, v2
	v_and_b32_e32 v2, s33, v2
	s_delay_alu instid0(VALU_DEP_1) | instskip(SKIP_3) | instid1(VALU_DEP_1)
	v_lshlrev_b32_e32 v2, 3, v2
	ds_load_b64 v[2:3], v2
	s_waitcnt lgkmcnt(0)
	v_lshlrev_b64 v[2:3], 1, v[2:3]
	v_add_co_u32 v2, s8, s18, v2
	s_delay_alu instid0(VALU_DEP_1) | instskip(NEXT) | instid1(VALU_DEP_2)
	v_add_co_ci_u32_e64 v3, s8, s19, v3, s8
	v_add_co_u32 v2, s8, v2, v22
	s_delay_alu instid0(VALU_DEP_1)
	v_add_co_ci_u32_e64 v3, s8, 0, v3, s8
	global_store_b16 v[2:3], v4, off offset:2048
.LBB62_41:
	s_or_b32 exec_lo, exec_lo, s9
	v_or_b32_e32 v15, 0x800, v1
	s_delay_alu instid0(VALU_DEP_1) | instskip(NEXT) | instid1(VALU_DEP_1)
	v_cmp_gt_u32_e64 s8, s34, v15
	s_and_saveexec_b32 s10, s8
	s_cbranch_execz .LBB62_43
; %bb.42:
	ds_load_u16 v4, v22 offset:6144
	v_lshlrev_b32_e32 v5, 1, v15
	s_waitcnt lgkmcnt(0)
	v_and_b32_e32 v2, 0xffff, v4
	v_xor_b32_e32 v4, 0x7fff, v4
	s_delay_alu instid0(VALU_DEP_2) | instskip(NEXT) | instid1(VALU_DEP_1)
	v_lshrrev_b32_e32 v2, s28, v2
	v_and_b32_e32 v2, s33, v2
	s_delay_alu instid0(VALU_DEP_1) | instskip(SKIP_3) | instid1(VALU_DEP_1)
	v_lshlrev_b32_e32 v2, 3, v2
	ds_load_b64 v[2:3], v2
	s_waitcnt lgkmcnt(0)
	v_lshlrev_b64 v[2:3], 1, v[2:3]
	v_add_co_u32 v2, s9, s18, v2
	s_delay_alu instid0(VALU_DEP_1) | instskip(NEXT) | instid1(VALU_DEP_2)
	v_add_co_ci_u32_e64 v3, s9, s19, v3, s9
	v_add_co_u32 v2, s9, v2, v5
	s_delay_alu instid0(VALU_DEP_1)
	v_add_co_ci_u32_e64 v3, s9, 0, v3, s9
	global_store_b16 v[2:3], v4, off
.LBB62_43:
	s_or_b32 exec_lo, exec_lo, s10
	v_or_b32_e32 v20, 0xc00, v1
	s_delay_alu instid0(VALU_DEP_1) | instskip(NEXT) | instid1(VALU_DEP_1)
	v_cmp_gt_u32_e64 s9, s34, v20
	s_and_saveexec_b32 s11, s9
	s_cbranch_execz .LBB62_45
; %bb.44:
	ds_load_u16 v4, v22 offset:8192
	v_lshlrev_b32_e32 v5, 1, v20
	s_waitcnt lgkmcnt(0)
	v_and_b32_e32 v2, 0xffff, v4
	v_xor_b32_e32 v4, 0x7fff, v4
	s_delay_alu instid0(VALU_DEP_2) | instskip(NEXT) | instid1(VALU_DEP_1)
	v_lshrrev_b32_e32 v2, s28, v2
	v_and_b32_e32 v2, s33, v2
	s_delay_alu instid0(VALU_DEP_1) | instskip(SKIP_3) | instid1(VALU_DEP_1)
	v_lshlrev_b32_e32 v2, 3, v2
	ds_load_b64 v[2:3], v2
	s_waitcnt lgkmcnt(0)
	v_lshlrev_b64 v[2:3], 1, v[2:3]
	v_add_co_u32 v2, s10, s18, v2
	s_delay_alu instid0(VALU_DEP_1) | instskip(NEXT) | instid1(VALU_DEP_2)
	v_add_co_ci_u32_e64 v3, s10, s19, v3, s10
	v_add_co_u32 v2, s10, v2, v5
	s_delay_alu instid0(VALU_DEP_1)
	v_add_co_ci_u32_e64 v3, s10, 0, v3, s10
	global_store_b16 v[2:3], v4, off
.LBB62_45:
	s_or_b32 exec_lo, exec_lo, s11
	v_lshlrev_b32_e32 v2, 3, v12
	s_lshl_b64 s[10:11], s[30:31], 3
	v_lshlrev_b32_e32 v3, 3, v10
	s_add_u32 s10, s20, s10
	s_addc_u32 s11, s21, s11
	v_add_co_u32 v2, s10, s10, v2
	s_delay_alu instid0(VALU_DEP_1) | instskip(NEXT) | instid1(VALU_DEP_2)
	v_add_co_ci_u32_e64 v4, null, s11, 0, s10
	v_add_co_u32 v10, s10, v2, v3
	s_delay_alu instid0(VALU_DEP_1) | instskip(SKIP_1) | instid1(SALU_CYCLE_1)
	v_add_co_ci_u32_e64 v11, s10, 0, v4, s10
                                        ; implicit-def: $vgpr2_vgpr3
	s_and_saveexec_b32 s10, vcc_lo
	s_xor_b32 s10, exec_lo, s10
	s_cbranch_execnz .LBB62_103
; %bb.46:
	s_or_b32 exec_lo, exec_lo, s10
                                        ; implicit-def: $vgpr4_vgpr5
	s_and_saveexec_b32 s10, s2
	s_cbranch_execnz .LBB62_104
.LBB62_47:
	s_or_b32 exec_lo, exec_lo, s10
                                        ; implicit-def: $vgpr6_vgpr7
	s_and_saveexec_b32 s2, s3
	s_cbranch_execnz .LBB62_105
.LBB62_48:
	s_or_b32 exec_lo, exec_lo, s2
                                        ; implicit-def: $vgpr8_vgpr9
	s_and_saveexec_b32 s2, s4
	s_cbranch_execz .LBB62_50
.LBB62_49:
	global_load_b64 v[8:9], v[10:11], off offset:768
.LBB62_50:
	s_or_b32 exec_lo, exec_lo, s2
	v_dual_mov_b32 v11, 0 :: v_dual_mov_b32 v24, 0
	s_and_saveexec_b32 s2, s6
	s_cbranch_execz .LBB62_52
; %bb.51:
	ds_load_u16 v10, v22 offset:2048
	s_waitcnt lgkmcnt(0)
	v_lshrrev_b32_e32 v10, s28, v10
	s_delay_alu instid0(VALU_DEP_1)
	v_and_b32_e32 v24, s33, v10
.LBB62_52:
	s_or_b32 exec_lo, exec_lo, s2
	s_and_saveexec_b32 s2, s7
	s_cbranch_execz .LBB62_54
; %bb.53:
	ds_load_u16 v10, v22 offset:4096
	s_waitcnt lgkmcnt(0)
	v_lshrrev_b32_e32 v10, s28, v10
	s_delay_alu instid0(VALU_DEP_1)
	v_and_b32_e32 v11, s33, v10
.LBB62_54:
	s_or_b32 exec_lo, exec_lo, s2
	v_dual_mov_b32 v10, 0 :: v_dual_mov_b32 v23, 0
	s_and_saveexec_b32 s2, s8
	s_cbranch_execz .LBB62_56
; %bb.55:
	ds_load_u16 v23, v22 offset:6144
	s_waitcnt lgkmcnt(0)
	v_lshrrev_b32_e32 v23, s28, v23
	s_delay_alu instid0(VALU_DEP_1)
	v_and_b32_e32 v23, s33, v23
.LBB62_56:
	s_or_b32 exec_lo, exec_lo, s2
	s_and_saveexec_b32 s2, s9
	s_cbranch_execz .LBB62_58
; %bb.57:
	ds_load_u16 v10, v22 offset:8192
	s_waitcnt lgkmcnt(0)
	v_lshrrev_b32_e32 v10, s28, v10
	s_delay_alu instid0(VALU_DEP_1)
	v_and_b32_e32 v10, s33, v10
.LBB62_58:
	s_or_b32 exec_lo, exec_lo, s2
	v_lshlrev_b32_e32 v21, 3, v21
	v_lshlrev_b32_e32 v19, 3, v19
	;; [unrolled: 1-line block ×3, first 2 shown]
	s_waitcnt vmcnt(0)
	s_waitcnt_vscnt null, 0x0
	s_barrier
	buffer_gl0_inv
	v_lshlrev_b32_e32 v14, 3, v14
	ds_store_b64 v21, v[2:3] offset:2048
	ds_store_b64 v19, v[4:5] offset:2048
	;; [unrolled: 1-line block ×3, first 2 shown]
	v_lshlrev_b32_e32 v2, 3, v1
	ds_store_b64 v14, v[8:9] offset:2048
	s_waitcnt lgkmcnt(0)
	s_barrier
	buffer_gl0_inv
	s_and_saveexec_b32 s2, s6
	s_cbranch_execnz .LBB62_106
; %bb.59:
	s_or_b32 exec_lo, exec_lo, s2
	s_and_saveexec_b32 s2, s7
	s_cbranch_execnz .LBB62_107
.LBB62_60:
	s_or_b32 exec_lo, exec_lo, s2
	s_and_saveexec_b32 s2, s8
	s_cbranch_execnz .LBB62_108
.LBB62_61:
	s_or_b32 exec_lo, exec_lo, s2
	s_and_saveexec_b32 s2, s9
	s_cbranch_execz .LBB62_63
.LBB62_62:
	v_lshlrev_b32_e32 v3, 3, v10
	ds_load_b64 v[3:4], v3
	ds_load_b64 v[5:6], v2 offset:26624
	s_waitcnt lgkmcnt(1)
	v_lshlrev_b64 v[2:3], 3, v[3:4]
	v_lshlrev_b32_e32 v4, 3, v20
	s_delay_alu instid0(VALU_DEP_2) | instskip(NEXT) | instid1(VALU_DEP_3)
	v_add_co_u32 v2, vcc_lo, s22, v2
	v_add_co_ci_u32_e32 v3, vcc_lo, s23, v3, vcc_lo
	s_delay_alu instid0(VALU_DEP_2) | instskip(NEXT) | instid1(VALU_DEP_2)
	v_add_co_u32 v2, vcc_lo, v2, v4
	v_add_co_ci_u32_e32 v3, vcc_lo, 0, v3, vcc_lo
	s_waitcnt lgkmcnt(0)
	global_store_b64 v[2:3], v[5:6], off
.LBB62_63:
	s_or_b32 exec_lo, exec_lo, s2
	s_add_i32 s14, s14, -1
	s_mov_b32 s2, 0
	s_cmp_eq_u32 s15, s14
	s_mov_b32 s8, 0
	s_cselect_b32 s3, -1, 0
                                        ; implicit-def: $vgpr5_vgpr6
	s_delay_alu instid0(SALU_CYCLE_1) | instskip(NEXT) | instid1(SALU_CYCLE_1)
	s_and_b32 s3, s5, s3
	s_and_saveexec_b32 s4, s3
	s_delay_alu instid0(SALU_CYCLE_1)
	s_xor_b32 s3, exec_lo, s4
; %bb.64:
	v_add_co_u32 v5, s4, v16, v17
	v_mov_b32_e32 v2, 0
	v_add_co_ci_u32_e64 v6, null, 0, 0, s4
	s_mov_b32 s8, exec_lo
; %bb.65:
	s_or_b32 exec_lo, exec_lo, s3
	s_delay_alu instid0(SALU_CYCLE_1)
	s_and_b32 vcc_lo, exec_lo, s2
	s_cbranch_vccnz .LBB62_67
	s_branch .LBB62_100
.LBB62_66:
	s_mov_b32 s8, 0
                                        ; implicit-def: $vgpr5_vgpr6
	s_cbranch_execz .LBB62_100
.LBB62_67:
	v_lshlrev_b32_e32 v13, 2, v1
	s_lshl_b32 s6, s15, 12
	s_mov_b32 s7, 0
	v_dual_mov_b32 v9, 0 :: v_dual_lshlrev_b32 v2, 1, v12
	s_delay_alu instid0(VALU_DEP_2) | instskip(SKIP_1) | instid1(SALU_CYCLE_1)
	v_and_b32_e32 v11, 0xf80, v13
	s_lshl_b64 s[2:3], s[6:7], 1
	s_add_u32 s2, s16, s2
	s_addc_u32 s3, s17, s3
	s_delay_alu instid0(VALU_DEP_1) | instskip(SKIP_1) | instid1(VALU_DEP_1)
	v_lshlrev_b32_e32 v3, 1, v11
	v_add_co_u32 v2, s2, s2, v2
	v_add_co_ci_u32_e64 v4, null, s3, 0, s2
	s_delay_alu instid0(VALU_DEP_2) | instskip(NEXT) | instid1(VALU_DEP_2)
	v_add_co_u32 v2, vcc_lo, v2, v3
	v_add_co_ci_u32_e32 v3, vcc_lo, 0, v4, vcc_lo
	global_load_u16 v6, v[2:3], off
	s_clause 0x1
	s_load_b32 s2, s[0:1], 0x5c
	s_load_b32 s9, s[0:1], 0x50
	s_add_u32 s0, s0, 0x50
	s_addc_u32 s1, s1, 0
	s_waitcnt lgkmcnt(0)
	s_lshr_b32 s2, s2, 16
	s_cmp_lt_u32 s15, s9
	s_cselect_b32 s3, 12, 18
	s_delay_alu instid0(SALU_CYCLE_1)
	s_add_u32 s0, s0, s3
	s_addc_u32 s1, s1, 0
	global_load_u16 v14, v9, s[0:1]
	s_clause 0x2
	global_load_u16 v5, v[2:3], off offset:64
	global_load_u16 v4, v[2:3], off offset:128
	;; [unrolled: 1-line block ×3, first 2 shown]
	s_lshl_b32 s0, -1, s29
	s_delay_alu instid0(SALU_CYCLE_1) | instskip(SKIP_2) | instid1(VALU_DEP_1)
	s_not_b32 s10, s0
	s_waitcnt vmcnt(4)
	v_xor_b32_e32 v10, 0x7fff, v6
	v_and_b32_e32 v3, 0xffff, v10
	s_delay_alu instid0(VALU_DEP_1) | instskip(NEXT) | instid1(VALU_DEP_1)
	v_lshrrev_b32_e32 v3, s28, v3
	v_and_b32_e32 v16, s10, v3
	v_bfe_u32 v3, v0, 10, 10
	v_bfe_u32 v0, v0, 20, 10
	s_delay_alu instid0(VALU_DEP_3)
	v_and_b32_e32 v6, 1, v16
	v_lshlrev_b32_e32 v7, 30, v16
	v_lshlrev_b32_e32 v8, 29, v16
	v_lshlrev_b32_e32 v15, 28, v16
	v_lshlrev_b32_e32 v18, 27, v16
	v_add_co_u32 v6, s0, v6, -1
	s_delay_alu instid0(VALU_DEP_1)
	v_cndmask_b32_e64 v17, 0, 1, s0
	v_not_b32_e32 v21, v7
	v_cmp_gt_i32_e64 s0, 0, v7
	v_not_b32_e32 v7, v8
	v_lshlrev_b32_e32 v19, 26, v16
	v_cmp_ne_u32_e32 vcc_lo, 0, v17
	v_ashrrev_i32_e32 v21, 31, v21
	v_lshlrev_b32_e32 v20, 25, v16
	v_ashrrev_i32_e32 v7, 31, v7
	v_lshlrev_b32_e32 v17, 24, v16
	v_xor_b32_e32 v6, vcc_lo, v6
	v_cmp_gt_i32_e32 vcc_lo, 0, v8
	v_not_b32_e32 v8, v15
	v_xor_b32_e32 v21, s0, v21
	v_cmp_gt_i32_e64 s0, 0, v15
	v_and_b32_e32 v6, exec_lo, v6
	v_not_b32_e32 v15, v18
	v_ashrrev_i32_e32 v8, 31, v8
	v_xor_b32_e32 v7, vcc_lo, v7
	v_cmp_gt_i32_e32 vcc_lo, 0, v18
	v_and_b32_e32 v6, v6, v21
	v_not_b32_e32 v18, v19
	v_ashrrev_i32_e32 v15, 31, v15
	v_xor_b32_e32 v8, s0, v8
	v_cmp_gt_i32_e64 s0, 0, v19
	v_and_b32_e32 v6, v6, v7
	v_not_b32_e32 v7, v20
	v_ashrrev_i32_e32 v18, 31, v18
	v_xor_b32_e32 v15, vcc_lo, v15
	v_cmp_gt_i32_e32 vcc_lo, 0, v20
	v_and_b32_e32 v6, v6, v8
	v_not_b32_e32 v8, v17
	v_ashrrev_i32_e32 v7, 31, v7
	v_xor_b32_e32 v18, s0, v18
	v_cmp_gt_i32_e64 s0, 0, v17
	v_and_b32_e32 v6, v6, v15
	v_ashrrev_i32_e32 v8, 31, v8
	v_xor_b32_e32 v7, vcc_lo, v7
	v_mad_u32_u24 v0, v0, s2, v3
	v_mul_u32_u24_e32 v15, 9, v1
	v_and_b32_e32 v6, v6, v18
	v_xor_b32_e32 v3, s0, v8
	s_delay_alu instid0(VALU_DEP_3) | instskip(NEXT) | instid1(VALU_DEP_3)
	v_lshlrev_b32_e32 v15, 2, v15
	v_and_b32_e32 v6, v6, v7
	s_waitcnt vmcnt(0)
	v_mad_u64_u32 v[7:8], null, v0, v14, v[1:2]
	ds_store_2addr_b32 v15, v9, v9 offset0:32 offset1:33
	ds_store_2addr_b32 v15, v9, v9 offset0:34 offset1:35
	;; [unrolled: 1-line block ×4, first 2 shown]
	v_and_b32_e32 v6, v6, v3
	ds_store_b32 v15, v9 offset:160
	s_waitcnt lgkmcnt(0)
	s_waitcnt_vscnt null, 0x0
	s_barrier
	v_lshrrev_b32_e32 v3, 5, v7
	v_mbcnt_lo_u32_b32 v0, v6, 0
	v_mul_u32_u24_e32 v7, 33, v16
	v_cmp_ne_u32_e64 s0, 0, v6
	buffer_gl0_inv
	v_cmp_eq_u32_e32 vcc_lo, 0, v0
	v_add_lshl_u32 v16, v3, v7, 2
	; wave barrier
	s_and_b32 s1, s0, vcc_lo
	s_delay_alu instid0(SALU_CYCLE_1)
	s_and_saveexec_b32 s0, s1
	s_cbranch_execz .LBB62_69
; %bb.68:
	v_bcnt_u32_b32 v6, v6, 0
	ds_store_b32 v16, v6 offset:128
.LBB62_69:
	s_or_b32 exec_lo, exec_lo, s0
	v_xor_b32_e32 v14, 0x7fff, v5
	; wave barrier
	s_delay_alu instid0(VALU_DEP_1) | instskip(NEXT) | instid1(VALU_DEP_1)
	v_and_b32_e32 v5, 0xffff, v14
	v_lshrrev_b32_e32 v5, s28, v5
	s_delay_alu instid0(VALU_DEP_1) | instskip(NEXT) | instid1(VALU_DEP_1)
	v_and_b32_e32 v5, s10, v5
	v_and_b32_e32 v6, 1, v5
	v_lshlrev_b32_e32 v7, 30, v5
	v_lshlrev_b32_e32 v8, 29, v5
	;; [unrolled: 1-line block ×4, first 2 shown]
	v_add_co_u32 v6, s0, v6, -1
	s_delay_alu instid0(VALU_DEP_1)
	v_cndmask_b32_e64 v17, 0, 1, s0
	v_not_b32_e32 v21, v7
	v_cmp_gt_i32_e64 s0, 0, v7
	v_not_b32_e32 v7, v8
	v_lshlrev_b32_e32 v19, 26, v5
	v_cmp_ne_u32_e32 vcc_lo, 0, v17
	v_ashrrev_i32_e32 v21, 31, v21
	v_lshlrev_b32_e32 v20, 25, v5
	v_ashrrev_i32_e32 v7, 31, v7
	v_lshlrev_b32_e32 v17, 24, v5
	v_xor_b32_e32 v6, vcc_lo, v6
	v_cmp_gt_i32_e32 vcc_lo, 0, v8
	v_not_b32_e32 v8, v9
	v_xor_b32_e32 v21, s0, v21
	v_cmp_gt_i32_e64 s0, 0, v9
	v_and_b32_e32 v6, exec_lo, v6
	v_not_b32_e32 v9, v18
	v_ashrrev_i32_e32 v8, 31, v8
	v_xor_b32_e32 v7, vcc_lo, v7
	v_cmp_gt_i32_e32 vcc_lo, 0, v18
	v_and_b32_e32 v6, v6, v21
	v_not_b32_e32 v18, v19
	v_ashrrev_i32_e32 v9, 31, v9
	v_xor_b32_e32 v8, s0, v8
	v_cmp_gt_i32_e64 s0, 0, v19
	v_and_b32_e32 v6, v6, v7
	v_not_b32_e32 v7, v20
	v_ashrrev_i32_e32 v18, 31, v18
	v_xor_b32_e32 v9, vcc_lo, v9
	v_cmp_gt_i32_e32 vcc_lo, 0, v20
	v_and_b32_e32 v6, v6, v8
	v_not_b32_e32 v8, v17
	v_ashrrev_i32_e32 v7, 31, v7
	v_xor_b32_e32 v18, s0, v18
	v_mul_u32_u24_e32 v5, 33, v5
	v_and_b32_e32 v6, v6, v9
	v_cmp_gt_i32_e64 s0, 0, v17
	v_ashrrev_i32_e32 v8, 31, v8
	v_xor_b32_e32 v7, vcc_lo, v7
	v_add_lshl_u32 v20, v3, v5, 2
	v_and_b32_e32 v6, v6, v18
	s_delay_alu instid0(VALU_DEP_4) | instskip(SKIP_2) | instid1(VALU_DEP_1)
	v_xor_b32_e32 v5, s0, v8
	ds_load_b32 v17, v20 offset:128
	v_and_b32_e32 v6, v6, v7
	; wave barrier
	v_and_b32_e32 v5, v6, v5
	s_delay_alu instid0(VALU_DEP_1) | instskip(SKIP_1) | instid1(VALU_DEP_2)
	v_mbcnt_lo_u32_b32 v18, v5, 0
	v_cmp_ne_u32_e64 s0, 0, v5
	v_cmp_eq_u32_e32 vcc_lo, 0, v18
	s_delay_alu instid0(VALU_DEP_2) | instskip(NEXT) | instid1(SALU_CYCLE_1)
	s_and_b32 s1, s0, vcc_lo
	s_and_saveexec_b32 s0, s1
	s_cbranch_execz .LBB62_71
; %bb.70:
	s_waitcnt lgkmcnt(0)
	v_bcnt_u32_b32 v5, v5, v17
	ds_store_b32 v20, v5 offset:128
.LBB62_71:
	s_or_b32 exec_lo, exec_lo, s0
	v_xor_b32_e32 v19, 0x7fff, v4
	; wave barrier
	s_delay_alu instid0(VALU_DEP_1) | instskip(NEXT) | instid1(VALU_DEP_1)
	v_and_b32_e32 v4, 0xffff, v19
	v_lshrrev_b32_e32 v4, s28, v4
	s_delay_alu instid0(VALU_DEP_1) | instskip(NEXT) | instid1(VALU_DEP_1)
	v_and_b32_e32 v4, s10, v4
	v_and_b32_e32 v5, 1, v4
	v_lshlrev_b32_e32 v6, 30, v4
	v_lshlrev_b32_e32 v7, 29, v4
	v_lshlrev_b32_e32 v8, 28, v4
	v_lshlrev_b32_e32 v21, 27, v4
	v_add_co_u32 v5, s0, v5, -1
	s_delay_alu instid0(VALU_DEP_1)
	v_cndmask_b32_e64 v9, 0, 1, s0
	v_not_b32_e32 v24, v6
	v_cmp_gt_i32_e64 s0, 0, v6
	v_not_b32_e32 v6, v7
	v_lshlrev_b32_e32 v22, 26, v4
	v_cmp_ne_u32_e32 vcc_lo, 0, v9
	v_ashrrev_i32_e32 v24, 31, v24
	v_lshlrev_b32_e32 v23, 25, v4
	v_ashrrev_i32_e32 v6, 31, v6
	v_lshlrev_b32_e32 v9, 24, v4
	v_xor_b32_e32 v5, vcc_lo, v5
	v_cmp_gt_i32_e32 vcc_lo, 0, v7
	v_not_b32_e32 v7, v8
	v_xor_b32_e32 v24, s0, v24
	v_cmp_gt_i32_e64 s0, 0, v8
	v_and_b32_e32 v5, exec_lo, v5
	v_not_b32_e32 v8, v21
	v_ashrrev_i32_e32 v7, 31, v7
	v_xor_b32_e32 v6, vcc_lo, v6
	v_cmp_gt_i32_e32 vcc_lo, 0, v21
	v_and_b32_e32 v5, v5, v24
	v_not_b32_e32 v21, v22
	v_ashrrev_i32_e32 v8, 31, v8
	v_xor_b32_e32 v7, s0, v7
	v_cmp_gt_i32_e64 s0, 0, v22
	v_and_b32_e32 v5, v5, v6
	v_not_b32_e32 v6, v23
	v_ashrrev_i32_e32 v21, 31, v21
	v_xor_b32_e32 v8, vcc_lo, v8
	v_cmp_gt_i32_e32 vcc_lo, 0, v23
	v_and_b32_e32 v5, v5, v7
	v_not_b32_e32 v7, v9
	v_ashrrev_i32_e32 v6, 31, v6
	v_xor_b32_e32 v21, s0, v21
	v_mul_u32_u24_e32 v4, 33, v4
	v_and_b32_e32 v5, v5, v8
	v_cmp_gt_i32_e64 s0, 0, v9
	v_ashrrev_i32_e32 v7, 31, v7
	v_xor_b32_e32 v6, vcc_lo, v6
	v_add_lshl_u32 v24, v3, v4, 2
	v_and_b32_e32 v5, v5, v21
	s_delay_alu instid0(VALU_DEP_4) | instskip(SKIP_2) | instid1(VALU_DEP_1)
	v_xor_b32_e32 v4, s0, v7
	ds_load_b32 v21, v24 offset:128
	v_and_b32_e32 v5, v5, v6
	; wave barrier
	v_and_b32_e32 v4, v5, v4
	s_delay_alu instid0(VALU_DEP_1) | instskip(SKIP_1) | instid1(VALU_DEP_2)
	v_mbcnt_lo_u32_b32 v22, v4, 0
	v_cmp_ne_u32_e64 s0, 0, v4
	v_cmp_eq_u32_e32 vcc_lo, 0, v22
	s_delay_alu instid0(VALU_DEP_2) | instskip(NEXT) | instid1(SALU_CYCLE_1)
	s_and_b32 s1, s0, vcc_lo
	s_and_saveexec_b32 s0, s1
	s_cbranch_execz .LBB62_73
; %bb.72:
	s_waitcnt lgkmcnt(0)
	v_bcnt_u32_b32 v4, v4, v21
	ds_store_b32 v24, v4 offset:128
.LBB62_73:
	s_or_b32 exec_lo, exec_lo, s0
	v_xor_b32_e32 v23, 0x7fff, v2
	; wave barrier
	v_add_nc_u32_e32 v28, 0x80, v15
	s_delay_alu instid0(VALU_DEP_2) | instskip(NEXT) | instid1(VALU_DEP_1)
	v_and_b32_e32 v2, 0xffff, v23
	v_lshrrev_b32_e32 v2, s28, v2
	s_delay_alu instid0(VALU_DEP_1) | instskip(NEXT) | instid1(VALU_DEP_1)
	v_and_b32_e32 v2, s10, v2
	v_and_b32_e32 v4, 1, v2
	v_lshlrev_b32_e32 v5, 30, v2
	v_lshlrev_b32_e32 v6, 29, v2
	;; [unrolled: 1-line block ×4, first 2 shown]
	v_add_co_u32 v4, s0, v4, -1
	s_delay_alu instid0(VALU_DEP_1)
	v_cndmask_b32_e64 v8, 0, 1, s0
	v_not_b32_e32 v27, v5
	v_cmp_gt_i32_e64 s0, 0, v5
	v_not_b32_e32 v5, v6
	v_lshlrev_b32_e32 v25, 26, v2
	v_cmp_ne_u32_e32 vcc_lo, 0, v8
	v_ashrrev_i32_e32 v27, 31, v27
	v_lshlrev_b32_e32 v26, 25, v2
	v_ashrrev_i32_e32 v5, 31, v5
	v_lshlrev_b32_e32 v8, 24, v2
	v_xor_b32_e32 v4, vcc_lo, v4
	v_cmp_gt_i32_e32 vcc_lo, 0, v6
	v_not_b32_e32 v6, v7
	v_xor_b32_e32 v27, s0, v27
	v_cmp_gt_i32_e64 s0, 0, v7
	v_and_b32_e32 v4, exec_lo, v4
	v_not_b32_e32 v7, v9
	v_ashrrev_i32_e32 v6, 31, v6
	v_xor_b32_e32 v5, vcc_lo, v5
	v_cmp_gt_i32_e32 vcc_lo, 0, v9
	v_and_b32_e32 v4, v4, v27
	v_not_b32_e32 v9, v25
	v_ashrrev_i32_e32 v7, 31, v7
	v_xor_b32_e32 v6, s0, v6
	v_cmp_gt_i32_e64 s0, 0, v25
	v_and_b32_e32 v4, v4, v5
	v_not_b32_e32 v5, v26
	v_ashrrev_i32_e32 v9, 31, v9
	v_xor_b32_e32 v7, vcc_lo, v7
	v_cmp_gt_i32_e32 vcc_lo, 0, v26
	v_and_b32_e32 v4, v4, v6
	v_not_b32_e32 v6, v8
	v_ashrrev_i32_e32 v5, 31, v5
	v_xor_b32_e32 v9, s0, v9
	v_mul_u32_u24_e32 v2, 33, v2
	v_and_b32_e32 v4, v4, v7
	v_cmp_gt_i32_e64 s0, 0, v8
	v_ashrrev_i32_e32 v6, 31, v6
	v_xor_b32_e32 v5, vcc_lo, v5
	v_add_lshl_u32 v27, v3, v2, 2
	v_and_b32_e32 v4, v4, v9
	s_delay_alu instid0(VALU_DEP_4) | instskip(SKIP_2) | instid1(VALU_DEP_1)
	v_xor_b32_e32 v2, s0, v6
	ds_load_b32 v25, v27 offset:128
	v_and_b32_e32 v3, v4, v5
	; wave barrier
	v_and_b32_e32 v2, v3, v2
	s_delay_alu instid0(VALU_DEP_1) | instskip(SKIP_1) | instid1(VALU_DEP_2)
	v_mbcnt_lo_u32_b32 v26, v2, 0
	v_cmp_ne_u32_e64 s0, 0, v2
	v_cmp_eq_u32_e32 vcc_lo, 0, v26
	s_delay_alu instid0(VALU_DEP_2) | instskip(NEXT) | instid1(SALU_CYCLE_1)
	s_and_b32 s1, s0, vcc_lo
	s_and_saveexec_b32 s0, s1
	s_cbranch_execz .LBB62_75
; %bb.74:
	s_waitcnt lgkmcnt(0)
	v_bcnt_u32_b32 v2, v2, v25
	ds_store_b32 v27, v2 offset:128
.LBB62_75:
	s_or_b32 exec_lo, exec_lo, s0
	; wave barrier
	s_waitcnt lgkmcnt(0)
	s_barrier
	buffer_gl0_inv
	ds_load_2addr_b32 v[8:9], v15 offset0:32 offset1:33
	ds_load_2addr_b32 v[6:7], v28 offset0:2 offset1:3
	;; [unrolled: 1-line block ×4, first 2 shown]
	ds_load_b32 v29, v28 offset:32
	v_and_b32_e32 v32, 16, v12
	v_and_b32_e32 v33, 31, v1
	s_mov_b32 s5, exec_lo
	s_delay_alu instid0(VALU_DEP_2) | instskip(SKIP_3) | instid1(VALU_DEP_1)
	v_cmp_eq_u32_e64 s3, 0, v32
	s_waitcnt lgkmcnt(3)
	v_add3_u32 v30, v9, v8, v6
	s_waitcnt lgkmcnt(2)
	v_add3_u32 v30, v30, v7, v4
	s_waitcnt lgkmcnt(1)
	s_delay_alu instid0(VALU_DEP_1) | instskip(SKIP_1) | instid1(VALU_DEP_1)
	v_add3_u32 v30, v30, v5, v2
	s_waitcnt lgkmcnt(0)
	v_add3_u32 v29, v30, v3, v29
	v_and_b32_e32 v30, 15, v12
	s_delay_alu instid0(VALU_DEP_2) | instskip(NEXT) | instid1(VALU_DEP_2)
	v_mov_b32_dpp v31, v29 row_shr:1 row_mask:0xf bank_mask:0xf
	v_cmp_eq_u32_e32 vcc_lo, 0, v30
	v_cmp_lt_u32_e64 s0, 1, v30
	v_cmp_lt_u32_e64 s1, 3, v30
	;; [unrolled: 1-line block ×3, first 2 shown]
	v_cndmask_b32_e64 v31, v31, 0, vcc_lo
	s_delay_alu instid0(VALU_DEP_1) | instskip(NEXT) | instid1(VALU_DEP_1)
	v_add_nc_u32_e32 v29, v31, v29
	v_mov_b32_dpp v31, v29 row_shr:2 row_mask:0xf bank_mask:0xf
	s_delay_alu instid0(VALU_DEP_1) | instskip(NEXT) | instid1(VALU_DEP_1)
	v_cndmask_b32_e64 v31, 0, v31, s0
	v_add_nc_u32_e32 v29, v29, v31
	s_delay_alu instid0(VALU_DEP_1) | instskip(NEXT) | instid1(VALU_DEP_1)
	v_mov_b32_dpp v31, v29 row_shr:4 row_mask:0xf bank_mask:0xf
	v_cndmask_b32_e64 v31, 0, v31, s1
	s_delay_alu instid0(VALU_DEP_1) | instskip(NEXT) | instid1(VALU_DEP_1)
	v_add_nc_u32_e32 v29, v29, v31
	v_mov_b32_dpp v31, v29 row_shr:8 row_mask:0xf bank_mask:0xf
	s_delay_alu instid0(VALU_DEP_1) | instskip(SKIP_1) | instid1(VALU_DEP_2)
	v_cndmask_b32_e64 v30, 0, v31, s2
	v_bfe_i32 v31, v12, 4, 1
	v_add_nc_u32_e32 v29, v29, v30
	ds_swizzle_b32 v30, v29 offset:swizzle(BROADCAST,32,15)
	s_waitcnt lgkmcnt(0)
	v_and_b32_e32 v31, v31, v30
	v_lshrrev_b32_e32 v30, 5, v1
	s_delay_alu instid0(VALU_DEP_2)
	v_add_nc_u32_e32 v29, v29, v31
	v_cmpx_eq_u32_e32 31, v33
	s_cbranch_execz .LBB62_77
; %bb.76:
	s_delay_alu instid0(VALU_DEP_3)
	v_lshlrev_b32_e32 v31, 2, v30
	ds_store_b32 v31, v29
.LBB62_77:
	s_or_b32 exec_lo, exec_lo, s5
	v_cmp_lt_u32_e64 s4, 31, v1
	s_mov_b32 s11, exec_lo
	s_waitcnt lgkmcnt(0)
	s_barrier
	buffer_gl0_inv
	v_cmpx_gt_u32_e32 32, v1
	s_cbranch_execz .LBB62_79
; %bb.78:
	ds_load_b32 v31, v13
	s_waitcnt lgkmcnt(0)
	v_mov_b32_dpp v32, v31 row_shr:1 row_mask:0xf bank_mask:0xf
	s_delay_alu instid0(VALU_DEP_1) | instskip(NEXT) | instid1(VALU_DEP_1)
	v_cndmask_b32_e64 v32, v32, 0, vcc_lo
	v_add_nc_u32_e32 v31, v32, v31
	s_delay_alu instid0(VALU_DEP_1) | instskip(NEXT) | instid1(VALU_DEP_1)
	v_mov_b32_dpp v32, v31 row_shr:2 row_mask:0xf bank_mask:0xf
	v_cndmask_b32_e64 v32, 0, v32, s0
	s_delay_alu instid0(VALU_DEP_1) | instskip(NEXT) | instid1(VALU_DEP_1)
	v_add_nc_u32_e32 v31, v31, v32
	v_mov_b32_dpp v32, v31 row_shr:4 row_mask:0xf bank_mask:0xf
	s_delay_alu instid0(VALU_DEP_1) | instskip(NEXT) | instid1(VALU_DEP_1)
	v_cndmask_b32_e64 v32, 0, v32, s1
	v_add_nc_u32_e32 v31, v31, v32
	s_delay_alu instid0(VALU_DEP_1) | instskip(NEXT) | instid1(VALU_DEP_1)
	v_mov_b32_dpp v32, v31 row_shr:8 row_mask:0xf bank_mask:0xf
	v_cndmask_b32_e64 v32, 0, v32, s2
	s_delay_alu instid0(VALU_DEP_1) | instskip(SKIP_3) | instid1(VALU_DEP_1)
	v_add_nc_u32_e32 v31, v31, v32
	ds_swizzle_b32 v32, v31 offset:swizzle(BROADCAST,32,15)
	s_waitcnt lgkmcnt(0)
	v_cndmask_b32_e64 v32, v32, 0, s3
	v_add_nc_u32_e32 v31, v31, v32
	ds_store_b32 v13, v31
.LBB62_79:
	s_or_b32 exec_lo, exec_lo, s11
	v_mov_b32_e32 v13, 0
	s_waitcnt lgkmcnt(0)
	s_barrier
	buffer_gl0_inv
	s_and_saveexec_b32 s0, s4
	s_cbranch_execz .LBB62_81
; %bb.80:
	v_lshl_add_u32 v13, v30, 2, -4
	ds_load_b32 v13, v13
.LBB62_81:
	s_or_b32 exec_lo, exec_lo, s0
	v_add_nc_u32_e32 v30, -1, v12
	v_cmp_lt_u32_e64 s0, 0xff, v1
	s_waitcnt lgkmcnt(0)
	v_add_nc_u32_e32 v29, v13, v29
	s_delay_alu instid0(VALU_DEP_3) | instskip(SKIP_2) | instid1(VALU_DEP_2)
	v_cmp_gt_i32_e32 vcc_lo, 0, v30
	v_cndmask_b32_e32 v30, v30, v12, vcc_lo
	v_cmp_eq_u32_e32 vcc_lo, 0, v12
	v_lshlrev_b32_e32 v30, 2, v30
	ds_bpermute_b32 v29, v30, v29
	s_waitcnt lgkmcnt(0)
	v_cndmask_b32_e32 v13, v29, v13, vcc_lo
	v_cmp_ne_u32_e32 vcc_lo, 0, v1
	s_delay_alu instid0(VALU_DEP_2) | instskip(SKIP_1) | instid1(VALU_DEP_2)
	v_cndmask_b32_e32 v13, 0, v13, vcc_lo
	v_cmp_gt_u32_e32 vcc_lo, 0x100, v1
	v_add_nc_u32_e32 v8, v13, v8
	s_delay_alu instid0(VALU_DEP_1) | instskip(NEXT) | instid1(VALU_DEP_1)
	v_add_nc_u32_e32 v9, v8, v9
	v_add_nc_u32_e32 v6, v9, v6
	s_delay_alu instid0(VALU_DEP_1) | instskip(NEXT) | instid1(VALU_DEP_1)
	v_add_nc_u32_e32 v7, v6, v7
	;; [unrolled: 3-line block ×3, first 2 shown]
	v_add_nc_u32_e32 v2, v5, v2
	s_delay_alu instid0(VALU_DEP_1)
	v_add_nc_u32_e32 v3, v2, v3
	ds_store_2addr_b32 v15, v13, v8 offset0:32 offset1:33
	ds_store_2addr_b32 v28, v9, v6 offset0:2 offset1:3
	ds_store_2addr_b32 v28, v7, v4 offset0:4 offset1:5
	ds_store_2addr_b32 v28, v5, v2 offset0:6 offset1:7
	ds_store_b32 v28, v3 offset:32
	s_waitcnt lgkmcnt(0)
	s_barrier
	buffer_gl0_inv
	ds_load_b32 v2, v16 offset:128
	ds_load_b32 v5, v20 offset:128
	;; [unrolled: 1-line block ×4, first 2 shown]
	v_mov_b32_e32 v3, 0
	v_mov_b32_e32 v4, 0
                                        ; implicit-def: $vgpr13
	s_and_saveexec_b32 s2, vcc_lo
	s_cbranch_execz .LBB62_85
; %bb.82:
	v_mul_u32_u24_e32 v3, 33, v1
	v_mov_b32_e32 v4, 0x1000
	s_mov_b32 s3, exec_lo
	s_delay_alu instid0(VALU_DEP_2)
	v_lshlrev_b32_e32 v8, 2, v3
	ds_load_b32 v3, v8 offset:128
	v_cmpx_ne_u32_e32 0xff, v1
	s_cbranch_execz .LBB62_84
; %bb.83:
	ds_load_b32 v4, v8 offset:260
.LBB62_84:
	s_or_b32 exec_lo, exec_lo, s3
	s_waitcnt lgkmcnt(0)
	v_sub_nc_u32_e32 v13, v4, v3
	v_mov_b32_e32 v4, 0
.LBB62_85:
	s_or_b32 exec_lo, exec_lo, s2
	s_waitcnt lgkmcnt(3)
	v_add_nc_u32_e32 v20, v2, v0
	s_waitcnt lgkmcnt(2)
	v_add3_u32 v16, v18, v17, v5
	s_waitcnt lgkmcnt(1)
	v_add3_u32 v15, v22, v21, v6
	;; [unrolled: 2-line block ×3, first 2 shown]
	v_lshlrev_b32_e32 v2, 1, v20
	v_lshlrev_b32_e32 v5, 1, v16
	;; [unrolled: 1-line block ×3, first 2 shown]
	s_delay_alu instid0(VALU_DEP_4)
	v_lshlrev_b32_e32 v7, 1, v0
	s_barrier
	buffer_gl0_inv
	ds_store_b16 v2, v10 offset:2048
	ds_store_b16 v5, v14 offset:2048
	;; [unrolled: 1-line block ×4, first 2 shown]
	s_waitcnt lgkmcnt(0)
	s_barrier
	buffer_gl0_inv
	s_and_saveexec_b32 s1, s0
	s_delay_alu instid0(SALU_CYCLE_1)
	s_xor_b32 s0, exec_lo, s1
; %bb.86:
	v_mov_b32_e32 v2, 0
; %bb.87:
	s_and_not1_saveexec_b32 s1, s0
	s_cbranch_execz .LBB62_97
; %bb.88:
	v_lshl_or_b32 v7, s15, 8, v1
	v_mov_b32_e32 v8, 0
	v_mov_b32_e32 v2, 0
	s_mov_b32 s2, 0
	s_mov_b32 s3, s15
	s_delay_alu instid0(VALU_DEP_2) | instskip(SKIP_1) | instid1(VALU_DEP_2)
	v_lshlrev_b64 v[5:6], 2, v[7:8]
	v_or_b32_e32 v7, 2.0, v13
	v_add_co_u32 v5, s0, s12, v5
	s_delay_alu instid0(VALU_DEP_1)
	v_add_co_ci_u32_e64 v6, s0, s13, v6, s0
                                        ; implicit-def: $sgpr0
	global_store_b32 v[5:6], v7, off
	s_branch .LBB62_91
	.p2align	6
.LBB62_89:                              ;   in Loop: Header=BB62_91 Depth=1
	s_or_b32 exec_lo, exec_lo, s5
.LBB62_90:                              ;   in Loop: Header=BB62_91 Depth=1
	s_delay_alu instid0(SALU_CYCLE_1) | instskip(SKIP_2) | instid1(VALU_DEP_2)
	s_or_b32 exec_lo, exec_lo, s4
	v_and_b32_e32 v9, 0x3fffffff, v14
	v_cmp_eq_u32_e64 s0, 0x80000000, v7
	v_add_nc_u32_e32 v2, v9, v2
	s_delay_alu instid0(VALU_DEP_2) | instskip(NEXT) | instid1(SALU_CYCLE_1)
	s_and_b32 s4, exec_lo, s0
	s_or_b32 s2, s4, s2
	s_delay_alu instid0(SALU_CYCLE_1)
	s_and_not1_b32 exec_lo, exec_lo, s2
	s_cbranch_execz .LBB62_96
.LBB62_91:                              ; =>This Loop Header: Depth=1
                                        ;     Child Loop BB62_94 Depth 2
	s_or_b32 s0, s0, exec_lo
	s_cmp_eq_u32 s3, 0
	s_cbranch_scc1 .LBB62_95
; %bb.92:                               ;   in Loop: Header=BB62_91 Depth=1
	s_add_i32 s3, s3, -1
	s_mov_b32 s4, exec_lo
	v_lshl_or_b32 v7, s3, 8, v1
	s_delay_alu instid0(VALU_DEP_1) | instskip(NEXT) | instid1(VALU_DEP_1)
	v_lshlrev_b64 v[9:10], 2, v[7:8]
	v_add_co_u32 v9, s0, s12, v9
	s_delay_alu instid0(VALU_DEP_1) | instskip(SKIP_3) | instid1(VALU_DEP_1)
	v_add_co_ci_u32_e64 v10, s0, s13, v10, s0
	global_load_b32 v14, v[9:10], off glc
	s_waitcnt vmcnt(0)
	v_and_b32_e32 v7, -2.0, v14
	v_cmpx_eq_u32_e32 0, v7
	s_cbranch_execz .LBB62_90
; %bb.93:                               ;   in Loop: Header=BB62_91 Depth=1
	s_mov_b32 s5, 0
.LBB62_94:                              ;   Parent Loop BB62_91 Depth=1
                                        ; =>  This Inner Loop Header: Depth=2
	global_load_b32 v14, v[9:10], off glc
	s_waitcnt vmcnt(0)
	v_and_b32_e32 v7, -2.0, v14
	s_delay_alu instid0(VALU_DEP_1) | instskip(NEXT) | instid1(VALU_DEP_1)
	v_cmp_ne_u32_e64 s0, 0, v7
	s_or_b32 s5, s0, s5
	s_delay_alu instid0(SALU_CYCLE_1)
	s_and_not1_b32 exec_lo, exec_lo, s5
	s_cbranch_execnz .LBB62_94
	s_branch .LBB62_89
.LBB62_95:                              ;   in Loop: Header=BB62_91 Depth=1
                                        ; implicit-def: $sgpr3
	s_and_b32 s4, exec_lo, s0
	s_delay_alu instid0(SALU_CYCLE_1) | instskip(NEXT) | instid1(SALU_CYCLE_1)
	s_or_b32 s2, s4, s2
	s_and_not1_b32 exec_lo, exec_lo, s2
	s_cbranch_execnz .LBB62_91
.LBB62_96:
	s_or_b32 exec_lo, exec_lo, s2
	v_add_nc_u32_e32 v7, v2, v13
	v_lshlrev_b32_e32 v8, 3, v1
	v_sub_co_u32 v2, s0, v2, v3
	s_delay_alu instid0(VALU_DEP_3)
	v_or_b32_e32 v7, 0x80000000, v7
	global_store_b32 v[5:6], v7, off
	global_load_b64 v[5:6], v8, s[24:25]
	v_sub_co_ci_u32_e64 v7, s0, 0, v4, s0
	s_waitcnt vmcnt(0)
	v_add_co_u32 v5, s0, v2, v5
	v_mov_b32_e32 v2, 0
	s_delay_alu instid0(VALU_DEP_3)
	v_add_co_ci_u32_e64 v6, s0, v7, v6, s0
	ds_store_b64 v8, v[5:6]
.LBB62_97:
	s_or_b32 exec_lo, exec_lo, s1
	v_lshlrev_b32_e32 v5, 3, v12
	s_lshl_b64 s[0:1], s[6:7], 3
	v_lshlrev_b32_e32 v6, 3, v11
	s_add_u32 s0, s20, s0
	s_addc_u32 s1, s21, s1
	v_add_co_u32 v5, s0, s0, v5
	s_delay_alu instid0(VALU_DEP_1) | instskip(SKIP_2) | instid1(VALU_DEP_2)
	v_add_co_ci_u32_e64 v7, null, s1, 0, s0
	s_waitcnt lgkmcnt(0)
	s_waitcnt_vscnt null, 0x0
	v_add_co_u32 v5, s0, v5, v6
	s_delay_alu instid0(VALU_DEP_1)
	v_add_co_ci_u32_e64 v6, s0, 0, v7, s0
	s_barrier
	buffer_gl0_inv
	v_lshlrev_b32_e32 v27, 1, v1
	s_clause 0x3
	global_load_b64 v[7:8], v[5:6], off
	global_load_b64 v[9:10], v[5:6], off offset:256
	global_load_b64 v[11:12], v[5:6], off offset:512
	;; [unrolled: 1-line block ×3, first 2 shown]
	v_lshlrev_b32_e32 v29, 1, v1
	v_lshlrev_b32_e32 v40, 3, v15
	;; [unrolled: 1-line block ×3, first 2 shown]
	ds_load_u16 v28, v27 offset:8192
	ds_load_u16 v19, v29 offset:2048
	;; [unrolled: 1-line block ×3, first 2 shown]
	v_lshlrev_b32_e32 v39, 3, v16
	v_lshlrev_b64 v[25:26], 1, v[1:2]
	v_or_b32_e32 v35, 0x800, v1
	v_or_b32_e32 v36, 0xc00, v1
	v_lshlrev_b32_e32 v0, 3, v0
	s_add_i32 s9, s9, -1
	s_delay_alu instid0(VALU_DEP_3) | instskip(NEXT) | instid1(VALU_DEP_3)
	v_lshlrev_b32_e32 v41, 1, v35
	v_lshlrev_b32_e32 v42, 1, v36
	s_cmp_eq_u32 s15, s9
	s_cselect_b32 s1, -1, 0
	s_delay_alu instid0(SALU_CYCLE_1)
	s_and_b32 s1, vcc_lo, s1
	s_waitcnt lgkmcnt(2)
	v_and_b32_e32 v14, 0xffff, v28
	s_waitcnt lgkmcnt(1)
	v_xor_b32_e32 v43, 0x7fff, v19
	s_waitcnt lgkmcnt(0)
	v_and_b32_e32 v21, 0xffff, v30
	v_xor_b32_e32 v30, 0x7fff, v30
	v_xor_b32_e32 v28, 0x7fff, v28
	v_lshrrev_b32_e32 v14, s28, v14
	s_delay_alu instid0(VALU_DEP_4) | instskip(NEXT) | instid1(VALU_DEP_2)
	v_lshrrev_b32_e32 v21, s28, v21
	v_and_b32_e32 v14, s10, v14
	s_delay_alu instid0(VALU_DEP_2) | instskip(NEXT) | instid1(VALU_DEP_2)
	v_and_b32_e32 v21, s10, v21
	v_lshlrev_b32_e32 v31, 3, v14
	ds_load_b64 v[17:18], v31
	ds_load_u16 v32, v27 offset:6144
	v_and_b32_e32 v14, 0xffff, v19
	v_lshlrev_b32_e32 v34, 3, v21
	s_delay_alu instid0(VALU_DEP_2) | instskip(NEXT) | instid1(VALU_DEP_1)
	v_lshrrev_b32_e32 v14, s28, v14
	v_and_b32_e32 v14, s10, v14
	s_delay_alu instid0(VALU_DEP_1)
	v_lshlrev_b32_e32 v33, 3, v14
	ds_load_b64 v[21:22], v33
	ds_load_b64 v[23:24], v34
	s_waitcnt lgkmcnt(2)
	v_and_b32_e32 v14, 0xffff, v32
	v_lshlrev_b64 v[16:17], 1, v[17:18]
	s_delay_alu instid0(VALU_DEP_2) | instskip(NEXT) | instid1(VALU_DEP_1)
	v_lshrrev_b32_e32 v14, s28, v14
	v_and_b32_e32 v14, s10, v14
	s_delay_alu instid0(VALU_DEP_1)
	v_lshlrev_b32_e32 v38, 3, v14
	s_waitcnt lgkmcnt(1)
	v_lshlrev_b64 v[19:20], 1, v[21:22]
	s_waitcnt lgkmcnt(0)
	v_lshlrev_b64 v[21:22], 1, v[23:24]
	ds_load_b64 v[14:15], v38
	v_xor_b32_e32 v23, 0x7fff, v32
	v_add_co_u32 v18, s0, s18, v19
	s_delay_alu instid0(VALU_DEP_1) | instskip(SKIP_1) | instid1(VALU_DEP_1)
	v_add_co_ci_u32_e64 v19, s0, s19, v20, s0
	v_add_co_u32 v20, s0, s18, v21
	v_add_co_ci_u32_e64 v21, s0, s19, v22, s0
	v_add_co_u32 v22, s0, s18, v16
	s_delay_alu instid0(VALU_DEP_1) | instskip(SKIP_1) | instid1(VALU_DEP_1)
	v_add_co_ci_u32_e64 v24, s0, s19, v17, s0
	v_add_co_u32 v16, s0, v18, v25
	v_add_co_ci_u32_e64 v17, s0, v19, v26, s0
	s_waitcnt lgkmcnt(0)
	v_lshlrev_b64 v[14:15], 1, v[14:15]
	s_delay_alu instid0(VALU_DEP_1) | instskip(NEXT) | instid1(VALU_DEP_1)
	v_add_co_u32 v18, s0, s18, v14
	v_add_co_ci_u32_e64 v19, s0, s19, v15, s0
	v_add_co_u32 v14, s0, v20, v25
	s_delay_alu instid0(VALU_DEP_1) | instskip(NEXT) | instid1(VALU_DEP_4)
	v_add_co_ci_u32_e64 v15, s0, v21, v26, s0
	v_add_co_u32 v18, s0, v18, v41
	s_delay_alu instid0(VALU_DEP_1) | instskip(SKIP_1) | instid1(VALU_DEP_1)
	v_add_co_ci_u32_e64 v19, s0, 0, v19, s0
	v_add_co_u32 v20, s0, v22, v42
	v_add_co_ci_u32_e64 v21, s0, 0, v24, s0
	s_clause 0x3
	global_store_b16 v[16:17], v43, off
	global_store_b16 v[14:15], v30, off offset:2048
	global_store_b16 v[18:19], v23, off
	global_store_b16 v[20:21], v28, off
	s_waitcnt vmcnt(0)
	s_waitcnt_vscnt null, 0x0
	s_barrier
	buffer_gl0_inv
	v_mad_i32_i24 v20, v1, 6, v29
	v_lshlrev_b64 v[18:19], 3, v[1:2]
	v_lshl_or_b32 v24, v1, 3, 0x2000
	v_lshlrev_b32_e32 v25, 3, v35
	v_lshlrev_b32_e32 v26, 3, v36
	ds_store_b64 v37, v[7:8] offset:2048
	ds_store_b64 v39, v[9:10] offset:2048
	;; [unrolled: 1-line block ×4, first 2 shown]
	s_waitcnt lgkmcnt(0)
	s_barrier
	buffer_gl0_inv
	ds_load_b64 v[9:10], v33
	ds_load_b64 v[11:12], v34
	;; [unrolled: 1-line block ×4, first 2 shown]
	v_or_b32_e32 v0, 0x800, v27
	s_delay_alu instid0(VALU_DEP_1)
	v_mad_u32_u24 v0, v1, 6, v0
	ds_load_2addr_stride64_b64 v[5:8], v0 offset0:16 offset1:32
	ds_load_b64 v[20:21], v20 offset:2048
	ds_load_b64 v[22:23], v0 offset:24576
	s_waitcnt lgkmcnt(6)
	v_lshlrev_b64 v[9:10], 3, v[9:10]
	s_waitcnt lgkmcnt(5)
	v_lshlrev_b64 v[11:12], 3, v[11:12]
	;; [unrolled: 2-line block ×4, first 2 shown]
	v_add_co_u32 v0, s0, s22, v9
	s_delay_alu instid0(VALU_DEP_1) | instskip(SKIP_1) | instid1(VALU_DEP_1)
	v_add_co_ci_u32_e64 v10, s0, s23, v10, s0
	v_add_co_u32 v11, s0, s22, v11
	v_add_co_ci_u32_e64 v12, s0, s23, v12, s0
	v_add_co_u32 v14, s0, s22, v14
	s_delay_alu instid0(VALU_DEP_1) | instskip(SKIP_1) | instid1(VALU_DEP_1)
	v_add_co_ci_u32_e64 v15, s0, s23, v15, s0
	v_add_co_u32 v16, s0, s22, v16
	v_add_co_ci_u32_e64 v17, s0, s23, v17, s0
	;; [unrolled: 5-line block ×4, first 2 shown]
	s_waitcnt lgkmcnt(1)
	s_clause 0x2
	global_store_b64 v[9:10], v[20:21], off
	global_store_b64 v[11:12], v[5:6], off
	;; [unrolled: 1-line block ×3, first 2 shown]
	s_waitcnt lgkmcnt(0)
	global_store_b64 v[16:17], v[22:23], off
                                        ; implicit-def: $vgpr5_vgpr6
	s_and_saveexec_b32 s0, s1
; %bb.98:
	v_add_co_u32 v5, vcc_lo, v3, v13
	v_add_co_ci_u32_e32 v6, vcc_lo, 0, v4, vcc_lo
	s_or_b32 s8, s8, exec_lo
; %bb.99:
	s_or_b32 exec_lo, exec_lo, s0
.LBB62_100:
	s_and_saveexec_b32 s0, s8
	s_cbranch_execnz .LBB62_102
; %bb.101:
	s_nop 0
	s_sendmsg sendmsg(MSG_DEALLOC_VGPRS)
	s_endpgm
.LBB62_102:
	v_lshlrev_b32_e32 v0, 3, v1
	ds_load_b64 v[3:4], v0
	v_lshlrev_b64 v[0:1], 3, v[1:2]
	s_delay_alu instid0(VALU_DEP_1) | instskip(NEXT) | instid1(VALU_DEP_2)
	v_add_co_u32 v0, vcc_lo, s26, v0
	v_add_co_ci_u32_e32 v1, vcc_lo, s27, v1, vcc_lo
	s_waitcnt lgkmcnt(0)
	v_add_co_u32 v2, vcc_lo, v3, v5
	v_add_co_ci_u32_e32 v3, vcc_lo, v4, v6, vcc_lo
	global_store_b64 v[0:1], v[2:3], off
	s_nop 0
	s_sendmsg sendmsg(MSG_DEALLOC_VGPRS)
	s_endpgm
.LBB62_103:
	global_load_b64 v[2:3], v[10:11], off
	s_or_b32 exec_lo, exec_lo, s10
                                        ; implicit-def: $vgpr4_vgpr5
	s_and_saveexec_b32 s10, s2
	s_cbranch_execz .LBB62_47
.LBB62_104:
	global_load_b64 v[4:5], v[10:11], off offset:256
	s_or_b32 exec_lo, exec_lo, s10
                                        ; implicit-def: $vgpr6_vgpr7
	s_and_saveexec_b32 s2, s3
	s_cbranch_execz .LBB62_48
.LBB62_105:
	global_load_b64 v[6:7], v[10:11], off offset:512
	s_or_b32 exec_lo, exec_lo, s2
                                        ; implicit-def: $vgpr8_vgpr9
	s_and_saveexec_b32 s2, s4
	s_cbranch_execnz .LBB62_49
	s_branch .LBB62_50
.LBB62_106:
	v_lshlrev_b32_e32 v3, 3, v24
	ds_load_b64 v[3:4], v3
	ds_load_b64 v[5:6], v2 offset:2048
	s_waitcnt lgkmcnt(1)
	v_lshlrev_b64 v[3:4], 3, v[3:4]
	s_delay_alu instid0(VALU_DEP_1) | instskip(NEXT) | instid1(VALU_DEP_2)
	v_add_co_u32 v3, vcc_lo, s22, v3
	v_add_co_ci_u32_e32 v4, vcc_lo, s23, v4, vcc_lo
	s_delay_alu instid0(VALU_DEP_2) | instskip(NEXT) | instid1(VALU_DEP_2)
	v_add_co_u32 v3, vcc_lo, v3, v2
	v_add_co_ci_u32_e32 v4, vcc_lo, 0, v4, vcc_lo
	s_waitcnt lgkmcnt(0)
	global_store_b64 v[3:4], v[5:6], off
	s_or_b32 exec_lo, exec_lo, s2
	s_and_saveexec_b32 s2, s7
	s_cbranch_execz .LBB62_60
.LBB62_107:
	v_lshlrev_b32_e32 v3, 3, v11
	v_lshlrev_b32_e32 v7, 3, v13
	ds_load_b64 v[3:4], v3
	ds_load_b64 v[5:6], v2 offset:10240
	s_waitcnt lgkmcnt(1)
	v_lshlrev_b64 v[3:4], 3, v[3:4]
	s_delay_alu instid0(VALU_DEP_1) | instskip(NEXT) | instid1(VALU_DEP_2)
	v_add_co_u32 v3, vcc_lo, s22, v3
	v_add_co_ci_u32_e32 v4, vcc_lo, s23, v4, vcc_lo
	s_delay_alu instid0(VALU_DEP_2) | instskip(NEXT) | instid1(VALU_DEP_2)
	v_add_co_u32 v3, vcc_lo, v3, v7
	v_add_co_ci_u32_e32 v4, vcc_lo, 0, v4, vcc_lo
	s_waitcnt lgkmcnt(0)
	global_store_b64 v[3:4], v[5:6], off
	s_or_b32 exec_lo, exec_lo, s2
	s_and_saveexec_b32 s2, s8
	s_cbranch_execz .LBB62_61
.LBB62_108:
	v_lshlrev_b32_e32 v3, 3, v23
	v_lshlrev_b32_e32 v7, 3, v15
	ds_load_b64 v[3:4], v3
	ds_load_b64 v[5:6], v2 offset:18432
	s_waitcnt lgkmcnt(1)
	v_lshlrev_b64 v[3:4], 3, v[3:4]
	s_delay_alu instid0(VALU_DEP_1) | instskip(NEXT) | instid1(VALU_DEP_2)
	v_add_co_u32 v3, vcc_lo, s22, v3
	v_add_co_ci_u32_e32 v4, vcc_lo, s23, v4, vcc_lo
	s_delay_alu instid0(VALU_DEP_2) | instskip(NEXT) | instid1(VALU_DEP_2)
	v_add_co_u32 v3, vcc_lo, v3, v7
	v_add_co_ci_u32_e32 v4, vcc_lo, 0, v4, vcc_lo
	s_waitcnt lgkmcnt(0)
	global_store_b64 v[3:4], v[5:6], off
	s_or_b32 exec_lo, exec_lo, s2
	s_and_saveexec_b32 s2, s9
	s_cbranch_execnz .LBB62_62
	s_branch .LBB62_63
	.section	.rodata,"a",@progbits
	.p2align	6, 0x0
	.amdhsa_kernel _ZN7rocprim17ROCPRIM_304000_NS6detail25onesweep_iteration_kernelINS1_34wrapped_radix_sort_onesweep_configINS0_14default_configEsN2at4cuda3cub6detail10OpaqueTypeILi8EEEEELb1EPKsPsPKSA_PSA_mNS0_19identity_decomposerEEEvT1_T2_T3_T4_jPT5_SO_PNS1_23onesweep_lookback_stateET6_jjj
		.amdhsa_group_segment_fixed_size 36992
		.amdhsa_private_segment_fixed_size 0
		.amdhsa_kernarg_size 336
		.amdhsa_user_sgpr_count 15
		.amdhsa_user_sgpr_dispatch_ptr 0
		.amdhsa_user_sgpr_queue_ptr 0
		.amdhsa_user_sgpr_kernarg_segment_ptr 1
		.amdhsa_user_sgpr_dispatch_id 0
		.amdhsa_user_sgpr_private_segment_size 0
		.amdhsa_wavefront_size32 1
		.amdhsa_uses_dynamic_stack 0
		.amdhsa_enable_private_segment 0
		.amdhsa_system_sgpr_workgroup_id_x 1
		.amdhsa_system_sgpr_workgroup_id_y 0
		.amdhsa_system_sgpr_workgroup_id_z 0
		.amdhsa_system_sgpr_workgroup_info 0
		.amdhsa_system_vgpr_workitem_id 2
		.amdhsa_next_free_vgpr 44
		.amdhsa_next_free_sgpr 36
		.amdhsa_reserve_vcc 1
		.amdhsa_float_round_mode_32 0
		.amdhsa_float_round_mode_16_64 0
		.amdhsa_float_denorm_mode_32 3
		.amdhsa_float_denorm_mode_16_64 3
		.amdhsa_dx10_clamp 1
		.amdhsa_ieee_mode 1
		.amdhsa_fp16_overflow 0
		.amdhsa_workgroup_processor_mode 1
		.amdhsa_memory_ordered 1
		.amdhsa_forward_progress 0
		.amdhsa_shared_vgpr_count 0
		.amdhsa_exception_fp_ieee_invalid_op 0
		.amdhsa_exception_fp_denorm_src 0
		.amdhsa_exception_fp_ieee_div_zero 0
		.amdhsa_exception_fp_ieee_overflow 0
		.amdhsa_exception_fp_ieee_underflow 0
		.amdhsa_exception_fp_ieee_inexact 0
		.amdhsa_exception_int_div_zero 0
	.end_amdhsa_kernel
	.section	.text._ZN7rocprim17ROCPRIM_304000_NS6detail25onesweep_iteration_kernelINS1_34wrapped_radix_sort_onesweep_configINS0_14default_configEsN2at4cuda3cub6detail10OpaqueTypeILi8EEEEELb1EPKsPsPKSA_PSA_mNS0_19identity_decomposerEEEvT1_T2_T3_T4_jPT5_SO_PNS1_23onesweep_lookback_stateET6_jjj,"axG",@progbits,_ZN7rocprim17ROCPRIM_304000_NS6detail25onesweep_iteration_kernelINS1_34wrapped_radix_sort_onesweep_configINS0_14default_configEsN2at4cuda3cub6detail10OpaqueTypeILi8EEEEELb1EPKsPsPKSA_PSA_mNS0_19identity_decomposerEEEvT1_T2_T3_T4_jPT5_SO_PNS1_23onesweep_lookback_stateET6_jjj,comdat
.Lfunc_end62:
	.size	_ZN7rocprim17ROCPRIM_304000_NS6detail25onesweep_iteration_kernelINS1_34wrapped_radix_sort_onesweep_configINS0_14default_configEsN2at4cuda3cub6detail10OpaqueTypeILi8EEEEELb1EPKsPsPKSA_PSA_mNS0_19identity_decomposerEEEvT1_T2_T3_T4_jPT5_SO_PNS1_23onesweep_lookback_stateET6_jjj, .Lfunc_end62-_ZN7rocprim17ROCPRIM_304000_NS6detail25onesweep_iteration_kernelINS1_34wrapped_radix_sort_onesweep_configINS0_14default_configEsN2at4cuda3cub6detail10OpaqueTypeILi8EEEEELb1EPKsPsPKSA_PSA_mNS0_19identity_decomposerEEEvT1_T2_T3_T4_jPT5_SO_PNS1_23onesweep_lookback_stateET6_jjj
                                        ; -- End function
	.section	.AMDGPU.csdata,"",@progbits
; Kernel info:
; codeLenInByte = 9148
; NumSgprs: 38
; NumVgprs: 44
; ScratchSize: 0
; MemoryBound: 0
; FloatMode: 240
; IeeeMode: 1
; LDSByteSize: 36992 bytes/workgroup (compile time only)
; SGPRBlocks: 4
; VGPRBlocks: 5
; NumSGPRsForWavesPerEU: 38
; NumVGPRsForWavesPerEU: 44
; Occupancy: 16
; WaveLimiterHint : 1
; COMPUTE_PGM_RSRC2:SCRATCH_EN: 0
; COMPUTE_PGM_RSRC2:USER_SGPR: 15
; COMPUTE_PGM_RSRC2:TRAP_HANDLER: 0
; COMPUTE_PGM_RSRC2:TGID_X_EN: 1
; COMPUTE_PGM_RSRC2:TGID_Y_EN: 0
; COMPUTE_PGM_RSRC2:TGID_Z_EN: 0
; COMPUTE_PGM_RSRC2:TIDIG_COMP_CNT: 2
	.section	.text._ZN7rocprim17ROCPRIM_304000_NS6detail25onesweep_iteration_kernelINS1_34wrapped_radix_sort_onesweep_configINS0_14default_configEsN2at4cuda3cub6detail10OpaqueTypeILi8EEEEELb1EPsSC_PSA_SD_mNS0_19identity_decomposerEEEvT1_T2_T3_T4_jPT5_SK_PNS1_23onesweep_lookback_stateET6_jjj,"axG",@progbits,_ZN7rocprim17ROCPRIM_304000_NS6detail25onesweep_iteration_kernelINS1_34wrapped_radix_sort_onesweep_configINS0_14default_configEsN2at4cuda3cub6detail10OpaqueTypeILi8EEEEELb1EPsSC_PSA_SD_mNS0_19identity_decomposerEEEvT1_T2_T3_T4_jPT5_SK_PNS1_23onesweep_lookback_stateET6_jjj,comdat
	.protected	_ZN7rocprim17ROCPRIM_304000_NS6detail25onesweep_iteration_kernelINS1_34wrapped_radix_sort_onesweep_configINS0_14default_configEsN2at4cuda3cub6detail10OpaqueTypeILi8EEEEELb1EPsSC_PSA_SD_mNS0_19identity_decomposerEEEvT1_T2_T3_T4_jPT5_SK_PNS1_23onesweep_lookback_stateET6_jjj ; -- Begin function _ZN7rocprim17ROCPRIM_304000_NS6detail25onesweep_iteration_kernelINS1_34wrapped_radix_sort_onesweep_configINS0_14default_configEsN2at4cuda3cub6detail10OpaqueTypeILi8EEEEELb1EPsSC_PSA_SD_mNS0_19identity_decomposerEEEvT1_T2_T3_T4_jPT5_SK_PNS1_23onesweep_lookback_stateET6_jjj
	.globl	_ZN7rocprim17ROCPRIM_304000_NS6detail25onesweep_iteration_kernelINS1_34wrapped_radix_sort_onesweep_configINS0_14default_configEsN2at4cuda3cub6detail10OpaqueTypeILi8EEEEELb1EPsSC_PSA_SD_mNS0_19identity_decomposerEEEvT1_T2_T3_T4_jPT5_SK_PNS1_23onesweep_lookback_stateET6_jjj
	.p2align	8
	.type	_ZN7rocprim17ROCPRIM_304000_NS6detail25onesweep_iteration_kernelINS1_34wrapped_radix_sort_onesweep_configINS0_14default_configEsN2at4cuda3cub6detail10OpaqueTypeILi8EEEEELb1EPsSC_PSA_SD_mNS0_19identity_decomposerEEEvT1_T2_T3_T4_jPT5_SK_PNS1_23onesweep_lookback_stateET6_jjj,@function
_ZN7rocprim17ROCPRIM_304000_NS6detail25onesweep_iteration_kernelINS1_34wrapped_radix_sort_onesweep_configINS0_14default_configEsN2at4cuda3cub6detail10OpaqueTypeILi8EEEEELb1EPsSC_PSA_SD_mNS0_19identity_decomposerEEEvT1_T2_T3_T4_jPT5_SK_PNS1_23onesweep_lookback_stateET6_jjj: ; @_ZN7rocprim17ROCPRIM_304000_NS6detail25onesweep_iteration_kernelINS1_34wrapped_radix_sort_onesweep_configINS0_14default_configEsN2at4cuda3cub6detail10OpaqueTypeILi8EEEEELb1EPsSC_PSA_SD_mNS0_19identity_decomposerEEEvT1_T2_T3_T4_jPT5_SK_PNS1_23onesweep_lookback_stateET6_jjj
; %bb.0:
	s_clause 0x3
	s_load_b128 s[28:31], s[0:1], 0x44
	s_load_b256 s[16:23], s[0:1], 0x0
	s_load_b128 s[24:27], s[0:1], 0x28
	s_load_b64 s[12:13], s[0:1], 0x38
	v_and_b32_e32 v1, 0x3ff, v0
	v_mbcnt_lo_u32_b32 v12, -1, 0
	s_waitcnt lgkmcnt(0)
	s_cmp_ge_u32 s15, s30
	s_cbranch_scc0 .LBB63_66
; %bb.1:
	s_load_b32 s6, s[0:1], 0x20
	s_mov_b32 s4, 0x80008000
	s_lshl_b32 s7, s30, 12
	s_mov_b32 s5, s4
	v_lshlrev_b32_e32 v11, 2, v1
	s_lshl_b32 s30, s15, 12
	s_mov_b32 s31, 0
	v_lshlrev_b32_e32 v2, 1, v12
	s_lshl_b64 s[2:3], s[30:31], 1
	v_and_b32_e32 v10, 0xf80, v11
	s_delay_alu instid0(VALU_DEP_1)
	v_lshlrev_b32_e32 v3, 1, v10
	s_waitcnt lgkmcnt(0)
	s_sub_i32 s34, s6, s7
	s_add_u32 s2, s16, s2
	s_addc_u32 s3, s17, s3
	v_add_co_u32 v2, s2, s2, v2
	s_delay_alu instid0(VALU_DEP_1) | instskip(NEXT) | instid1(VALU_DEP_2)
	v_add_co_ci_u32_e64 v5, null, s3, 0, s2
	v_add_co_u32 v4, s2, v2, v3
	v_dual_mov_b32 v2, s4 :: v_dual_mov_b32 v3, s5
	v_or_b32_e32 v6, v12, v10
	s_delay_alu instid0(VALU_DEP_4) | instskip(NEXT) | instid1(VALU_DEP_2)
	v_add_co_ci_u32_e64 v5, s2, 0, v5, s2
	v_cmp_gt_u32_e32 vcc_lo, s34, v6
	s_and_saveexec_b32 s2, vcc_lo
	s_cbranch_execz .LBB63_3
; %bb.2:
	v_bfrev_b32_e32 v2, 1
	v_mov_b32_e32 v3, 0x80008000
	global_load_d16_b16 v2, v[4:5], off
.LBB63_3:
	s_or_b32 exec_lo, exec_lo, s2
	v_add_nc_u32_e32 v7, 32, v6
	s_delay_alu instid0(VALU_DEP_1) | instskip(NEXT) | instid1(VALU_DEP_1)
	v_cmp_gt_u32_e64 s2, s34, v7
	s_and_saveexec_b32 s3, s2
	s_cbranch_execz .LBB63_5
; %bb.4:
	global_load_d16_hi_b16 v2, v[4:5], off offset:64
.LBB63_5:
	s_or_b32 exec_lo, exec_lo, s3
	v_add_nc_u32_e32 v7, 64, v6
	s_delay_alu instid0(VALU_DEP_1) | instskip(NEXT) | instid1(VALU_DEP_1)
	v_cmp_gt_u32_e64 s3, s34, v7
	s_and_saveexec_b32 s4, s3
	s_cbranch_execz .LBB63_7
; %bb.6:
	global_load_d16_b16 v3, v[4:5], off offset:128
.LBB63_7:
	s_or_b32 exec_lo, exec_lo, s4
	v_add_nc_u32_e32 v6, 0x60, v6
	s_delay_alu instid0(VALU_DEP_1) | instskip(NEXT) | instid1(VALU_DEP_1)
	v_cmp_gt_u32_e64 s4, s34, v6
	s_and_saveexec_b32 s5, s4
	s_cbranch_execz .LBB63_9
; %bb.8:
	global_load_d16_hi_b16 v3, v[4:5], off offset:192
.LBB63_9:
	s_or_b32 exec_lo, exec_lo, s5
	s_clause 0x1
	s_load_b32 s5, s[0:1], 0x5c
	s_load_b32 s14, s[0:1], 0x50
	s_waitcnt vmcnt(0)
	v_xor_b32_e32 v13, 0x7fff, v2
	s_add_u32 s6, s0, 0x50
	s_addc_u32 s7, s1, 0
	s_delay_alu instid0(VALU_DEP_1) | instskip(NEXT) | instid1(VALU_DEP_1)
	v_and_b32_e32 v4, 0xffff, v13
	v_lshrrev_b32_e32 v4, s28, v4
	s_waitcnt lgkmcnt(0)
	s_lshr_b32 s8, s5, 16
	s_cmp_lt_u32 s15, s14
	s_cselect_b32 s5, 12, 18
	s_delay_alu instid0(SALU_CYCLE_1) | instskip(SKIP_2) | instid1(SALU_CYCLE_1)
	s_add_u32 s6, s6, s5
	s_addc_u32 s7, s7, 0
	s_lshl_b32 s5, -1, s29
	s_not_b32 s33, s5
	s_delay_alu instid0(SALU_CYCLE_1) | instskip(SKIP_2) | instid1(VALU_DEP_3)
	v_and_b32_e32 v8, s33, v4
	v_mov_b32_e32 v6, 0
	v_bfe_u32 v4, v0, 10, 10
	v_and_b32_e32 v5, 1, v8
	global_load_u16 v7, v6, s[6:7]
	v_lshlrev_b32_e32 v9, 30, v8
	v_lshlrev_b32_e32 v14, 29, v8
	;; [unrolled: 1-line block ×3, first 2 shown]
	v_add_co_u32 v5, s5, v5, -1
	s_delay_alu instid0(VALU_DEP_1)
	v_cndmask_b32_e64 v16, 0, 1, s5
	v_not_b32_e32 v20, v9
	v_cmp_gt_i32_e64 s6, 0, v9
	v_not_b32_e32 v9, v14
	v_lshlrev_b32_e32 v17, 27, v8
	v_cmp_ne_u32_e64 s5, 0, v16
	v_ashrrev_i32_e32 v20, 31, v20
	v_lshlrev_b32_e32 v18, 26, v8
	v_ashrrev_i32_e32 v9, 31, v9
	v_lshlrev_b32_e32 v19, 25, v8
	v_xor_b32_e32 v5, s5, v5
	v_cmp_gt_i32_e64 s5, 0, v14
	v_not_b32_e32 v14, v15
	v_xor_b32_e32 v20, s6, v20
	v_cmp_gt_i32_e64 s6, 0, v15
	v_and_b32_e32 v5, exec_lo, v5
	v_not_b32_e32 v15, v17
	v_ashrrev_i32_e32 v14, 31, v14
	v_xor_b32_e32 v9, s5, v9
	v_cmp_gt_i32_e64 s5, 0, v17
	v_and_b32_e32 v5, v5, v20
	v_not_b32_e32 v17, v18
	v_ashrrev_i32_e32 v15, 31, v15
	v_xor_b32_e32 v14, s6, v14
	v_lshlrev_b32_e32 v16, 24, v8
	v_and_b32_e32 v5, v5, v9
	v_cmp_gt_i32_e64 s6, 0, v18
	v_not_b32_e32 v9, v19
	v_ashrrev_i32_e32 v17, 31, v17
	v_xor_b32_e32 v15, s5, v15
	v_and_b32_e32 v5, v5, v14
	v_cmp_gt_i32_e64 s5, 0, v19
	v_not_b32_e32 v14, v16
	v_ashrrev_i32_e32 v9, 31, v9
	v_xor_b32_e32 v17, s6, v17
	v_and_b32_e32 v5, v5, v15
	v_bfe_u32 v15, v0, 20, 10
	v_cmp_gt_i32_e64 s6, 0, v16
	v_ashrrev_i32_e32 v14, 31, v14
	v_xor_b32_e32 v9, s5, v9
	v_and_b32_e32 v5, v5, v17
	v_mad_u32_u24 v15, v15, s8, v4
	v_mul_u32_u24_e32 v16, 9, v1
	v_xor_b32_e32 v14, s6, v14
	s_delay_alu instid0(VALU_DEP_4) | instskip(NEXT) | instid1(VALU_DEP_3)
	v_and_b32_e32 v9, v5, v9
	v_lshlrev_b32_e32 v16, 2, v16
	ds_store_2addr_b32 v16, v6, v6 offset0:32 offset1:33
	ds_store_2addr_b32 v16, v6, v6 offset0:34 offset1:35
	;; [unrolled: 1-line block ×4, first 2 shown]
	ds_store_b32 v16, v6 offset:160
	v_mul_u32_u24_e32 v6, 33, v8
	s_waitcnt vmcnt(0) lgkmcnt(0)
	s_barrier
	buffer_gl0_inv
	; wave barrier
	v_mad_u64_u32 v[4:5], null, v15, v7, v[1:2]
	v_and_b32_e32 v5, v9, v14
	s_delay_alu instid0(VALU_DEP_1) | instskip(NEXT) | instid1(VALU_DEP_3)
	v_mbcnt_lo_u32_b32 v14, v5, 0
	v_lshrrev_b32_e32 v4, 5, v4
	v_cmp_ne_u32_e64 s6, 0, v5
	s_delay_alu instid0(VALU_DEP_3) | instskip(NEXT) | instid1(VALU_DEP_3)
	v_cmp_eq_u32_e64 s5, 0, v14
	v_add_lshl_u32 v17, v4, v6, 2
	s_delay_alu instid0(VALU_DEP_2) | instskip(NEXT) | instid1(SALU_CYCLE_1)
	s_and_b32 s6, s6, s5
	s_and_saveexec_b32 s5, s6
	s_cbranch_execz .LBB63_11
; %bb.10:
	v_bcnt_u32_b32 v5, v5, 0
	ds_store_b32 v17, v5 offset:128
.LBB63_11:
	s_or_b32 exec_lo, exec_lo, s5
	v_lshrrev_b32_e32 v2, 16, v2
	; wave barrier
	s_delay_alu instid0(VALU_DEP_1) | instskip(NEXT) | instid1(VALU_DEP_1)
	v_xor_b32_e32 v15, 0x7fff, v2
	v_and_b32_e32 v2, 0xffff, v15
	s_delay_alu instid0(VALU_DEP_1) | instskip(NEXT) | instid1(VALU_DEP_1)
	v_lshrrev_b32_e32 v2, s28, v2
	v_and_b32_e32 v2, s33, v2
	s_delay_alu instid0(VALU_DEP_1)
	v_and_b32_e32 v5, 1, v2
	v_lshlrev_b32_e32 v6, 30, v2
	v_lshlrev_b32_e32 v7, 29, v2
	;; [unrolled: 1-line block ×4, first 2 shown]
	v_add_co_u32 v5, s5, v5, -1
	s_delay_alu instid0(VALU_DEP_1)
	v_cndmask_b32_e64 v9, 0, 1, s5
	v_not_b32_e32 v21, v6
	v_cmp_gt_i32_e64 s6, 0, v6
	v_not_b32_e32 v6, v7
	v_lshlrev_b32_e32 v19, 26, v2
	v_cmp_ne_u32_e64 s5, 0, v9
	v_ashrrev_i32_e32 v21, 31, v21
	v_lshlrev_b32_e32 v20, 25, v2
	v_ashrrev_i32_e32 v6, 31, v6
	v_lshlrev_b32_e32 v9, 24, v2
	v_xor_b32_e32 v5, s5, v5
	v_cmp_gt_i32_e64 s5, 0, v7
	v_not_b32_e32 v7, v8
	v_xor_b32_e32 v21, s6, v21
	v_cmp_gt_i32_e64 s6, 0, v8
	v_and_b32_e32 v5, exec_lo, v5
	v_not_b32_e32 v8, v18
	v_ashrrev_i32_e32 v7, 31, v7
	v_xor_b32_e32 v6, s5, v6
	v_cmp_gt_i32_e64 s5, 0, v18
	v_and_b32_e32 v5, v5, v21
	v_not_b32_e32 v18, v19
	v_ashrrev_i32_e32 v8, 31, v8
	v_xor_b32_e32 v7, s6, v7
	v_cmp_gt_i32_e64 s6, 0, v19
	v_and_b32_e32 v5, v5, v6
	;; [unrolled: 5-line block ×3, first 2 shown]
	v_not_b32_e32 v7, v9
	v_ashrrev_i32_e32 v6, 31, v6
	v_xor_b32_e32 v18, s6, v18
	v_mul_u32_u24_e32 v2, 33, v2
	v_and_b32_e32 v5, v5, v8
	v_cmp_gt_i32_e64 s6, 0, v9
	v_ashrrev_i32_e32 v7, 31, v7
	v_xor_b32_e32 v6, s5, v6
	v_add_lshl_u32 v21, v4, v2, 2
	v_and_b32_e32 v5, v5, v18
	s_delay_alu instid0(VALU_DEP_4) | instskip(SKIP_2) | instid1(VALU_DEP_1)
	v_xor_b32_e32 v2, s6, v7
	ds_load_b32 v18, v21 offset:128
	v_and_b32_e32 v5, v5, v6
	; wave barrier
	v_and_b32_e32 v2, v5, v2
	s_delay_alu instid0(VALU_DEP_1) | instskip(SKIP_1) | instid1(VALU_DEP_2)
	v_mbcnt_lo_u32_b32 v19, v2, 0
	v_cmp_ne_u32_e64 s6, 0, v2
	v_cmp_eq_u32_e64 s5, 0, v19
	s_delay_alu instid0(VALU_DEP_1) | instskip(NEXT) | instid1(SALU_CYCLE_1)
	s_and_b32 s6, s6, s5
	s_and_saveexec_b32 s5, s6
	s_cbranch_execz .LBB63_13
; %bb.12:
	s_waitcnt lgkmcnt(0)
	v_bcnt_u32_b32 v2, v2, v18
	ds_store_b32 v21, v2 offset:128
.LBB63_13:
	s_or_b32 exec_lo, exec_lo, s5
	v_xor_b32_e32 v20, 0x7fff, v3
	; wave barrier
	s_delay_alu instid0(VALU_DEP_1) | instskip(NEXT) | instid1(VALU_DEP_1)
	v_and_b32_e32 v2, 0xffff, v20
	v_lshrrev_b32_e32 v2, s28, v2
	s_delay_alu instid0(VALU_DEP_1) | instskip(NEXT) | instid1(VALU_DEP_1)
	v_and_b32_e32 v2, s33, v2
	v_and_b32_e32 v5, 1, v2
	v_lshlrev_b32_e32 v6, 30, v2
	v_lshlrev_b32_e32 v7, 29, v2
	;; [unrolled: 1-line block ×4, first 2 shown]
	v_add_co_u32 v5, s5, v5, -1
	s_delay_alu instid0(VALU_DEP_1)
	v_cndmask_b32_e64 v9, 0, 1, s5
	v_not_b32_e32 v25, v6
	v_cmp_gt_i32_e64 s6, 0, v6
	v_not_b32_e32 v6, v7
	v_lshlrev_b32_e32 v23, 26, v2
	v_cmp_ne_u32_e64 s5, 0, v9
	v_ashrrev_i32_e32 v25, 31, v25
	v_lshlrev_b32_e32 v24, 25, v2
	v_ashrrev_i32_e32 v6, 31, v6
	v_lshlrev_b32_e32 v9, 24, v2
	v_xor_b32_e32 v5, s5, v5
	v_cmp_gt_i32_e64 s5, 0, v7
	v_not_b32_e32 v7, v8
	v_xor_b32_e32 v25, s6, v25
	v_cmp_gt_i32_e64 s6, 0, v8
	v_and_b32_e32 v5, exec_lo, v5
	v_not_b32_e32 v8, v22
	v_ashrrev_i32_e32 v7, 31, v7
	v_xor_b32_e32 v6, s5, v6
	v_cmp_gt_i32_e64 s5, 0, v22
	v_and_b32_e32 v5, v5, v25
	v_not_b32_e32 v22, v23
	v_ashrrev_i32_e32 v8, 31, v8
	v_xor_b32_e32 v7, s6, v7
	v_cmp_gt_i32_e64 s6, 0, v23
	v_and_b32_e32 v5, v5, v6
	;; [unrolled: 5-line block ×3, first 2 shown]
	v_not_b32_e32 v7, v9
	v_ashrrev_i32_e32 v6, 31, v6
	v_xor_b32_e32 v22, s6, v22
	v_mul_u32_u24_e32 v2, 33, v2
	v_and_b32_e32 v5, v5, v8
	v_cmp_gt_i32_e64 s6, 0, v9
	v_ashrrev_i32_e32 v7, 31, v7
	v_xor_b32_e32 v6, s5, v6
	v_add_lshl_u32 v25, v4, v2, 2
	v_and_b32_e32 v5, v5, v22
	s_delay_alu instid0(VALU_DEP_4) | instskip(SKIP_2) | instid1(VALU_DEP_1)
	v_xor_b32_e32 v2, s6, v7
	ds_load_b32 v22, v25 offset:128
	v_and_b32_e32 v5, v5, v6
	; wave barrier
	v_and_b32_e32 v2, v5, v2
	s_delay_alu instid0(VALU_DEP_1) | instskip(SKIP_1) | instid1(VALU_DEP_2)
	v_mbcnt_lo_u32_b32 v23, v2, 0
	v_cmp_ne_u32_e64 s6, 0, v2
	v_cmp_eq_u32_e64 s5, 0, v23
	s_delay_alu instid0(VALU_DEP_1) | instskip(NEXT) | instid1(SALU_CYCLE_1)
	s_and_b32 s6, s6, s5
	s_and_saveexec_b32 s5, s6
	s_cbranch_execz .LBB63_15
; %bb.14:
	s_waitcnt lgkmcnt(0)
	v_bcnt_u32_b32 v2, v2, v22
	ds_store_b32 v25, v2 offset:128
.LBB63_15:
	s_or_b32 exec_lo, exec_lo, s5
	v_lshrrev_b32_e32 v2, 16, v3
	; wave barrier
	v_add_nc_u32_e32 v29, 0x80, v16
	s_delay_alu instid0(VALU_DEP_2) | instskip(NEXT) | instid1(VALU_DEP_1)
	v_xor_b32_e32 v24, 0x7fff, v2
	v_and_b32_e32 v2, 0xffff, v24
	s_delay_alu instid0(VALU_DEP_1) | instskip(NEXT) | instid1(VALU_DEP_1)
	v_lshrrev_b32_e32 v2, s28, v2
	v_and_b32_e32 v2, s33, v2
	s_delay_alu instid0(VALU_DEP_1)
	v_and_b32_e32 v3, 1, v2
	v_lshlrev_b32_e32 v5, 30, v2
	v_lshlrev_b32_e32 v6, 29, v2
	;; [unrolled: 1-line block ×4, first 2 shown]
	v_add_co_u32 v3, s5, v3, -1
	s_delay_alu instid0(VALU_DEP_1)
	v_cndmask_b32_e64 v8, 0, 1, s5
	v_not_b32_e32 v28, v5
	v_cmp_gt_i32_e64 s6, 0, v5
	v_not_b32_e32 v5, v6
	v_lshlrev_b32_e32 v26, 26, v2
	v_cmp_ne_u32_e64 s5, 0, v8
	v_ashrrev_i32_e32 v28, 31, v28
	v_lshlrev_b32_e32 v27, 25, v2
	v_ashrrev_i32_e32 v5, 31, v5
	v_lshlrev_b32_e32 v8, 24, v2
	v_xor_b32_e32 v3, s5, v3
	v_cmp_gt_i32_e64 s5, 0, v6
	v_not_b32_e32 v6, v7
	v_xor_b32_e32 v28, s6, v28
	v_cmp_gt_i32_e64 s6, 0, v7
	v_and_b32_e32 v3, exec_lo, v3
	v_not_b32_e32 v7, v9
	v_ashrrev_i32_e32 v6, 31, v6
	v_xor_b32_e32 v5, s5, v5
	v_cmp_gt_i32_e64 s5, 0, v9
	v_and_b32_e32 v3, v3, v28
	v_not_b32_e32 v9, v26
	v_ashrrev_i32_e32 v7, 31, v7
	v_xor_b32_e32 v6, s6, v6
	v_cmp_gt_i32_e64 s6, 0, v26
	v_and_b32_e32 v3, v3, v5
	;; [unrolled: 5-line block ×3, first 2 shown]
	v_not_b32_e32 v6, v8
	v_ashrrev_i32_e32 v5, 31, v5
	v_xor_b32_e32 v9, s6, v9
	v_mul_u32_u24_e32 v2, 33, v2
	v_and_b32_e32 v3, v3, v7
	v_cmp_gt_i32_e64 s6, 0, v8
	v_ashrrev_i32_e32 v6, 31, v6
	v_xor_b32_e32 v5, s5, v5
	v_add_lshl_u32 v28, v4, v2, 2
	v_and_b32_e32 v3, v3, v9
	s_delay_alu instid0(VALU_DEP_4) | instskip(SKIP_2) | instid1(VALU_DEP_1)
	v_xor_b32_e32 v2, s6, v6
	ds_load_b32 v26, v28 offset:128
	v_and_b32_e32 v3, v3, v5
	; wave barrier
	v_and_b32_e32 v2, v3, v2
	s_delay_alu instid0(VALU_DEP_1) | instskip(SKIP_1) | instid1(VALU_DEP_2)
	v_mbcnt_lo_u32_b32 v27, v2, 0
	v_cmp_ne_u32_e64 s6, 0, v2
	v_cmp_eq_u32_e64 s5, 0, v27
	s_delay_alu instid0(VALU_DEP_1) | instskip(NEXT) | instid1(SALU_CYCLE_1)
	s_and_b32 s6, s6, s5
	s_and_saveexec_b32 s5, s6
	s_cbranch_execz .LBB63_17
; %bb.16:
	s_waitcnt lgkmcnt(0)
	v_bcnt_u32_b32 v2, v2, v26
	ds_store_b32 v28, v2 offset:128
.LBB63_17:
	s_or_b32 exec_lo, exec_lo, s5
	; wave barrier
	s_waitcnt lgkmcnt(0)
	s_barrier
	buffer_gl0_inv
	ds_load_2addr_b32 v[8:9], v16 offset0:32 offset1:33
	ds_load_2addr_b32 v[6:7], v29 offset0:2 offset1:3
	;; [unrolled: 1-line block ×4, first 2 shown]
	ds_load_b32 v30, v29 offset:32
	v_and_b32_e32 v33, 16, v12
	v_and_b32_e32 v34, 31, v1
	s_mov_b32 s11, exec_lo
	s_delay_alu instid0(VALU_DEP_2) | instskip(SKIP_3) | instid1(VALU_DEP_1)
	v_cmp_eq_u32_e64 s9, 0, v33
	s_waitcnt lgkmcnt(3)
	v_add3_u32 v31, v9, v8, v6
	s_waitcnt lgkmcnt(2)
	v_add3_u32 v31, v31, v7, v4
	s_waitcnt lgkmcnt(1)
	s_delay_alu instid0(VALU_DEP_1) | instskip(SKIP_1) | instid1(VALU_DEP_1)
	v_add3_u32 v31, v31, v5, v2
	s_waitcnt lgkmcnt(0)
	v_add3_u32 v30, v31, v3, v30
	v_and_b32_e32 v31, 15, v12
	s_delay_alu instid0(VALU_DEP_2) | instskip(NEXT) | instid1(VALU_DEP_2)
	v_mov_b32_dpp v32, v30 row_shr:1 row_mask:0xf bank_mask:0xf
	v_cmp_eq_u32_e64 s5, 0, v31
	v_cmp_lt_u32_e64 s6, 1, v31
	v_cmp_lt_u32_e64 s7, 3, v31
	;; [unrolled: 1-line block ×3, first 2 shown]
	s_delay_alu instid0(VALU_DEP_4) | instskip(NEXT) | instid1(VALU_DEP_1)
	v_cndmask_b32_e64 v32, v32, 0, s5
	v_add_nc_u32_e32 v30, v32, v30
	s_delay_alu instid0(VALU_DEP_1) | instskip(NEXT) | instid1(VALU_DEP_1)
	v_mov_b32_dpp v32, v30 row_shr:2 row_mask:0xf bank_mask:0xf
	v_cndmask_b32_e64 v32, 0, v32, s6
	s_delay_alu instid0(VALU_DEP_1) | instskip(NEXT) | instid1(VALU_DEP_1)
	v_add_nc_u32_e32 v30, v30, v32
	v_mov_b32_dpp v32, v30 row_shr:4 row_mask:0xf bank_mask:0xf
	s_delay_alu instid0(VALU_DEP_1) | instskip(NEXT) | instid1(VALU_DEP_1)
	v_cndmask_b32_e64 v32, 0, v32, s7
	v_add_nc_u32_e32 v30, v30, v32
	s_delay_alu instid0(VALU_DEP_1) | instskip(NEXT) | instid1(VALU_DEP_1)
	v_mov_b32_dpp v32, v30 row_shr:8 row_mask:0xf bank_mask:0xf
	v_cndmask_b32_e64 v31, 0, v32, s8
	v_bfe_i32 v32, v12, 4, 1
	s_delay_alu instid0(VALU_DEP_2) | instskip(SKIP_4) | instid1(VALU_DEP_2)
	v_add_nc_u32_e32 v30, v30, v31
	ds_swizzle_b32 v31, v30 offset:swizzle(BROADCAST,32,15)
	s_waitcnt lgkmcnt(0)
	v_and_b32_e32 v32, v32, v31
	v_lshrrev_b32_e32 v31, 5, v1
	v_add_nc_u32_e32 v30, v30, v32
	v_cmpx_eq_u32_e32 31, v34
	s_cbranch_execz .LBB63_19
; %bb.18:
	s_delay_alu instid0(VALU_DEP_3)
	v_lshlrev_b32_e32 v32, 2, v31
	ds_store_b32 v32, v30
.LBB63_19:
	s_or_b32 exec_lo, exec_lo, s11
	v_cmp_lt_u32_e64 s10, 31, v1
	s_mov_b32 s35, exec_lo
	s_waitcnt lgkmcnt(0)
	s_barrier
	buffer_gl0_inv
	v_cmpx_gt_u32_e32 32, v1
	s_cbranch_execz .LBB63_21
; %bb.20:
	ds_load_b32 v32, v11
	s_waitcnt lgkmcnt(0)
	v_mov_b32_dpp v33, v32 row_shr:1 row_mask:0xf bank_mask:0xf
	s_delay_alu instid0(VALU_DEP_1) | instskip(NEXT) | instid1(VALU_DEP_1)
	v_cndmask_b32_e64 v33, v33, 0, s5
	v_add_nc_u32_e32 v32, v33, v32
	s_delay_alu instid0(VALU_DEP_1) | instskip(NEXT) | instid1(VALU_DEP_1)
	v_mov_b32_dpp v33, v32 row_shr:2 row_mask:0xf bank_mask:0xf
	v_cndmask_b32_e64 v33, 0, v33, s6
	s_delay_alu instid0(VALU_DEP_1) | instskip(NEXT) | instid1(VALU_DEP_1)
	v_add_nc_u32_e32 v32, v32, v33
	v_mov_b32_dpp v33, v32 row_shr:4 row_mask:0xf bank_mask:0xf
	s_delay_alu instid0(VALU_DEP_1) | instskip(NEXT) | instid1(VALU_DEP_1)
	v_cndmask_b32_e64 v33, 0, v33, s7
	v_add_nc_u32_e32 v32, v32, v33
	s_delay_alu instid0(VALU_DEP_1) | instskip(NEXT) | instid1(VALU_DEP_1)
	v_mov_b32_dpp v33, v32 row_shr:8 row_mask:0xf bank_mask:0xf
	v_cndmask_b32_e64 v33, 0, v33, s8
	s_delay_alu instid0(VALU_DEP_1) | instskip(SKIP_3) | instid1(VALU_DEP_1)
	v_add_nc_u32_e32 v32, v32, v33
	ds_swizzle_b32 v33, v32 offset:swizzle(BROADCAST,32,15)
	s_waitcnt lgkmcnt(0)
	v_cndmask_b32_e64 v33, v33, 0, s9
	v_add_nc_u32_e32 v32, v32, v33
	ds_store_b32 v11, v32
.LBB63_21:
	s_or_b32 exec_lo, exec_lo, s35
	v_mov_b32_e32 v11, 0
	s_waitcnt lgkmcnt(0)
	s_barrier
	buffer_gl0_inv
	s_and_saveexec_b32 s5, s10
	s_cbranch_execz .LBB63_23
; %bb.22:
	v_lshl_add_u32 v11, v31, 2, -4
	ds_load_b32 v11, v11
.LBB63_23:
	s_or_b32 exec_lo, exec_lo, s5
	v_add_nc_u32_e32 v31, -1, v12
	s_waitcnt lgkmcnt(0)
	v_add_nc_u32_e32 v30, v11, v30
	s_delay_alu instid0(VALU_DEP_2) | instskip(NEXT) | instid1(VALU_DEP_1)
	v_cmp_gt_i32_e64 s5, 0, v31
	v_cndmask_b32_e64 v31, v31, v12, s5
	v_cmp_eq_u32_e64 s5, 0, v12
	s_delay_alu instid0(VALU_DEP_2) | instskip(SKIP_4) | instid1(VALU_DEP_1)
	v_lshlrev_b32_e32 v31, 2, v31
	ds_bpermute_b32 v30, v31, v30
	s_waitcnt lgkmcnt(0)
	v_cndmask_b32_e64 v11, v30, v11, s5
	v_cmp_ne_u32_e64 s5, 0, v1
	v_cndmask_b32_e64 v11, 0, v11, s5
	v_cmp_gt_u32_e64 s5, 0x100, v1
	s_delay_alu instid0(VALU_DEP_2) | instskip(NEXT) | instid1(VALU_DEP_1)
	v_add_nc_u32_e32 v8, v11, v8
	v_add_nc_u32_e32 v9, v8, v9
	s_delay_alu instid0(VALU_DEP_1) | instskip(NEXT) | instid1(VALU_DEP_1)
	v_add_nc_u32_e32 v6, v9, v6
	v_add_nc_u32_e32 v7, v6, v7
	s_delay_alu instid0(VALU_DEP_1) | instskip(NEXT) | instid1(VALU_DEP_1)
	;; [unrolled: 3-line block ×3, first 2 shown]
	v_add_nc_u32_e32 v2, v5, v2
	v_add_nc_u32_e32 v3, v2, v3
	ds_store_2addr_b32 v16, v11, v8 offset0:32 offset1:33
	ds_store_2addr_b32 v29, v9, v6 offset0:2 offset1:3
	;; [unrolled: 1-line block ×4, first 2 shown]
	ds_store_b32 v29, v3 offset:32
	s_waitcnt lgkmcnt(0)
	s_barrier
	buffer_gl0_inv
	ds_load_b32 v2, v17 offset:128
	ds_load_b32 v3, v21 offset:128
	;; [unrolled: 1-line block ×4, first 2 shown]
                                        ; implicit-def: $vgpr16
                                        ; implicit-def: $vgpr17
	s_and_saveexec_b32 s7, s5
	s_cbranch_execz .LBB63_27
; %bb.24:
	v_mul_u32_u24_e32 v6, 33, v1
	s_mov_b32 s8, exec_lo
	s_delay_alu instid0(VALU_DEP_1)
	v_dual_mov_b32 v6, 0x1000 :: v_dual_lshlrev_b32 v7, 2, v6
	ds_load_b32 v16, v7 offset:128
	v_cmpx_ne_u32_e32 0xff, v1
	s_cbranch_execz .LBB63_26
; %bb.25:
	ds_load_b32 v6, v7 offset:260
.LBB63_26:
	s_or_b32 exec_lo, exec_lo, s8
	s_waitcnt lgkmcnt(0)
	v_sub_nc_u32_e32 v17, v6, v16
.LBB63_27:
	s_or_b32 exec_lo, exec_lo, s7
	s_waitcnt lgkmcnt(3)
	v_add_nc_u32_e32 v21, v2, v14
	s_waitcnt lgkmcnt(2)
	v_add3_u32 v19, v19, v18, v3
	s_waitcnt lgkmcnt(1)
	v_add3_u32 v18, v23, v22, v4
	;; [unrolled: 2-line block ×3, first 2 shown]
	v_lshlrev_b32_e32 v2, 1, v21
	v_lshlrev_b32_e32 v3, 1, v19
	;; [unrolled: 1-line block ×3, first 2 shown]
	s_delay_alu instid0(VALU_DEP_4)
	v_lshlrev_b32_e32 v5, 1, v14
	s_barrier
	buffer_gl0_inv
	ds_store_b16 v2, v13 offset:2048
	ds_store_b16 v3, v15 offset:2048
	;; [unrolled: 1-line block ×4, first 2 shown]
	s_waitcnt lgkmcnt(0)
	s_barrier
	buffer_gl0_inv
	s_and_saveexec_b32 s7, s5
	s_cbranch_execz .LBB63_37
; %bb.28:
	v_lshl_or_b32 v4, s15, 8, v1
	v_dual_mov_b32 v5, 0 :: v_dual_mov_b32 v8, 0
	s_mov_b32 s8, 0
	s_mov_b32 s9, s15
	s_delay_alu instid0(VALU_DEP_1) | instskip(SKIP_1) | instid1(VALU_DEP_2)
	v_lshlrev_b64 v[2:3], 2, v[4:5]
	v_or_b32_e32 v4, 2.0, v17
	v_add_co_u32 v2, s6, s12, v2
	s_delay_alu instid0(VALU_DEP_1)
	v_add_co_ci_u32_e64 v3, s6, s13, v3, s6
                                        ; implicit-def: $sgpr6
	global_store_b32 v[2:3], v4, off
	s_branch .LBB63_30
	.p2align	6
.LBB63_29:                              ;   in Loop: Header=BB63_30 Depth=1
	s_or_b32 exec_lo, exec_lo, s10
	v_and_b32_e32 v6, 0x3fffffff, v9
	v_cmp_eq_u32_e64 s6, 0x80000000, v4
	s_delay_alu instid0(VALU_DEP_2) | instskip(NEXT) | instid1(VALU_DEP_2)
	v_add_nc_u32_e32 v8, v6, v8
	s_and_b32 s10, exec_lo, s6
	s_delay_alu instid0(SALU_CYCLE_1) | instskip(NEXT) | instid1(SALU_CYCLE_1)
	s_or_b32 s8, s10, s8
	s_and_not1_b32 exec_lo, exec_lo, s8
	s_cbranch_execz .LBB63_36
.LBB63_30:                              ; =>This Loop Header: Depth=1
                                        ;     Child Loop BB63_33 Depth 2
	s_or_b32 s6, s6, exec_lo
	s_cmp_eq_u32 s9, 0
	s_cbranch_scc1 .LBB63_35
; %bb.31:                               ;   in Loop: Header=BB63_30 Depth=1
	s_add_i32 s9, s9, -1
	s_mov_b32 s10, exec_lo
	v_lshl_or_b32 v4, s9, 8, v1
	s_delay_alu instid0(VALU_DEP_1) | instskip(NEXT) | instid1(VALU_DEP_1)
	v_lshlrev_b64 v[6:7], 2, v[4:5]
	v_add_co_u32 v6, s6, s12, v6
	s_delay_alu instid0(VALU_DEP_1) | instskip(SKIP_3) | instid1(VALU_DEP_1)
	v_add_co_ci_u32_e64 v7, s6, s13, v7, s6
	global_load_b32 v9, v[6:7], off glc
	s_waitcnt vmcnt(0)
	v_and_b32_e32 v4, -2.0, v9
	v_cmpx_eq_u32_e32 0, v4
	s_cbranch_execz .LBB63_29
; %bb.32:                               ;   in Loop: Header=BB63_30 Depth=1
	s_mov_b32 s11, 0
.LBB63_33:                              ;   Parent Loop BB63_30 Depth=1
                                        ; =>  This Inner Loop Header: Depth=2
	global_load_b32 v9, v[6:7], off glc
	s_waitcnt vmcnt(0)
	v_and_b32_e32 v4, -2.0, v9
	s_delay_alu instid0(VALU_DEP_1) | instskip(NEXT) | instid1(VALU_DEP_1)
	v_cmp_ne_u32_e64 s6, 0, v4
	s_or_b32 s11, s6, s11
	s_delay_alu instid0(SALU_CYCLE_1)
	s_and_not1_b32 exec_lo, exec_lo, s11
	s_cbranch_execnz .LBB63_33
; %bb.34:                               ;   in Loop: Header=BB63_30 Depth=1
	s_or_b32 exec_lo, exec_lo, s11
	s_branch .LBB63_29
.LBB63_35:                              ;   in Loop: Header=BB63_30 Depth=1
                                        ; implicit-def: $sgpr9
	s_and_b32 s10, exec_lo, s6
	s_delay_alu instid0(SALU_CYCLE_1) | instskip(NEXT) | instid1(SALU_CYCLE_1)
	s_or_b32 s8, s10, s8
	s_and_not1_b32 exec_lo, exec_lo, s8
	s_cbranch_execnz .LBB63_30
.LBB63_36:
	s_or_b32 exec_lo, exec_lo, s8
	v_add_nc_u32_e32 v4, v8, v17
	v_lshlrev_b32_e32 v5, 3, v1
	s_delay_alu instid0(VALU_DEP_2) | instskip(SKIP_3) | instid1(VALU_DEP_1)
	v_or_b32_e32 v4, 0x80000000, v4
	global_store_b32 v[2:3], v4, off
	global_load_b64 v[2:3], v5, s[24:25]
	v_sub_co_u32 v4, s6, v8, v16
	v_sub_co_ci_u32_e64 v6, null, 0, 0, s6
	s_waitcnt vmcnt(0)
	s_delay_alu instid0(VALU_DEP_2) | instskip(NEXT) | instid1(VALU_DEP_1)
	v_add_co_u32 v2, s6, v4, v2
	v_add_co_ci_u32_e64 v3, s6, v6, v3, s6
	ds_store_b64 v5, v[2:3]
.LBB63_37:
	s_or_b32 exec_lo, exec_lo, s7
	v_cmp_gt_u32_e64 s6, s34, v1
	v_lshlrev_b32_e32 v22, 1, v1
	s_waitcnt lgkmcnt(0)
	s_waitcnt_vscnt null, 0x0
	s_barrier
	buffer_gl0_inv
	s_and_saveexec_b32 s8, s6
	s_cbranch_execz .LBB63_39
; %bb.38:
	ds_load_u16 v4, v22 offset:2048
	s_waitcnt lgkmcnt(0)
	v_and_b32_e32 v2, 0xffff, v4
	v_xor_b32_e32 v4, 0x7fff, v4
	s_delay_alu instid0(VALU_DEP_2) | instskip(NEXT) | instid1(VALU_DEP_1)
	v_lshrrev_b32_e32 v2, s28, v2
	v_and_b32_e32 v2, s33, v2
	s_delay_alu instid0(VALU_DEP_1) | instskip(SKIP_3) | instid1(VALU_DEP_1)
	v_lshlrev_b32_e32 v2, 3, v2
	ds_load_b64 v[2:3], v2
	s_waitcnt lgkmcnt(0)
	v_lshlrev_b64 v[2:3], 1, v[2:3]
	v_add_co_u32 v2, s7, s18, v2
	s_delay_alu instid0(VALU_DEP_1) | instskip(NEXT) | instid1(VALU_DEP_2)
	v_add_co_ci_u32_e64 v3, s7, s19, v3, s7
	v_add_co_u32 v2, s7, v2, v22
	s_delay_alu instid0(VALU_DEP_1)
	v_add_co_ci_u32_e64 v3, s7, 0, v3, s7
	global_store_b16 v[2:3], v4, off
.LBB63_39:
	s_or_b32 exec_lo, exec_lo, s8
	v_or_b32_e32 v13, 0x400, v1
	s_delay_alu instid0(VALU_DEP_1) | instskip(NEXT) | instid1(VALU_DEP_1)
	v_cmp_gt_u32_e64 s7, s34, v13
	s_and_saveexec_b32 s9, s7
	s_cbranch_execz .LBB63_41
; %bb.40:
	ds_load_u16 v4, v22 offset:4096
	s_waitcnt lgkmcnt(0)
	v_and_b32_e32 v2, 0xffff, v4
	v_xor_b32_e32 v4, 0x7fff, v4
	s_delay_alu instid0(VALU_DEP_2) | instskip(NEXT) | instid1(VALU_DEP_1)
	v_lshrrev_b32_e32 v2, s28, v2
	v_and_b32_e32 v2, s33, v2
	s_delay_alu instid0(VALU_DEP_1) | instskip(SKIP_3) | instid1(VALU_DEP_1)
	v_lshlrev_b32_e32 v2, 3, v2
	ds_load_b64 v[2:3], v2
	s_waitcnt lgkmcnt(0)
	v_lshlrev_b64 v[2:3], 1, v[2:3]
	v_add_co_u32 v2, s8, s18, v2
	s_delay_alu instid0(VALU_DEP_1) | instskip(NEXT) | instid1(VALU_DEP_2)
	v_add_co_ci_u32_e64 v3, s8, s19, v3, s8
	v_add_co_u32 v2, s8, v2, v22
	s_delay_alu instid0(VALU_DEP_1)
	v_add_co_ci_u32_e64 v3, s8, 0, v3, s8
	global_store_b16 v[2:3], v4, off offset:2048
.LBB63_41:
	s_or_b32 exec_lo, exec_lo, s9
	v_or_b32_e32 v15, 0x800, v1
	s_delay_alu instid0(VALU_DEP_1) | instskip(NEXT) | instid1(VALU_DEP_1)
	v_cmp_gt_u32_e64 s8, s34, v15
	s_and_saveexec_b32 s10, s8
	s_cbranch_execz .LBB63_43
; %bb.42:
	ds_load_u16 v4, v22 offset:6144
	v_lshlrev_b32_e32 v5, 1, v15
	s_waitcnt lgkmcnt(0)
	v_and_b32_e32 v2, 0xffff, v4
	v_xor_b32_e32 v4, 0x7fff, v4
	s_delay_alu instid0(VALU_DEP_2) | instskip(NEXT) | instid1(VALU_DEP_1)
	v_lshrrev_b32_e32 v2, s28, v2
	v_and_b32_e32 v2, s33, v2
	s_delay_alu instid0(VALU_DEP_1) | instskip(SKIP_3) | instid1(VALU_DEP_1)
	v_lshlrev_b32_e32 v2, 3, v2
	ds_load_b64 v[2:3], v2
	s_waitcnt lgkmcnt(0)
	v_lshlrev_b64 v[2:3], 1, v[2:3]
	v_add_co_u32 v2, s9, s18, v2
	s_delay_alu instid0(VALU_DEP_1) | instskip(NEXT) | instid1(VALU_DEP_2)
	v_add_co_ci_u32_e64 v3, s9, s19, v3, s9
	v_add_co_u32 v2, s9, v2, v5
	s_delay_alu instid0(VALU_DEP_1)
	v_add_co_ci_u32_e64 v3, s9, 0, v3, s9
	global_store_b16 v[2:3], v4, off
.LBB63_43:
	s_or_b32 exec_lo, exec_lo, s10
	v_or_b32_e32 v20, 0xc00, v1
	s_delay_alu instid0(VALU_DEP_1) | instskip(NEXT) | instid1(VALU_DEP_1)
	v_cmp_gt_u32_e64 s9, s34, v20
	s_and_saveexec_b32 s11, s9
	s_cbranch_execz .LBB63_45
; %bb.44:
	ds_load_u16 v4, v22 offset:8192
	v_lshlrev_b32_e32 v5, 1, v20
	s_waitcnt lgkmcnt(0)
	v_and_b32_e32 v2, 0xffff, v4
	v_xor_b32_e32 v4, 0x7fff, v4
	s_delay_alu instid0(VALU_DEP_2) | instskip(NEXT) | instid1(VALU_DEP_1)
	v_lshrrev_b32_e32 v2, s28, v2
	v_and_b32_e32 v2, s33, v2
	s_delay_alu instid0(VALU_DEP_1) | instskip(SKIP_3) | instid1(VALU_DEP_1)
	v_lshlrev_b32_e32 v2, 3, v2
	ds_load_b64 v[2:3], v2
	s_waitcnt lgkmcnt(0)
	v_lshlrev_b64 v[2:3], 1, v[2:3]
	v_add_co_u32 v2, s10, s18, v2
	s_delay_alu instid0(VALU_DEP_1) | instskip(NEXT) | instid1(VALU_DEP_2)
	v_add_co_ci_u32_e64 v3, s10, s19, v3, s10
	v_add_co_u32 v2, s10, v2, v5
	s_delay_alu instid0(VALU_DEP_1)
	v_add_co_ci_u32_e64 v3, s10, 0, v3, s10
	global_store_b16 v[2:3], v4, off
.LBB63_45:
	s_or_b32 exec_lo, exec_lo, s11
	v_lshlrev_b32_e32 v2, 3, v12
	s_lshl_b64 s[10:11], s[30:31], 3
	v_lshlrev_b32_e32 v3, 3, v10
	s_add_u32 s10, s20, s10
	s_addc_u32 s11, s21, s11
	v_add_co_u32 v2, s10, s10, v2
	s_delay_alu instid0(VALU_DEP_1) | instskip(NEXT) | instid1(VALU_DEP_2)
	v_add_co_ci_u32_e64 v4, null, s11, 0, s10
	v_add_co_u32 v10, s10, v2, v3
	s_delay_alu instid0(VALU_DEP_1) | instskip(SKIP_1) | instid1(SALU_CYCLE_1)
	v_add_co_ci_u32_e64 v11, s10, 0, v4, s10
                                        ; implicit-def: $vgpr2_vgpr3
	s_and_saveexec_b32 s10, vcc_lo
	s_xor_b32 s10, exec_lo, s10
	s_cbranch_execnz .LBB63_103
; %bb.46:
	s_or_b32 exec_lo, exec_lo, s10
                                        ; implicit-def: $vgpr4_vgpr5
	s_and_saveexec_b32 s10, s2
	s_cbranch_execnz .LBB63_104
.LBB63_47:
	s_or_b32 exec_lo, exec_lo, s10
                                        ; implicit-def: $vgpr6_vgpr7
	s_and_saveexec_b32 s2, s3
	s_cbranch_execnz .LBB63_105
.LBB63_48:
	s_or_b32 exec_lo, exec_lo, s2
                                        ; implicit-def: $vgpr8_vgpr9
	s_and_saveexec_b32 s2, s4
	s_cbranch_execz .LBB63_50
.LBB63_49:
	global_load_b64 v[8:9], v[10:11], off offset:768
.LBB63_50:
	s_or_b32 exec_lo, exec_lo, s2
	v_dual_mov_b32 v11, 0 :: v_dual_mov_b32 v24, 0
	s_and_saveexec_b32 s2, s6
	s_cbranch_execz .LBB63_52
; %bb.51:
	ds_load_u16 v10, v22 offset:2048
	s_waitcnt lgkmcnt(0)
	v_lshrrev_b32_e32 v10, s28, v10
	s_delay_alu instid0(VALU_DEP_1)
	v_and_b32_e32 v24, s33, v10
.LBB63_52:
	s_or_b32 exec_lo, exec_lo, s2
	s_and_saveexec_b32 s2, s7
	s_cbranch_execz .LBB63_54
; %bb.53:
	ds_load_u16 v10, v22 offset:4096
	s_waitcnt lgkmcnt(0)
	v_lshrrev_b32_e32 v10, s28, v10
	s_delay_alu instid0(VALU_DEP_1)
	v_and_b32_e32 v11, s33, v10
.LBB63_54:
	s_or_b32 exec_lo, exec_lo, s2
	v_dual_mov_b32 v10, 0 :: v_dual_mov_b32 v23, 0
	s_and_saveexec_b32 s2, s8
	s_cbranch_execz .LBB63_56
; %bb.55:
	ds_load_u16 v23, v22 offset:6144
	s_waitcnt lgkmcnt(0)
	v_lshrrev_b32_e32 v23, s28, v23
	s_delay_alu instid0(VALU_DEP_1)
	v_and_b32_e32 v23, s33, v23
.LBB63_56:
	s_or_b32 exec_lo, exec_lo, s2
	s_and_saveexec_b32 s2, s9
	s_cbranch_execz .LBB63_58
; %bb.57:
	ds_load_u16 v10, v22 offset:8192
	s_waitcnt lgkmcnt(0)
	v_lshrrev_b32_e32 v10, s28, v10
	s_delay_alu instid0(VALU_DEP_1)
	v_and_b32_e32 v10, s33, v10
.LBB63_58:
	s_or_b32 exec_lo, exec_lo, s2
	v_lshlrev_b32_e32 v21, 3, v21
	v_lshlrev_b32_e32 v19, 3, v19
	;; [unrolled: 1-line block ×3, first 2 shown]
	s_waitcnt vmcnt(0)
	s_waitcnt_vscnt null, 0x0
	s_barrier
	buffer_gl0_inv
	v_lshlrev_b32_e32 v14, 3, v14
	ds_store_b64 v21, v[2:3] offset:2048
	ds_store_b64 v19, v[4:5] offset:2048
	;; [unrolled: 1-line block ×3, first 2 shown]
	v_lshlrev_b32_e32 v2, 3, v1
	ds_store_b64 v14, v[8:9] offset:2048
	s_waitcnt lgkmcnt(0)
	s_barrier
	buffer_gl0_inv
	s_and_saveexec_b32 s2, s6
	s_cbranch_execnz .LBB63_106
; %bb.59:
	s_or_b32 exec_lo, exec_lo, s2
	s_and_saveexec_b32 s2, s7
	s_cbranch_execnz .LBB63_107
.LBB63_60:
	s_or_b32 exec_lo, exec_lo, s2
	s_and_saveexec_b32 s2, s8
	s_cbranch_execnz .LBB63_108
.LBB63_61:
	s_or_b32 exec_lo, exec_lo, s2
	s_and_saveexec_b32 s2, s9
	s_cbranch_execz .LBB63_63
.LBB63_62:
	v_lshlrev_b32_e32 v3, 3, v10
	ds_load_b64 v[3:4], v3
	ds_load_b64 v[5:6], v2 offset:26624
	s_waitcnt lgkmcnt(1)
	v_lshlrev_b64 v[2:3], 3, v[3:4]
	v_lshlrev_b32_e32 v4, 3, v20
	s_delay_alu instid0(VALU_DEP_2) | instskip(NEXT) | instid1(VALU_DEP_3)
	v_add_co_u32 v2, vcc_lo, s22, v2
	v_add_co_ci_u32_e32 v3, vcc_lo, s23, v3, vcc_lo
	s_delay_alu instid0(VALU_DEP_2) | instskip(NEXT) | instid1(VALU_DEP_2)
	v_add_co_u32 v2, vcc_lo, v2, v4
	v_add_co_ci_u32_e32 v3, vcc_lo, 0, v3, vcc_lo
	s_waitcnt lgkmcnt(0)
	global_store_b64 v[2:3], v[5:6], off
.LBB63_63:
	s_or_b32 exec_lo, exec_lo, s2
	s_add_i32 s14, s14, -1
	s_mov_b32 s2, 0
	s_cmp_eq_u32 s15, s14
	s_mov_b32 s8, 0
	s_cselect_b32 s3, -1, 0
                                        ; implicit-def: $vgpr5_vgpr6
	s_delay_alu instid0(SALU_CYCLE_1) | instskip(NEXT) | instid1(SALU_CYCLE_1)
	s_and_b32 s3, s5, s3
	s_and_saveexec_b32 s4, s3
	s_delay_alu instid0(SALU_CYCLE_1)
	s_xor_b32 s3, exec_lo, s4
; %bb.64:
	v_add_co_u32 v5, s4, v16, v17
	v_mov_b32_e32 v2, 0
	v_add_co_ci_u32_e64 v6, null, 0, 0, s4
	s_mov_b32 s8, exec_lo
; %bb.65:
	s_or_b32 exec_lo, exec_lo, s3
	s_delay_alu instid0(SALU_CYCLE_1)
	s_and_b32 vcc_lo, exec_lo, s2
	s_cbranch_vccnz .LBB63_67
	s_branch .LBB63_100
.LBB63_66:
	s_mov_b32 s8, 0
                                        ; implicit-def: $vgpr5_vgpr6
	s_cbranch_execz .LBB63_100
.LBB63_67:
	v_lshlrev_b32_e32 v13, 2, v1
	s_lshl_b32 s6, s15, 12
	s_mov_b32 s7, 0
	v_dual_mov_b32 v9, 0 :: v_dual_lshlrev_b32 v2, 1, v12
	s_delay_alu instid0(VALU_DEP_2) | instskip(SKIP_1) | instid1(SALU_CYCLE_1)
	v_and_b32_e32 v11, 0xf80, v13
	s_lshl_b64 s[2:3], s[6:7], 1
	s_add_u32 s2, s16, s2
	s_addc_u32 s3, s17, s3
	s_delay_alu instid0(VALU_DEP_1) | instskip(SKIP_1) | instid1(VALU_DEP_1)
	v_lshlrev_b32_e32 v3, 1, v11
	v_add_co_u32 v2, s2, s2, v2
	v_add_co_ci_u32_e64 v4, null, s3, 0, s2
	s_delay_alu instid0(VALU_DEP_2) | instskip(NEXT) | instid1(VALU_DEP_2)
	v_add_co_u32 v2, vcc_lo, v2, v3
	v_add_co_ci_u32_e32 v3, vcc_lo, 0, v4, vcc_lo
	global_load_u16 v6, v[2:3], off
	s_clause 0x1
	s_load_b32 s2, s[0:1], 0x5c
	s_load_b32 s9, s[0:1], 0x50
	s_add_u32 s0, s0, 0x50
	s_addc_u32 s1, s1, 0
	s_waitcnt lgkmcnt(0)
	s_lshr_b32 s2, s2, 16
	s_cmp_lt_u32 s15, s9
	s_cselect_b32 s3, 12, 18
	s_delay_alu instid0(SALU_CYCLE_1)
	s_add_u32 s0, s0, s3
	s_addc_u32 s1, s1, 0
	global_load_u16 v14, v9, s[0:1]
	s_clause 0x2
	global_load_u16 v5, v[2:3], off offset:64
	global_load_u16 v4, v[2:3], off offset:128
	;; [unrolled: 1-line block ×3, first 2 shown]
	s_lshl_b32 s0, -1, s29
	s_delay_alu instid0(SALU_CYCLE_1) | instskip(SKIP_2) | instid1(VALU_DEP_1)
	s_not_b32 s10, s0
	s_waitcnt vmcnt(4)
	v_xor_b32_e32 v10, 0x7fff, v6
	v_and_b32_e32 v3, 0xffff, v10
	s_delay_alu instid0(VALU_DEP_1) | instskip(NEXT) | instid1(VALU_DEP_1)
	v_lshrrev_b32_e32 v3, s28, v3
	v_and_b32_e32 v16, s10, v3
	v_bfe_u32 v3, v0, 10, 10
	v_bfe_u32 v0, v0, 20, 10
	s_delay_alu instid0(VALU_DEP_3)
	v_and_b32_e32 v6, 1, v16
	v_lshlrev_b32_e32 v7, 30, v16
	v_lshlrev_b32_e32 v8, 29, v16
	;; [unrolled: 1-line block ×4, first 2 shown]
	v_add_co_u32 v6, s0, v6, -1
	s_delay_alu instid0(VALU_DEP_1)
	v_cndmask_b32_e64 v17, 0, 1, s0
	v_not_b32_e32 v21, v7
	v_cmp_gt_i32_e64 s0, 0, v7
	v_not_b32_e32 v7, v8
	v_lshlrev_b32_e32 v19, 26, v16
	v_cmp_ne_u32_e32 vcc_lo, 0, v17
	v_ashrrev_i32_e32 v21, 31, v21
	v_lshlrev_b32_e32 v20, 25, v16
	v_ashrrev_i32_e32 v7, 31, v7
	v_lshlrev_b32_e32 v17, 24, v16
	v_xor_b32_e32 v6, vcc_lo, v6
	v_cmp_gt_i32_e32 vcc_lo, 0, v8
	v_not_b32_e32 v8, v15
	v_xor_b32_e32 v21, s0, v21
	v_cmp_gt_i32_e64 s0, 0, v15
	v_and_b32_e32 v6, exec_lo, v6
	v_not_b32_e32 v15, v18
	v_ashrrev_i32_e32 v8, 31, v8
	v_xor_b32_e32 v7, vcc_lo, v7
	v_cmp_gt_i32_e32 vcc_lo, 0, v18
	v_and_b32_e32 v6, v6, v21
	v_not_b32_e32 v18, v19
	v_ashrrev_i32_e32 v15, 31, v15
	v_xor_b32_e32 v8, s0, v8
	v_cmp_gt_i32_e64 s0, 0, v19
	v_and_b32_e32 v6, v6, v7
	v_not_b32_e32 v7, v20
	v_ashrrev_i32_e32 v18, 31, v18
	v_xor_b32_e32 v15, vcc_lo, v15
	v_cmp_gt_i32_e32 vcc_lo, 0, v20
	v_and_b32_e32 v6, v6, v8
	v_not_b32_e32 v8, v17
	v_ashrrev_i32_e32 v7, 31, v7
	v_xor_b32_e32 v18, s0, v18
	v_cmp_gt_i32_e64 s0, 0, v17
	v_and_b32_e32 v6, v6, v15
	v_ashrrev_i32_e32 v8, 31, v8
	v_xor_b32_e32 v7, vcc_lo, v7
	v_mad_u32_u24 v0, v0, s2, v3
	v_mul_u32_u24_e32 v15, 9, v1
	v_and_b32_e32 v6, v6, v18
	v_xor_b32_e32 v3, s0, v8
	s_delay_alu instid0(VALU_DEP_3) | instskip(NEXT) | instid1(VALU_DEP_3)
	v_lshlrev_b32_e32 v15, 2, v15
	v_and_b32_e32 v6, v6, v7
	s_waitcnt vmcnt(0)
	v_mad_u64_u32 v[7:8], null, v0, v14, v[1:2]
	ds_store_2addr_b32 v15, v9, v9 offset0:32 offset1:33
	ds_store_2addr_b32 v15, v9, v9 offset0:34 offset1:35
	;; [unrolled: 1-line block ×4, first 2 shown]
	v_and_b32_e32 v6, v6, v3
	ds_store_b32 v15, v9 offset:160
	s_waitcnt lgkmcnt(0)
	s_waitcnt_vscnt null, 0x0
	s_barrier
	v_lshrrev_b32_e32 v3, 5, v7
	v_mbcnt_lo_u32_b32 v0, v6, 0
	v_mul_u32_u24_e32 v7, 33, v16
	v_cmp_ne_u32_e64 s0, 0, v6
	buffer_gl0_inv
	v_cmp_eq_u32_e32 vcc_lo, 0, v0
	v_add_lshl_u32 v16, v3, v7, 2
	; wave barrier
	s_and_b32 s1, s0, vcc_lo
	s_delay_alu instid0(SALU_CYCLE_1)
	s_and_saveexec_b32 s0, s1
	s_cbranch_execz .LBB63_69
; %bb.68:
	v_bcnt_u32_b32 v6, v6, 0
	ds_store_b32 v16, v6 offset:128
.LBB63_69:
	s_or_b32 exec_lo, exec_lo, s0
	v_xor_b32_e32 v14, 0x7fff, v5
	; wave barrier
	s_delay_alu instid0(VALU_DEP_1) | instskip(NEXT) | instid1(VALU_DEP_1)
	v_and_b32_e32 v5, 0xffff, v14
	v_lshrrev_b32_e32 v5, s28, v5
	s_delay_alu instid0(VALU_DEP_1) | instskip(NEXT) | instid1(VALU_DEP_1)
	v_and_b32_e32 v5, s10, v5
	v_and_b32_e32 v6, 1, v5
	v_lshlrev_b32_e32 v7, 30, v5
	v_lshlrev_b32_e32 v8, 29, v5
	;; [unrolled: 1-line block ×4, first 2 shown]
	v_add_co_u32 v6, s0, v6, -1
	s_delay_alu instid0(VALU_DEP_1)
	v_cndmask_b32_e64 v17, 0, 1, s0
	v_not_b32_e32 v21, v7
	v_cmp_gt_i32_e64 s0, 0, v7
	v_not_b32_e32 v7, v8
	v_lshlrev_b32_e32 v19, 26, v5
	v_cmp_ne_u32_e32 vcc_lo, 0, v17
	v_ashrrev_i32_e32 v21, 31, v21
	v_lshlrev_b32_e32 v20, 25, v5
	v_ashrrev_i32_e32 v7, 31, v7
	v_lshlrev_b32_e32 v17, 24, v5
	v_xor_b32_e32 v6, vcc_lo, v6
	v_cmp_gt_i32_e32 vcc_lo, 0, v8
	v_not_b32_e32 v8, v9
	v_xor_b32_e32 v21, s0, v21
	v_cmp_gt_i32_e64 s0, 0, v9
	v_and_b32_e32 v6, exec_lo, v6
	v_not_b32_e32 v9, v18
	v_ashrrev_i32_e32 v8, 31, v8
	v_xor_b32_e32 v7, vcc_lo, v7
	v_cmp_gt_i32_e32 vcc_lo, 0, v18
	v_and_b32_e32 v6, v6, v21
	v_not_b32_e32 v18, v19
	v_ashrrev_i32_e32 v9, 31, v9
	v_xor_b32_e32 v8, s0, v8
	v_cmp_gt_i32_e64 s0, 0, v19
	v_and_b32_e32 v6, v6, v7
	v_not_b32_e32 v7, v20
	v_ashrrev_i32_e32 v18, 31, v18
	v_xor_b32_e32 v9, vcc_lo, v9
	v_cmp_gt_i32_e32 vcc_lo, 0, v20
	v_and_b32_e32 v6, v6, v8
	v_not_b32_e32 v8, v17
	v_ashrrev_i32_e32 v7, 31, v7
	v_xor_b32_e32 v18, s0, v18
	v_mul_u32_u24_e32 v5, 33, v5
	v_and_b32_e32 v6, v6, v9
	v_cmp_gt_i32_e64 s0, 0, v17
	v_ashrrev_i32_e32 v8, 31, v8
	v_xor_b32_e32 v7, vcc_lo, v7
	v_add_lshl_u32 v20, v3, v5, 2
	v_and_b32_e32 v6, v6, v18
	s_delay_alu instid0(VALU_DEP_4) | instskip(SKIP_2) | instid1(VALU_DEP_1)
	v_xor_b32_e32 v5, s0, v8
	ds_load_b32 v17, v20 offset:128
	v_and_b32_e32 v6, v6, v7
	; wave barrier
	v_and_b32_e32 v5, v6, v5
	s_delay_alu instid0(VALU_DEP_1) | instskip(SKIP_1) | instid1(VALU_DEP_2)
	v_mbcnt_lo_u32_b32 v18, v5, 0
	v_cmp_ne_u32_e64 s0, 0, v5
	v_cmp_eq_u32_e32 vcc_lo, 0, v18
	s_delay_alu instid0(VALU_DEP_2) | instskip(NEXT) | instid1(SALU_CYCLE_1)
	s_and_b32 s1, s0, vcc_lo
	s_and_saveexec_b32 s0, s1
	s_cbranch_execz .LBB63_71
; %bb.70:
	s_waitcnt lgkmcnt(0)
	v_bcnt_u32_b32 v5, v5, v17
	ds_store_b32 v20, v5 offset:128
.LBB63_71:
	s_or_b32 exec_lo, exec_lo, s0
	v_xor_b32_e32 v19, 0x7fff, v4
	; wave barrier
	s_delay_alu instid0(VALU_DEP_1) | instskip(NEXT) | instid1(VALU_DEP_1)
	v_and_b32_e32 v4, 0xffff, v19
	v_lshrrev_b32_e32 v4, s28, v4
	s_delay_alu instid0(VALU_DEP_1) | instskip(NEXT) | instid1(VALU_DEP_1)
	v_and_b32_e32 v4, s10, v4
	v_and_b32_e32 v5, 1, v4
	v_lshlrev_b32_e32 v6, 30, v4
	v_lshlrev_b32_e32 v7, 29, v4
	;; [unrolled: 1-line block ×4, first 2 shown]
	v_add_co_u32 v5, s0, v5, -1
	s_delay_alu instid0(VALU_DEP_1)
	v_cndmask_b32_e64 v9, 0, 1, s0
	v_not_b32_e32 v24, v6
	v_cmp_gt_i32_e64 s0, 0, v6
	v_not_b32_e32 v6, v7
	v_lshlrev_b32_e32 v22, 26, v4
	v_cmp_ne_u32_e32 vcc_lo, 0, v9
	v_ashrrev_i32_e32 v24, 31, v24
	v_lshlrev_b32_e32 v23, 25, v4
	v_ashrrev_i32_e32 v6, 31, v6
	v_lshlrev_b32_e32 v9, 24, v4
	v_xor_b32_e32 v5, vcc_lo, v5
	v_cmp_gt_i32_e32 vcc_lo, 0, v7
	v_not_b32_e32 v7, v8
	v_xor_b32_e32 v24, s0, v24
	v_cmp_gt_i32_e64 s0, 0, v8
	v_and_b32_e32 v5, exec_lo, v5
	v_not_b32_e32 v8, v21
	v_ashrrev_i32_e32 v7, 31, v7
	v_xor_b32_e32 v6, vcc_lo, v6
	v_cmp_gt_i32_e32 vcc_lo, 0, v21
	v_and_b32_e32 v5, v5, v24
	v_not_b32_e32 v21, v22
	v_ashrrev_i32_e32 v8, 31, v8
	v_xor_b32_e32 v7, s0, v7
	v_cmp_gt_i32_e64 s0, 0, v22
	v_and_b32_e32 v5, v5, v6
	v_not_b32_e32 v6, v23
	v_ashrrev_i32_e32 v21, 31, v21
	v_xor_b32_e32 v8, vcc_lo, v8
	v_cmp_gt_i32_e32 vcc_lo, 0, v23
	v_and_b32_e32 v5, v5, v7
	v_not_b32_e32 v7, v9
	v_ashrrev_i32_e32 v6, 31, v6
	v_xor_b32_e32 v21, s0, v21
	v_mul_u32_u24_e32 v4, 33, v4
	v_and_b32_e32 v5, v5, v8
	v_cmp_gt_i32_e64 s0, 0, v9
	v_ashrrev_i32_e32 v7, 31, v7
	v_xor_b32_e32 v6, vcc_lo, v6
	v_add_lshl_u32 v24, v3, v4, 2
	v_and_b32_e32 v5, v5, v21
	s_delay_alu instid0(VALU_DEP_4) | instskip(SKIP_2) | instid1(VALU_DEP_1)
	v_xor_b32_e32 v4, s0, v7
	ds_load_b32 v21, v24 offset:128
	v_and_b32_e32 v5, v5, v6
	; wave barrier
	v_and_b32_e32 v4, v5, v4
	s_delay_alu instid0(VALU_DEP_1) | instskip(SKIP_1) | instid1(VALU_DEP_2)
	v_mbcnt_lo_u32_b32 v22, v4, 0
	v_cmp_ne_u32_e64 s0, 0, v4
	v_cmp_eq_u32_e32 vcc_lo, 0, v22
	s_delay_alu instid0(VALU_DEP_2) | instskip(NEXT) | instid1(SALU_CYCLE_1)
	s_and_b32 s1, s0, vcc_lo
	s_and_saveexec_b32 s0, s1
	s_cbranch_execz .LBB63_73
; %bb.72:
	s_waitcnt lgkmcnt(0)
	v_bcnt_u32_b32 v4, v4, v21
	ds_store_b32 v24, v4 offset:128
.LBB63_73:
	s_or_b32 exec_lo, exec_lo, s0
	v_xor_b32_e32 v23, 0x7fff, v2
	; wave barrier
	v_add_nc_u32_e32 v28, 0x80, v15
	s_delay_alu instid0(VALU_DEP_2) | instskip(NEXT) | instid1(VALU_DEP_1)
	v_and_b32_e32 v2, 0xffff, v23
	v_lshrrev_b32_e32 v2, s28, v2
	s_delay_alu instid0(VALU_DEP_1) | instskip(NEXT) | instid1(VALU_DEP_1)
	v_and_b32_e32 v2, s10, v2
	v_and_b32_e32 v4, 1, v2
	v_lshlrev_b32_e32 v5, 30, v2
	v_lshlrev_b32_e32 v6, 29, v2
	;; [unrolled: 1-line block ×4, first 2 shown]
	v_add_co_u32 v4, s0, v4, -1
	s_delay_alu instid0(VALU_DEP_1)
	v_cndmask_b32_e64 v8, 0, 1, s0
	v_not_b32_e32 v27, v5
	v_cmp_gt_i32_e64 s0, 0, v5
	v_not_b32_e32 v5, v6
	v_lshlrev_b32_e32 v25, 26, v2
	v_cmp_ne_u32_e32 vcc_lo, 0, v8
	v_ashrrev_i32_e32 v27, 31, v27
	v_lshlrev_b32_e32 v26, 25, v2
	v_ashrrev_i32_e32 v5, 31, v5
	v_lshlrev_b32_e32 v8, 24, v2
	v_xor_b32_e32 v4, vcc_lo, v4
	v_cmp_gt_i32_e32 vcc_lo, 0, v6
	v_not_b32_e32 v6, v7
	v_xor_b32_e32 v27, s0, v27
	v_cmp_gt_i32_e64 s0, 0, v7
	v_and_b32_e32 v4, exec_lo, v4
	v_not_b32_e32 v7, v9
	v_ashrrev_i32_e32 v6, 31, v6
	v_xor_b32_e32 v5, vcc_lo, v5
	v_cmp_gt_i32_e32 vcc_lo, 0, v9
	v_and_b32_e32 v4, v4, v27
	v_not_b32_e32 v9, v25
	v_ashrrev_i32_e32 v7, 31, v7
	v_xor_b32_e32 v6, s0, v6
	v_cmp_gt_i32_e64 s0, 0, v25
	v_and_b32_e32 v4, v4, v5
	v_not_b32_e32 v5, v26
	v_ashrrev_i32_e32 v9, 31, v9
	v_xor_b32_e32 v7, vcc_lo, v7
	v_cmp_gt_i32_e32 vcc_lo, 0, v26
	v_and_b32_e32 v4, v4, v6
	v_not_b32_e32 v6, v8
	v_ashrrev_i32_e32 v5, 31, v5
	v_xor_b32_e32 v9, s0, v9
	v_mul_u32_u24_e32 v2, 33, v2
	v_and_b32_e32 v4, v4, v7
	v_cmp_gt_i32_e64 s0, 0, v8
	v_ashrrev_i32_e32 v6, 31, v6
	v_xor_b32_e32 v5, vcc_lo, v5
	v_add_lshl_u32 v27, v3, v2, 2
	v_and_b32_e32 v4, v4, v9
	s_delay_alu instid0(VALU_DEP_4) | instskip(SKIP_2) | instid1(VALU_DEP_1)
	v_xor_b32_e32 v2, s0, v6
	ds_load_b32 v25, v27 offset:128
	v_and_b32_e32 v3, v4, v5
	; wave barrier
	v_and_b32_e32 v2, v3, v2
	s_delay_alu instid0(VALU_DEP_1) | instskip(SKIP_1) | instid1(VALU_DEP_2)
	v_mbcnt_lo_u32_b32 v26, v2, 0
	v_cmp_ne_u32_e64 s0, 0, v2
	v_cmp_eq_u32_e32 vcc_lo, 0, v26
	s_delay_alu instid0(VALU_DEP_2) | instskip(NEXT) | instid1(SALU_CYCLE_1)
	s_and_b32 s1, s0, vcc_lo
	s_and_saveexec_b32 s0, s1
	s_cbranch_execz .LBB63_75
; %bb.74:
	s_waitcnt lgkmcnt(0)
	v_bcnt_u32_b32 v2, v2, v25
	ds_store_b32 v27, v2 offset:128
.LBB63_75:
	s_or_b32 exec_lo, exec_lo, s0
	; wave barrier
	s_waitcnt lgkmcnt(0)
	s_barrier
	buffer_gl0_inv
	ds_load_2addr_b32 v[8:9], v15 offset0:32 offset1:33
	ds_load_2addr_b32 v[6:7], v28 offset0:2 offset1:3
	;; [unrolled: 1-line block ×4, first 2 shown]
	ds_load_b32 v29, v28 offset:32
	v_and_b32_e32 v32, 16, v12
	v_and_b32_e32 v33, 31, v1
	s_mov_b32 s5, exec_lo
	s_delay_alu instid0(VALU_DEP_2) | instskip(SKIP_3) | instid1(VALU_DEP_1)
	v_cmp_eq_u32_e64 s3, 0, v32
	s_waitcnt lgkmcnt(3)
	v_add3_u32 v30, v9, v8, v6
	s_waitcnt lgkmcnt(2)
	v_add3_u32 v30, v30, v7, v4
	s_waitcnt lgkmcnt(1)
	s_delay_alu instid0(VALU_DEP_1) | instskip(SKIP_1) | instid1(VALU_DEP_1)
	v_add3_u32 v30, v30, v5, v2
	s_waitcnt lgkmcnt(0)
	v_add3_u32 v29, v30, v3, v29
	v_and_b32_e32 v30, 15, v12
	s_delay_alu instid0(VALU_DEP_2) | instskip(NEXT) | instid1(VALU_DEP_2)
	v_mov_b32_dpp v31, v29 row_shr:1 row_mask:0xf bank_mask:0xf
	v_cmp_eq_u32_e32 vcc_lo, 0, v30
	v_cmp_lt_u32_e64 s0, 1, v30
	v_cmp_lt_u32_e64 s1, 3, v30
	;; [unrolled: 1-line block ×3, first 2 shown]
	v_cndmask_b32_e64 v31, v31, 0, vcc_lo
	s_delay_alu instid0(VALU_DEP_1) | instskip(NEXT) | instid1(VALU_DEP_1)
	v_add_nc_u32_e32 v29, v31, v29
	v_mov_b32_dpp v31, v29 row_shr:2 row_mask:0xf bank_mask:0xf
	s_delay_alu instid0(VALU_DEP_1) | instskip(NEXT) | instid1(VALU_DEP_1)
	v_cndmask_b32_e64 v31, 0, v31, s0
	v_add_nc_u32_e32 v29, v29, v31
	s_delay_alu instid0(VALU_DEP_1) | instskip(NEXT) | instid1(VALU_DEP_1)
	v_mov_b32_dpp v31, v29 row_shr:4 row_mask:0xf bank_mask:0xf
	v_cndmask_b32_e64 v31, 0, v31, s1
	s_delay_alu instid0(VALU_DEP_1) | instskip(NEXT) | instid1(VALU_DEP_1)
	v_add_nc_u32_e32 v29, v29, v31
	v_mov_b32_dpp v31, v29 row_shr:8 row_mask:0xf bank_mask:0xf
	s_delay_alu instid0(VALU_DEP_1) | instskip(SKIP_1) | instid1(VALU_DEP_2)
	v_cndmask_b32_e64 v30, 0, v31, s2
	v_bfe_i32 v31, v12, 4, 1
	v_add_nc_u32_e32 v29, v29, v30
	ds_swizzle_b32 v30, v29 offset:swizzle(BROADCAST,32,15)
	s_waitcnt lgkmcnt(0)
	v_and_b32_e32 v31, v31, v30
	v_lshrrev_b32_e32 v30, 5, v1
	s_delay_alu instid0(VALU_DEP_2)
	v_add_nc_u32_e32 v29, v29, v31
	v_cmpx_eq_u32_e32 31, v33
	s_cbranch_execz .LBB63_77
; %bb.76:
	s_delay_alu instid0(VALU_DEP_3)
	v_lshlrev_b32_e32 v31, 2, v30
	ds_store_b32 v31, v29
.LBB63_77:
	s_or_b32 exec_lo, exec_lo, s5
	v_cmp_lt_u32_e64 s4, 31, v1
	s_mov_b32 s11, exec_lo
	s_waitcnt lgkmcnt(0)
	s_barrier
	buffer_gl0_inv
	v_cmpx_gt_u32_e32 32, v1
	s_cbranch_execz .LBB63_79
; %bb.78:
	ds_load_b32 v31, v13
	s_waitcnt lgkmcnt(0)
	v_mov_b32_dpp v32, v31 row_shr:1 row_mask:0xf bank_mask:0xf
	s_delay_alu instid0(VALU_DEP_1) | instskip(NEXT) | instid1(VALU_DEP_1)
	v_cndmask_b32_e64 v32, v32, 0, vcc_lo
	v_add_nc_u32_e32 v31, v32, v31
	s_delay_alu instid0(VALU_DEP_1) | instskip(NEXT) | instid1(VALU_DEP_1)
	v_mov_b32_dpp v32, v31 row_shr:2 row_mask:0xf bank_mask:0xf
	v_cndmask_b32_e64 v32, 0, v32, s0
	s_delay_alu instid0(VALU_DEP_1) | instskip(NEXT) | instid1(VALU_DEP_1)
	v_add_nc_u32_e32 v31, v31, v32
	v_mov_b32_dpp v32, v31 row_shr:4 row_mask:0xf bank_mask:0xf
	s_delay_alu instid0(VALU_DEP_1) | instskip(NEXT) | instid1(VALU_DEP_1)
	v_cndmask_b32_e64 v32, 0, v32, s1
	v_add_nc_u32_e32 v31, v31, v32
	s_delay_alu instid0(VALU_DEP_1) | instskip(NEXT) | instid1(VALU_DEP_1)
	v_mov_b32_dpp v32, v31 row_shr:8 row_mask:0xf bank_mask:0xf
	v_cndmask_b32_e64 v32, 0, v32, s2
	s_delay_alu instid0(VALU_DEP_1) | instskip(SKIP_3) | instid1(VALU_DEP_1)
	v_add_nc_u32_e32 v31, v31, v32
	ds_swizzle_b32 v32, v31 offset:swizzle(BROADCAST,32,15)
	s_waitcnt lgkmcnt(0)
	v_cndmask_b32_e64 v32, v32, 0, s3
	v_add_nc_u32_e32 v31, v31, v32
	ds_store_b32 v13, v31
.LBB63_79:
	s_or_b32 exec_lo, exec_lo, s11
	v_mov_b32_e32 v13, 0
	s_waitcnt lgkmcnt(0)
	s_barrier
	buffer_gl0_inv
	s_and_saveexec_b32 s0, s4
	s_cbranch_execz .LBB63_81
; %bb.80:
	v_lshl_add_u32 v13, v30, 2, -4
	ds_load_b32 v13, v13
.LBB63_81:
	s_or_b32 exec_lo, exec_lo, s0
	v_add_nc_u32_e32 v30, -1, v12
	v_cmp_lt_u32_e64 s0, 0xff, v1
	s_waitcnt lgkmcnt(0)
	v_add_nc_u32_e32 v29, v13, v29
	s_delay_alu instid0(VALU_DEP_3) | instskip(SKIP_2) | instid1(VALU_DEP_2)
	v_cmp_gt_i32_e32 vcc_lo, 0, v30
	v_cndmask_b32_e32 v30, v30, v12, vcc_lo
	v_cmp_eq_u32_e32 vcc_lo, 0, v12
	v_lshlrev_b32_e32 v30, 2, v30
	ds_bpermute_b32 v29, v30, v29
	s_waitcnt lgkmcnt(0)
	v_cndmask_b32_e32 v13, v29, v13, vcc_lo
	v_cmp_ne_u32_e32 vcc_lo, 0, v1
	s_delay_alu instid0(VALU_DEP_2) | instskip(SKIP_1) | instid1(VALU_DEP_2)
	v_cndmask_b32_e32 v13, 0, v13, vcc_lo
	v_cmp_gt_u32_e32 vcc_lo, 0x100, v1
	v_add_nc_u32_e32 v8, v13, v8
	s_delay_alu instid0(VALU_DEP_1) | instskip(NEXT) | instid1(VALU_DEP_1)
	v_add_nc_u32_e32 v9, v8, v9
	v_add_nc_u32_e32 v6, v9, v6
	s_delay_alu instid0(VALU_DEP_1) | instskip(NEXT) | instid1(VALU_DEP_1)
	v_add_nc_u32_e32 v7, v6, v7
	;; [unrolled: 3-line block ×3, first 2 shown]
	v_add_nc_u32_e32 v2, v5, v2
	s_delay_alu instid0(VALU_DEP_1)
	v_add_nc_u32_e32 v3, v2, v3
	ds_store_2addr_b32 v15, v13, v8 offset0:32 offset1:33
	ds_store_2addr_b32 v28, v9, v6 offset0:2 offset1:3
	;; [unrolled: 1-line block ×4, first 2 shown]
	ds_store_b32 v28, v3 offset:32
	s_waitcnt lgkmcnt(0)
	s_barrier
	buffer_gl0_inv
	ds_load_b32 v2, v16 offset:128
	ds_load_b32 v5, v20 offset:128
	;; [unrolled: 1-line block ×4, first 2 shown]
	v_mov_b32_e32 v3, 0
	v_mov_b32_e32 v4, 0
                                        ; implicit-def: $vgpr13
	s_and_saveexec_b32 s2, vcc_lo
	s_cbranch_execz .LBB63_85
; %bb.82:
	v_mul_u32_u24_e32 v3, 33, v1
	v_mov_b32_e32 v4, 0x1000
	s_mov_b32 s3, exec_lo
	s_delay_alu instid0(VALU_DEP_2)
	v_lshlrev_b32_e32 v8, 2, v3
	ds_load_b32 v3, v8 offset:128
	v_cmpx_ne_u32_e32 0xff, v1
	s_cbranch_execz .LBB63_84
; %bb.83:
	ds_load_b32 v4, v8 offset:260
.LBB63_84:
	s_or_b32 exec_lo, exec_lo, s3
	s_waitcnt lgkmcnt(0)
	v_sub_nc_u32_e32 v13, v4, v3
	v_mov_b32_e32 v4, 0
.LBB63_85:
	s_or_b32 exec_lo, exec_lo, s2
	s_waitcnt lgkmcnt(3)
	v_add_nc_u32_e32 v20, v2, v0
	s_waitcnt lgkmcnt(2)
	v_add3_u32 v16, v18, v17, v5
	s_waitcnt lgkmcnt(1)
	v_add3_u32 v15, v22, v21, v6
	;; [unrolled: 2-line block ×3, first 2 shown]
	v_lshlrev_b32_e32 v2, 1, v20
	v_lshlrev_b32_e32 v5, 1, v16
	;; [unrolled: 1-line block ×3, first 2 shown]
	s_delay_alu instid0(VALU_DEP_4)
	v_lshlrev_b32_e32 v7, 1, v0
	s_barrier
	buffer_gl0_inv
	ds_store_b16 v2, v10 offset:2048
	ds_store_b16 v5, v14 offset:2048
	;; [unrolled: 1-line block ×4, first 2 shown]
	s_waitcnt lgkmcnt(0)
	s_barrier
	buffer_gl0_inv
	s_and_saveexec_b32 s1, s0
	s_delay_alu instid0(SALU_CYCLE_1)
	s_xor_b32 s0, exec_lo, s1
; %bb.86:
	v_mov_b32_e32 v2, 0
; %bb.87:
	s_and_not1_saveexec_b32 s1, s0
	s_cbranch_execz .LBB63_97
; %bb.88:
	v_lshl_or_b32 v7, s15, 8, v1
	v_mov_b32_e32 v8, 0
	v_mov_b32_e32 v2, 0
	s_mov_b32 s2, 0
	s_mov_b32 s3, s15
	s_delay_alu instid0(VALU_DEP_2) | instskip(SKIP_1) | instid1(VALU_DEP_2)
	v_lshlrev_b64 v[5:6], 2, v[7:8]
	v_or_b32_e32 v7, 2.0, v13
	v_add_co_u32 v5, s0, s12, v5
	s_delay_alu instid0(VALU_DEP_1)
	v_add_co_ci_u32_e64 v6, s0, s13, v6, s0
                                        ; implicit-def: $sgpr0
	global_store_b32 v[5:6], v7, off
	s_branch .LBB63_91
	.p2align	6
.LBB63_89:                              ;   in Loop: Header=BB63_91 Depth=1
	s_or_b32 exec_lo, exec_lo, s5
.LBB63_90:                              ;   in Loop: Header=BB63_91 Depth=1
	s_delay_alu instid0(SALU_CYCLE_1) | instskip(SKIP_2) | instid1(VALU_DEP_2)
	s_or_b32 exec_lo, exec_lo, s4
	v_and_b32_e32 v9, 0x3fffffff, v14
	v_cmp_eq_u32_e64 s0, 0x80000000, v7
	v_add_nc_u32_e32 v2, v9, v2
	s_delay_alu instid0(VALU_DEP_2) | instskip(NEXT) | instid1(SALU_CYCLE_1)
	s_and_b32 s4, exec_lo, s0
	s_or_b32 s2, s4, s2
	s_delay_alu instid0(SALU_CYCLE_1)
	s_and_not1_b32 exec_lo, exec_lo, s2
	s_cbranch_execz .LBB63_96
.LBB63_91:                              ; =>This Loop Header: Depth=1
                                        ;     Child Loop BB63_94 Depth 2
	s_or_b32 s0, s0, exec_lo
	s_cmp_eq_u32 s3, 0
	s_cbranch_scc1 .LBB63_95
; %bb.92:                               ;   in Loop: Header=BB63_91 Depth=1
	s_add_i32 s3, s3, -1
	s_mov_b32 s4, exec_lo
	v_lshl_or_b32 v7, s3, 8, v1
	s_delay_alu instid0(VALU_DEP_1) | instskip(NEXT) | instid1(VALU_DEP_1)
	v_lshlrev_b64 v[9:10], 2, v[7:8]
	v_add_co_u32 v9, s0, s12, v9
	s_delay_alu instid0(VALU_DEP_1) | instskip(SKIP_3) | instid1(VALU_DEP_1)
	v_add_co_ci_u32_e64 v10, s0, s13, v10, s0
	global_load_b32 v14, v[9:10], off glc
	s_waitcnt vmcnt(0)
	v_and_b32_e32 v7, -2.0, v14
	v_cmpx_eq_u32_e32 0, v7
	s_cbranch_execz .LBB63_90
; %bb.93:                               ;   in Loop: Header=BB63_91 Depth=1
	s_mov_b32 s5, 0
.LBB63_94:                              ;   Parent Loop BB63_91 Depth=1
                                        ; =>  This Inner Loop Header: Depth=2
	global_load_b32 v14, v[9:10], off glc
	s_waitcnt vmcnt(0)
	v_and_b32_e32 v7, -2.0, v14
	s_delay_alu instid0(VALU_DEP_1) | instskip(NEXT) | instid1(VALU_DEP_1)
	v_cmp_ne_u32_e64 s0, 0, v7
	s_or_b32 s5, s0, s5
	s_delay_alu instid0(SALU_CYCLE_1)
	s_and_not1_b32 exec_lo, exec_lo, s5
	s_cbranch_execnz .LBB63_94
	s_branch .LBB63_89
.LBB63_95:                              ;   in Loop: Header=BB63_91 Depth=1
                                        ; implicit-def: $sgpr3
	s_and_b32 s4, exec_lo, s0
	s_delay_alu instid0(SALU_CYCLE_1) | instskip(NEXT) | instid1(SALU_CYCLE_1)
	s_or_b32 s2, s4, s2
	s_and_not1_b32 exec_lo, exec_lo, s2
	s_cbranch_execnz .LBB63_91
.LBB63_96:
	s_or_b32 exec_lo, exec_lo, s2
	v_add_nc_u32_e32 v7, v2, v13
	v_lshlrev_b32_e32 v8, 3, v1
	v_sub_co_u32 v2, s0, v2, v3
	s_delay_alu instid0(VALU_DEP_3)
	v_or_b32_e32 v7, 0x80000000, v7
	global_store_b32 v[5:6], v7, off
	global_load_b64 v[5:6], v8, s[24:25]
	v_sub_co_ci_u32_e64 v7, s0, 0, v4, s0
	s_waitcnt vmcnt(0)
	v_add_co_u32 v5, s0, v2, v5
	v_mov_b32_e32 v2, 0
	s_delay_alu instid0(VALU_DEP_3)
	v_add_co_ci_u32_e64 v6, s0, v7, v6, s0
	ds_store_b64 v8, v[5:6]
.LBB63_97:
	s_or_b32 exec_lo, exec_lo, s1
	v_lshlrev_b32_e32 v5, 3, v12
	s_lshl_b64 s[0:1], s[6:7], 3
	v_lshlrev_b32_e32 v6, 3, v11
	s_add_u32 s0, s20, s0
	s_addc_u32 s1, s21, s1
	v_add_co_u32 v5, s0, s0, v5
	s_delay_alu instid0(VALU_DEP_1) | instskip(SKIP_2) | instid1(VALU_DEP_2)
	v_add_co_ci_u32_e64 v7, null, s1, 0, s0
	s_waitcnt lgkmcnt(0)
	s_waitcnt_vscnt null, 0x0
	v_add_co_u32 v5, s0, v5, v6
	s_delay_alu instid0(VALU_DEP_1)
	v_add_co_ci_u32_e64 v6, s0, 0, v7, s0
	s_barrier
	buffer_gl0_inv
	v_lshlrev_b32_e32 v27, 1, v1
	s_clause 0x3
	global_load_b64 v[7:8], v[5:6], off
	global_load_b64 v[9:10], v[5:6], off offset:256
	global_load_b64 v[11:12], v[5:6], off offset:512
	;; [unrolled: 1-line block ×3, first 2 shown]
	v_lshlrev_b32_e32 v29, 1, v1
	v_lshlrev_b32_e32 v40, 3, v15
	;; [unrolled: 1-line block ×3, first 2 shown]
	ds_load_u16 v28, v27 offset:8192
	ds_load_u16 v19, v29 offset:2048
	;; [unrolled: 1-line block ×3, first 2 shown]
	v_lshlrev_b32_e32 v39, 3, v16
	v_lshlrev_b64 v[25:26], 1, v[1:2]
	v_or_b32_e32 v35, 0x800, v1
	v_or_b32_e32 v36, 0xc00, v1
	v_lshlrev_b32_e32 v0, 3, v0
	s_add_i32 s9, s9, -1
	s_delay_alu instid0(VALU_DEP_3) | instskip(NEXT) | instid1(VALU_DEP_3)
	v_lshlrev_b32_e32 v41, 1, v35
	v_lshlrev_b32_e32 v42, 1, v36
	s_cmp_eq_u32 s15, s9
	s_cselect_b32 s1, -1, 0
	s_delay_alu instid0(SALU_CYCLE_1)
	s_and_b32 s1, vcc_lo, s1
	s_waitcnt lgkmcnt(2)
	v_and_b32_e32 v14, 0xffff, v28
	s_waitcnt lgkmcnt(1)
	v_xor_b32_e32 v43, 0x7fff, v19
	s_waitcnt lgkmcnt(0)
	v_and_b32_e32 v21, 0xffff, v30
	v_xor_b32_e32 v30, 0x7fff, v30
	v_xor_b32_e32 v28, 0x7fff, v28
	v_lshrrev_b32_e32 v14, s28, v14
	s_delay_alu instid0(VALU_DEP_4) | instskip(NEXT) | instid1(VALU_DEP_2)
	v_lshrrev_b32_e32 v21, s28, v21
	v_and_b32_e32 v14, s10, v14
	s_delay_alu instid0(VALU_DEP_2) | instskip(NEXT) | instid1(VALU_DEP_2)
	v_and_b32_e32 v21, s10, v21
	v_lshlrev_b32_e32 v31, 3, v14
	ds_load_b64 v[17:18], v31
	ds_load_u16 v32, v27 offset:6144
	v_and_b32_e32 v14, 0xffff, v19
	v_lshlrev_b32_e32 v34, 3, v21
	s_delay_alu instid0(VALU_DEP_2) | instskip(NEXT) | instid1(VALU_DEP_1)
	v_lshrrev_b32_e32 v14, s28, v14
	v_and_b32_e32 v14, s10, v14
	s_delay_alu instid0(VALU_DEP_1)
	v_lshlrev_b32_e32 v33, 3, v14
	ds_load_b64 v[21:22], v33
	ds_load_b64 v[23:24], v34
	s_waitcnt lgkmcnt(2)
	v_and_b32_e32 v14, 0xffff, v32
	v_lshlrev_b64 v[16:17], 1, v[17:18]
	s_delay_alu instid0(VALU_DEP_2) | instskip(NEXT) | instid1(VALU_DEP_1)
	v_lshrrev_b32_e32 v14, s28, v14
	v_and_b32_e32 v14, s10, v14
	s_delay_alu instid0(VALU_DEP_1)
	v_lshlrev_b32_e32 v38, 3, v14
	s_waitcnt lgkmcnt(1)
	v_lshlrev_b64 v[19:20], 1, v[21:22]
	s_waitcnt lgkmcnt(0)
	v_lshlrev_b64 v[21:22], 1, v[23:24]
	ds_load_b64 v[14:15], v38
	v_xor_b32_e32 v23, 0x7fff, v32
	v_add_co_u32 v18, s0, s18, v19
	s_delay_alu instid0(VALU_DEP_1) | instskip(SKIP_1) | instid1(VALU_DEP_1)
	v_add_co_ci_u32_e64 v19, s0, s19, v20, s0
	v_add_co_u32 v20, s0, s18, v21
	v_add_co_ci_u32_e64 v21, s0, s19, v22, s0
	v_add_co_u32 v22, s0, s18, v16
	s_delay_alu instid0(VALU_DEP_1) | instskip(SKIP_1) | instid1(VALU_DEP_1)
	v_add_co_ci_u32_e64 v24, s0, s19, v17, s0
	v_add_co_u32 v16, s0, v18, v25
	v_add_co_ci_u32_e64 v17, s0, v19, v26, s0
	s_waitcnt lgkmcnt(0)
	v_lshlrev_b64 v[14:15], 1, v[14:15]
	s_delay_alu instid0(VALU_DEP_1) | instskip(NEXT) | instid1(VALU_DEP_1)
	v_add_co_u32 v18, s0, s18, v14
	v_add_co_ci_u32_e64 v19, s0, s19, v15, s0
	v_add_co_u32 v14, s0, v20, v25
	s_delay_alu instid0(VALU_DEP_1) | instskip(NEXT) | instid1(VALU_DEP_4)
	v_add_co_ci_u32_e64 v15, s0, v21, v26, s0
	v_add_co_u32 v18, s0, v18, v41
	s_delay_alu instid0(VALU_DEP_1) | instskip(SKIP_1) | instid1(VALU_DEP_1)
	v_add_co_ci_u32_e64 v19, s0, 0, v19, s0
	v_add_co_u32 v20, s0, v22, v42
	v_add_co_ci_u32_e64 v21, s0, 0, v24, s0
	s_clause 0x3
	global_store_b16 v[16:17], v43, off
	global_store_b16 v[14:15], v30, off offset:2048
	global_store_b16 v[18:19], v23, off
	global_store_b16 v[20:21], v28, off
	s_waitcnt vmcnt(0)
	s_waitcnt_vscnt null, 0x0
	s_barrier
	buffer_gl0_inv
	v_mad_i32_i24 v20, v1, 6, v29
	v_lshlrev_b64 v[18:19], 3, v[1:2]
	v_lshl_or_b32 v24, v1, 3, 0x2000
	v_lshlrev_b32_e32 v25, 3, v35
	v_lshlrev_b32_e32 v26, 3, v36
	ds_store_b64 v37, v[7:8] offset:2048
	ds_store_b64 v39, v[9:10] offset:2048
	;; [unrolled: 1-line block ×4, first 2 shown]
	s_waitcnt lgkmcnt(0)
	s_barrier
	buffer_gl0_inv
	ds_load_b64 v[9:10], v33
	ds_load_b64 v[11:12], v34
	;; [unrolled: 1-line block ×4, first 2 shown]
	v_or_b32_e32 v0, 0x800, v27
	s_delay_alu instid0(VALU_DEP_1)
	v_mad_u32_u24 v0, v1, 6, v0
	ds_load_2addr_stride64_b64 v[5:8], v0 offset0:16 offset1:32
	ds_load_b64 v[20:21], v20 offset:2048
	ds_load_b64 v[22:23], v0 offset:24576
	s_waitcnt lgkmcnt(6)
	v_lshlrev_b64 v[9:10], 3, v[9:10]
	s_waitcnt lgkmcnt(5)
	v_lshlrev_b64 v[11:12], 3, v[11:12]
	;; [unrolled: 2-line block ×4, first 2 shown]
	v_add_co_u32 v0, s0, s22, v9
	s_delay_alu instid0(VALU_DEP_1) | instskip(SKIP_1) | instid1(VALU_DEP_1)
	v_add_co_ci_u32_e64 v10, s0, s23, v10, s0
	v_add_co_u32 v11, s0, s22, v11
	v_add_co_ci_u32_e64 v12, s0, s23, v12, s0
	v_add_co_u32 v14, s0, s22, v14
	s_delay_alu instid0(VALU_DEP_1) | instskip(SKIP_1) | instid1(VALU_DEP_1)
	v_add_co_ci_u32_e64 v15, s0, s23, v15, s0
	v_add_co_u32 v16, s0, s22, v16
	v_add_co_ci_u32_e64 v17, s0, s23, v17, s0
	;; [unrolled: 5-line block ×4, first 2 shown]
	s_waitcnt lgkmcnt(1)
	s_clause 0x2
	global_store_b64 v[9:10], v[20:21], off
	global_store_b64 v[11:12], v[5:6], off
	global_store_b64 v[14:15], v[7:8], off
	s_waitcnt lgkmcnt(0)
	global_store_b64 v[16:17], v[22:23], off
                                        ; implicit-def: $vgpr5_vgpr6
	s_and_saveexec_b32 s0, s1
; %bb.98:
	v_add_co_u32 v5, vcc_lo, v3, v13
	v_add_co_ci_u32_e32 v6, vcc_lo, 0, v4, vcc_lo
	s_or_b32 s8, s8, exec_lo
; %bb.99:
	s_or_b32 exec_lo, exec_lo, s0
.LBB63_100:
	s_and_saveexec_b32 s0, s8
	s_cbranch_execnz .LBB63_102
; %bb.101:
	s_nop 0
	s_sendmsg sendmsg(MSG_DEALLOC_VGPRS)
	s_endpgm
.LBB63_102:
	v_lshlrev_b32_e32 v0, 3, v1
	ds_load_b64 v[3:4], v0
	v_lshlrev_b64 v[0:1], 3, v[1:2]
	s_delay_alu instid0(VALU_DEP_1) | instskip(NEXT) | instid1(VALU_DEP_2)
	v_add_co_u32 v0, vcc_lo, s26, v0
	v_add_co_ci_u32_e32 v1, vcc_lo, s27, v1, vcc_lo
	s_waitcnt lgkmcnt(0)
	v_add_co_u32 v2, vcc_lo, v3, v5
	v_add_co_ci_u32_e32 v3, vcc_lo, v4, v6, vcc_lo
	global_store_b64 v[0:1], v[2:3], off
	s_nop 0
	s_sendmsg sendmsg(MSG_DEALLOC_VGPRS)
	s_endpgm
.LBB63_103:
	global_load_b64 v[2:3], v[10:11], off
	s_or_b32 exec_lo, exec_lo, s10
                                        ; implicit-def: $vgpr4_vgpr5
	s_and_saveexec_b32 s10, s2
	s_cbranch_execz .LBB63_47
.LBB63_104:
	global_load_b64 v[4:5], v[10:11], off offset:256
	s_or_b32 exec_lo, exec_lo, s10
                                        ; implicit-def: $vgpr6_vgpr7
	s_and_saveexec_b32 s2, s3
	s_cbranch_execz .LBB63_48
.LBB63_105:
	global_load_b64 v[6:7], v[10:11], off offset:512
	s_or_b32 exec_lo, exec_lo, s2
                                        ; implicit-def: $vgpr8_vgpr9
	s_and_saveexec_b32 s2, s4
	s_cbranch_execnz .LBB63_49
	s_branch .LBB63_50
.LBB63_106:
	v_lshlrev_b32_e32 v3, 3, v24
	ds_load_b64 v[3:4], v3
	ds_load_b64 v[5:6], v2 offset:2048
	s_waitcnt lgkmcnt(1)
	v_lshlrev_b64 v[3:4], 3, v[3:4]
	s_delay_alu instid0(VALU_DEP_1) | instskip(NEXT) | instid1(VALU_DEP_2)
	v_add_co_u32 v3, vcc_lo, s22, v3
	v_add_co_ci_u32_e32 v4, vcc_lo, s23, v4, vcc_lo
	s_delay_alu instid0(VALU_DEP_2) | instskip(NEXT) | instid1(VALU_DEP_2)
	v_add_co_u32 v3, vcc_lo, v3, v2
	v_add_co_ci_u32_e32 v4, vcc_lo, 0, v4, vcc_lo
	s_waitcnt lgkmcnt(0)
	global_store_b64 v[3:4], v[5:6], off
	s_or_b32 exec_lo, exec_lo, s2
	s_and_saveexec_b32 s2, s7
	s_cbranch_execz .LBB63_60
.LBB63_107:
	v_lshlrev_b32_e32 v3, 3, v11
	v_lshlrev_b32_e32 v7, 3, v13
	ds_load_b64 v[3:4], v3
	ds_load_b64 v[5:6], v2 offset:10240
	s_waitcnt lgkmcnt(1)
	v_lshlrev_b64 v[3:4], 3, v[3:4]
	s_delay_alu instid0(VALU_DEP_1) | instskip(NEXT) | instid1(VALU_DEP_2)
	v_add_co_u32 v3, vcc_lo, s22, v3
	v_add_co_ci_u32_e32 v4, vcc_lo, s23, v4, vcc_lo
	s_delay_alu instid0(VALU_DEP_2) | instskip(NEXT) | instid1(VALU_DEP_2)
	v_add_co_u32 v3, vcc_lo, v3, v7
	v_add_co_ci_u32_e32 v4, vcc_lo, 0, v4, vcc_lo
	s_waitcnt lgkmcnt(0)
	global_store_b64 v[3:4], v[5:6], off
	s_or_b32 exec_lo, exec_lo, s2
	s_and_saveexec_b32 s2, s8
	s_cbranch_execz .LBB63_61
.LBB63_108:
	v_lshlrev_b32_e32 v3, 3, v23
	v_lshlrev_b32_e32 v7, 3, v15
	ds_load_b64 v[3:4], v3
	ds_load_b64 v[5:6], v2 offset:18432
	s_waitcnt lgkmcnt(1)
	v_lshlrev_b64 v[3:4], 3, v[3:4]
	s_delay_alu instid0(VALU_DEP_1) | instskip(NEXT) | instid1(VALU_DEP_2)
	v_add_co_u32 v3, vcc_lo, s22, v3
	v_add_co_ci_u32_e32 v4, vcc_lo, s23, v4, vcc_lo
	s_delay_alu instid0(VALU_DEP_2) | instskip(NEXT) | instid1(VALU_DEP_2)
	v_add_co_u32 v3, vcc_lo, v3, v7
	v_add_co_ci_u32_e32 v4, vcc_lo, 0, v4, vcc_lo
	s_waitcnt lgkmcnt(0)
	global_store_b64 v[3:4], v[5:6], off
	s_or_b32 exec_lo, exec_lo, s2
	s_and_saveexec_b32 s2, s9
	s_cbranch_execnz .LBB63_62
	s_branch .LBB63_63
	.section	.rodata,"a",@progbits
	.p2align	6, 0x0
	.amdhsa_kernel _ZN7rocprim17ROCPRIM_304000_NS6detail25onesweep_iteration_kernelINS1_34wrapped_radix_sort_onesweep_configINS0_14default_configEsN2at4cuda3cub6detail10OpaqueTypeILi8EEEEELb1EPsSC_PSA_SD_mNS0_19identity_decomposerEEEvT1_T2_T3_T4_jPT5_SK_PNS1_23onesweep_lookback_stateET6_jjj
		.amdhsa_group_segment_fixed_size 36992
		.amdhsa_private_segment_fixed_size 0
		.amdhsa_kernarg_size 336
		.amdhsa_user_sgpr_count 15
		.amdhsa_user_sgpr_dispatch_ptr 0
		.amdhsa_user_sgpr_queue_ptr 0
		.amdhsa_user_sgpr_kernarg_segment_ptr 1
		.amdhsa_user_sgpr_dispatch_id 0
		.amdhsa_user_sgpr_private_segment_size 0
		.amdhsa_wavefront_size32 1
		.amdhsa_uses_dynamic_stack 0
		.amdhsa_enable_private_segment 0
		.amdhsa_system_sgpr_workgroup_id_x 1
		.amdhsa_system_sgpr_workgroup_id_y 0
		.amdhsa_system_sgpr_workgroup_id_z 0
		.amdhsa_system_sgpr_workgroup_info 0
		.amdhsa_system_vgpr_workitem_id 2
		.amdhsa_next_free_vgpr 44
		.amdhsa_next_free_sgpr 36
		.amdhsa_reserve_vcc 1
		.amdhsa_float_round_mode_32 0
		.amdhsa_float_round_mode_16_64 0
		.amdhsa_float_denorm_mode_32 3
		.amdhsa_float_denorm_mode_16_64 3
		.amdhsa_dx10_clamp 1
		.amdhsa_ieee_mode 1
		.amdhsa_fp16_overflow 0
		.amdhsa_workgroup_processor_mode 1
		.amdhsa_memory_ordered 1
		.amdhsa_forward_progress 0
		.amdhsa_shared_vgpr_count 0
		.amdhsa_exception_fp_ieee_invalid_op 0
		.amdhsa_exception_fp_denorm_src 0
		.amdhsa_exception_fp_ieee_div_zero 0
		.amdhsa_exception_fp_ieee_overflow 0
		.amdhsa_exception_fp_ieee_underflow 0
		.amdhsa_exception_fp_ieee_inexact 0
		.amdhsa_exception_int_div_zero 0
	.end_amdhsa_kernel
	.section	.text._ZN7rocprim17ROCPRIM_304000_NS6detail25onesweep_iteration_kernelINS1_34wrapped_radix_sort_onesweep_configINS0_14default_configEsN2at4cuda3cub6detail10OpaqueTypeILi8EEEEELb1EPsSC_PSA_SD_mNS0_19identity_decomposerEEEvT1_T2_T3_T4_jPT5_SK_PNS1_23onesweep_lookback_stateET6_jjj,"axG",@progbits,_ZN7rocprim17ROCPRIM_304000_NS6detail25onesweep_iteration_kernelINS1_34wrapped_radix_sort_onesweep_configINS0_14default_configEsN2at4cuda3cub6detail10OpaqueTypeILi8EEEEELb1EPsSC_PSA_SD_mNS0_19identity_decomposerEEEvT1_T2_T3_T4_jPT5_SK_PNS1_23onesweep_lookback_stateET6_jjj,comdat
.Lfunc_end63:
	.size	_ZN7rocprim17ROCPRIM_304000_NS6detail25onesweep_iteration_kernelINS1_34wrapped_radix_sort_onesweep_configINS0_14default_configEsN2at4cuda3cub6detail10OpaqueTypeILi8EEEEELb1EPsSC_PSA_SD_mNS0_19identity_decomposerEEEvT1_T2_T3_T4_jPT5_SK_PNS1_23onesweep_lookback_stateET6_jjj, .Lfunc_end63-_ZN7rocprim17ROCPRIM_304000_NS6detail25onesweep_iteration_kernelINS1_34wrapped_radix_sort_onesweep_configINS0_14default_configEsN2at4cuda3cub6detail10OpaqueTypeILi8EEEEELb1EPsSC_PSA_SD_mNS0_19identity_decomposerEEEvT1_T2_T3_T4_jPT5_SK_PNS1_23onesweep_lookback_stateET6_jjj
                                        ; -- End function
	.section	.AMDGPU.csdata,"",@progbits
; Kernel info:
; codeLenInByte = 9148
; NumSgprs: 38
; NumVgprs: 44
; ScratchSize: 0
; MemoryBound: 0
; FloatMode: 240
; IeeeMode: 1
; LDSByteSize: 36992 bytes/workgroup (compile time only)
; SGPRBlocks: 4
; VGPRBlocks: 5
; NumSGPRsForWavesPerEU: 38
; NumVGPRsForWavesPerEU: 44
; Occupancy: 16
; WaveLimiterHint : 1
; COMPUTE_PGM_RSRC2:SCRATCH_EN: 0
; COMPUTE_PGM_RSRC2:USER_SGPR: 15
; COMPUTE_PGM_RSRC2:TRAP_HANDLER: 0
; COMPUTE_PGM_RSRC2:TGID_X_EN: 1
; COMPUTE_PGM_RSRC2:TGID_Y_EN: 0
; COMPUTE_PGM_RSRC2:TGID_Z_EN: 0
; COMPUTE_PGM_RSRC2:TIDIG_COMP_CNT: 2
	.section	.text._ZN7rocprim17ROCPRIM_304000_NS6detail28radix_sort_block_sort_kernelINS1_36wrapped_radix_sort_block_sort_configINS0_13kernel_configILj256ELj4ELj4294967295EEEsN2at4cuda3cub6detail10OpaqueTypeILi8EEEEELb0EPKsPsPKSB_PSB_NS0_19identity_decomposerEEEvT1_T2_T3_T4_jT5_jj,"axG",@progbits,_ZN7rocprim17ROCPRIM_304000_NS6detail28radix_sort_block_sort_kernelINS1_36wrapped_radix_sort_block_sort_configINS0_13kernel_configILj256ELj4ELj4294967295EEEsN2at4cuda3cub6detail10OpaqueTypeILi8EEEEELb0EPKsPsPKSB_PSB_NS0_19identity_decomposerEEEvT1_T2_T3_T4_jT5_jj,comdat
	.protected	_ZN7rocprim17ROCPRIM_304000_NS6detail28radix_sort_block_sort_kernelINS1_36wrapped_radix_sort_block_sort_configINS0_13kernel_configILj256ELj4ELj4294967295EEEsN2at4cuda3cub6detail10OpaqueTypeILi8EEEEELb0EPKsPsPKSB_PSB_NS0_19identity_decomposerEEEvT1_T2_T3_T4_jT5_jj ; -- Begin function _ZN7rocprim17ROCPRIM_304000_NS6detail28radix_sort_block_sort_kernelINS1_36wrapped_radix_sort_block_sort_configINS0_13kernel_configILj256ELj4ELj4294967295EEEsN2at4cuda3cub6detail10OpaqueTypeILi8EEEEELb0EPKsPsPKSB_PSB_NS0_19identity_decomposerEEEvT1_T2_T3_T4_jT5_jj
	.globl	_ZN7rocprim17ROCPRIM_304000_NS6detail28radix_sort_block_sort_kernelINS1_36wrapped_radix_sort_block_sort_configINS0_13kernel_configILj256ELj4ELj4294967295EEEsN2at4cuda3cub6detail10OpaqueTypeILi8EEEEELb0EPKsPsPKSB_PSB_NS0_19identity_decomposerEEEvT1_T2_T3_T4_jT5_jj
	.p2align	8
	.type	_ZN7rocprim17ROCPRIM_304000_NS6detail28radix_sort_block_sort_kernelINS1_36wrapped_radix_sort_block_sort_configINS0_13kernel_configILj256ELj4ELj4294967295EEEsN2at4cuda3cub6detail10OpaqueTypeILi8EEEEELb0EPKsPsPKSB_PSB_NS0_19identity_decomposerEEEvT1_T2_T3_T4_jT5_jj,@function
_ZN7rocprim17ROCPRIM_304000_NS6detail28radix_sort_block_sort_kernelINS1_36wrapped_radix_sort_block_sort_configINS0_13kernel_configILj256ELj4ELj4294967295EEEsN2at4cuda3cub6detail10OpaqueTypeILi8EEEEELb0EPKsPsPKSB_PSB_NS0_19identity_decomposerEEEvT1_T2_T3_T4_jT5_jj: ; @_ZN7rocprim17ROCPRIM_304000_NS6detail28radix_sort_block_sort_kernelINS1_36wrapped_radix_sort_block_sort_configINS0_13kernel_configILj256ELj4ELj4294967295EEEsN2at4cuda3cub6detail10OpaqueTypeILi8EEEEELb0EPKsPsPKSB_PSB_NS0_19identity_decomposerEEEvT1_T2_T3_T4_jT5_jj
; %bb.0:
	s_clause 0x1
	s_load_b32 s2, s[0:1], 0x20
	s_load_b256 s[16:23], s[0:1], 0x0
	v_and_b32_e32 v8, 0x3ff, v0
	v_mbcnt_lo_u32_b32 v7, -1, 0
	s_lshl_b32 s24, s15, 10
	s_mov_b32 s25, 0
	s_delay_alu instid0(VALU_DEP_2) | instskip(NEXT) | instid1(VALU_DEP_2)
	v_lshlrev_b32_e32 v1, 2, v8
	v_lshlrev_b32_e32 v2, 1, v7
	;; [unrolled: 1-line block ×3, first 2 shown]
	s_delay_alu instid0(VALU_DEP_3) | instskip(NEXT) | instid1(VALU_DEP_1)
	v_and_b32_e32 v13, 0x380, v1
	v_lshlrev_b32_e32 v1, 1, v13
	v_lshlrev_b32_e32 v18, 3, v13
	v_add_nc_u32_e32 v15, v7, v13
	s_waitcnt lgkmcnt(0)
	s_lshr_b32 s3, s2, 10
	s_delay_alu instid0(SALU_CYCLE_1) | instskip(SKIP_2) | instid1(SALU_CYCLE_1)
	s_cmp_lg_u32 s15, s3
	s_cselect_b32 s28, -1, 0
	s_lshl_b64 s[26:27], s[24:25], 1
	s_add_u32 s4, s16, s26
	s_addc_u32 s5, s17, s27
	v_add_co_u32 v2, s4, s4, v2
	s_delay_alu instid0(VALU_DEP_1) | instskip(SKIP_1) | instid1(VALU_DEP_2)
	v_add_co_ci_u32_e64 v3, null, s5, 0, s4
	s_cmp_eq_u32 s15, s3
	v_add_co_u32 v11, vcc_lo, v2, v1
	s_delay_alu instid0(VALU_DEP_2)
	v_add_co_ci_u32_e32 v12, vcc_lo, 0, v3, vcc_lo
	s_mov_b32 s3, -1
	s_cbranch_scc1 .LBB64_2
; %bb.1:
	s_clause 0x1
	global_load_u16 v9, v[11:12], off
	global_load_u16 v10, v[11:12], off offset:128
	s_lshl_b64 s[4:5], s[24:25], 3
	s_delay_alu instid0(SALU_CYCLE_1) | instskip(SKIP_2) | instid1(VALU_DEP_1)
	s_add_u32 s3, s20, s4
	s_addc_u32 s4, s21, s5
	v_add_co_u32 v1, s3, s3, v17
	v_add_co_ci_u32_e64 v2, null, s4, 0, s3
	s_mov_b32 s3, s25
	s_delay_alu instid0(VALU_DEP_2) | instskip(NEXT) | instid1(VALU_DEP_2)
	v_add_co_u32 v19, vcc_lo, v1, v18
	v_add_co_ci_u32_e32 v20, vcc_lo, 0, v2, vcc_lo
	s_clause 0x1
	global_load_d16_hi_b16 v9, v[11:12], off offset:64
	global_load_d16_hi_b16 v10, v[11:12], off offset:192
	s_clause 0x3
	global_load_b64 v[1:2], v[19:20], off
	global_load_b64 v[3:4], v[19:20], off offset:256
	global_load_b64 v[5:6], v[19:20], off offset:512
	;; [unrolled: 1-line block ×3, first 2 shown]
	v_add_nc_u32_e32 v19, v7, v13
	s_delay_alu instid0(VALU_DEP_1)
	v_add_nc_u32_e32 v13, 32, v19
	v_add_nc_u32_e32 v14, 64, v19
	;; [unrolled: 1-line block ×3, first 2 shown]
	s_and_not1_b32 vcc_lo, exec_lo, s3
	s_sub_i32 s16, s2, s24
	s_cbranch_vccz .LBB64_3
	s_branch .LBB64_17
.LBB64_2:
                                        ; implicit-def: $vgpr9_vgpr10
                                        ; implicit-def: $vgpr1_vgpr2
                                        ; implicit-def: $vgpr3_vgpr4
                                        ; implicit-def: $vgpr5_vgpr6
                                        ; implicit-def: $vgpr21_vgpr22
                                        ; implicit-def: $vgpr19
                                        ; implicit-def: $vgpr13
                                        ; implicit-def: $vgpr14
                                        ; implicit-def: $vgpr16
	s_and_not1_b32 vcc_lo, exec_lo, s3
	s_sub_i32 s16, s2, s24
	s_cbranch_vccnz .LBB64_17
.LBB64_3:
	s_mov_b32 s2, 0x7fff7fff
	v_cmp_gt_u32_e32 vcc_lo, s16, v15
	s_mov_b32 s3, s2
	s_waitcnt vmcnt(4)
	v_dual_mov_b32 v10, s3 :: v_dual_mov_b32 v9, s2
	s_and_saveexec_b32 s2, vcc_lo
	s_cbranch_execz .LBB64_5
; %bb.4:
	v_mov_b32_e32 v9, 0x7fff0000
	v_mov_b32_e32 v10, 0x7fff7fff
	global_load_d16_b16 v9, v[11:12], off
.LBB64_5:
	s_or_b32 exec_lo, exec_lo, s2
	v_add_nc_u32_e32 v13, 32, v15
	s_delay_alu instid0(VALU_DEP_1) | instskip(NEXT) | instid1(VALU_DEP_1)
	v_cmp_gt_u32_e64 s2, s16, v13
	s_and_saveexec_b32 s3, s2
	s_cbranch_execz .LBB64_7
; %bb.6:
	global_load_d16_hi_b16 v9, v[11:12], off offset:64
.LBB64_7:
	s_or_b32 exec_lo, exec_lo, s3
	v_add_nc_u32_e32 v14, 64, v15
	s_delay_alu instid0(VALU_DEP_1) | instskip(NEXT) | instid1(VALU_DEP_1)
	v_cmp_gt_u32_e64 s3, s16, v14
	s_and_saveexec_b32 s4, s3
	s_cbranch_execz .LBB64_9
; %bb.8:
	global_load_d16_b16 v10, v[11:12], off offset:128
.LBB64_9:
	s_or_b32 exec_lo, exec_lo, s4
	v_add_nc_u32_e32 v16, 0x60, v15
	s_delay_alu instid0(VALU_DEP_1) | instskip(NEXT) | instid1(VALU_DEP_1)
	v_cmp_gt_u32_e64 s4, s16, v16
	s_and_saveexec_b32 s5, s4
	s_cbranch_execz .LBB64_11
; %bb.10:
	global_load_d16_hi_b16 v10, v[11:12], off offset:192
.LBB64_11:
	s_or_b32 exec_lo, exec_lo, s5
	s_lshl_b64 s[6:7], s[24:25], 3
	s_delay_alu instid0(SALU_CYCLE_1) | instskip(SKIP_3) | instid1(VALU_DEP_1)
	s_add_u32 s5, s20, s6
	s_addc_u32 s6, s21, s7
	s_waitcnt vmcnt(3)
	v_add_co_u32 v1, s5, s5, v17
	v_add_co_ci_u32_e64 v2, null, s6, 0, s5
	s_delay_alu instid0(VALU_DEP_2) | instskip(NEXT) | instid1(VALU_DEP_1)
	v_add_co_u32 v11, s5, v1, v18
	v_add_co_ci_u32_e64 v12, s5, 0, v2, s5
                                        ; implicit-def: $vgpr1_vgpr2
	s_and_saveexec_b32 s5, vcc_lo
	s_cbranch_execnz .LBB64_54
; %bb.12:
	s_or_b32 exec_lo, exec_lo, s5
                                        ; implicit-def: $vgpr3_vgpr4
	s_and_saveexec_b32 s5, s2
	s_cbranch_execnz .LBB64_55
.LBB64_13:
	s_or_b32 exec_lo, exec_lo, s5
                                        ; implicit-def: $vgpr5_vgpr6
	s_and_saveexec_b32 s2, s3
	s_cbranch_execnz .LBB64_56
.LBB64_14:
	s_or_b32 exec_lo, exec_lo, s2
                                        ; implicit-def: $vgpr21_vgpr22
	s_and_saveexec_b32 s2, s4
	s_cbranch_execz .LBB64_16
.LBB64_15:
	global_load_b64 v[21:22], v[11:12], off offset:768
.LBB64_16:
	s_or_b32 exec_lo, exec_lo, s2
	v_mov_b32_e32 v19, v15
.LBB64_17:
	s_clause 0x1
	s_load_b32 s7, s[0:1], 0x3c
	s_load_b64 s[14:15], s[0:1], 0x28
	s_waitcnt vmcnt(0)
	v_xor_b32_e32 v43, 0x80008000, v10
	v_bfe_u32 v10, v0, 10, 10
	v_bfe_u32 v0, v0, 20, 10
	s_mov_b32 s20, 0
	v_add_nc_u32_e32 v17, -1, v7
	s_mov_b32 s30, s20
	s_mov_b32 s31, s20
	v_and_b32_e32 v11, 0x3e0, v8
	v_cmp_eq_u32_e64 s2, 0, v7
	v_cmp_gt_i32_e32 vcc_lo, 0, v17
	v_lshlrev_b32_e32 v25, 5, v8
	v_and_b32_e32 v20, 7, v7
	v_min_u32_e32 v23, 0xe0, v11
	s_mov_b32 s21, s20
	v_and_b32_e32 v12, 15, v7
	v_and_b32_e32 v15, 16, v7
	v_lshrrev_b32_e32 v18, 3, v8
	v_xor_b32_e32 v39, 0x80008000, v9
	s_waitcnt lgkmcnt(0)
	s_lshr_b32 s6, s7, 16
	s_and_b32 s7, s7, 0xffff
	v_mad_u32_u24 v0, v0, s6, v10
	v_lshlrev_b32_e32 v32, 1, v13
	v_lshlrev_b32_e32 v33, 1, v14
	v_mul_lo_u32 v13, v13, 6
	v_mul_lo_u32 v14, v14, 6
	v_mad_u64_u32 v[10:11], null, v0, s7, v[8:9]
	v_cndmask_b32_e32 v0, v17, v7, vcc_lo
	v_or_b32_e32 v7, 31, v23
	v_and_b32_e32 v27, 0x7c, v18
	v_lshlrev_b32_e32 v31, 1, v19
	v_lshlrev_b32_e32 v34, 1, v16
	;; [unrolled: 1-line block ×3, first 2 shown]
	v_lshrrev_b32_e32 v29, 5, v10
	v_dual_mov_b32 v9, s20 :: v_dual_mov_b32 v10, s21
	v_cmp_eq_u32_e64 s8, 0, v15
	v_cmp_eq_u32_e64 s9, v7, v8
	v_mul_lo_u32 v7, v19, 6
	v_mul_lo_u32 v15, v16, 6
	v_mul_i32_i24_e32 v0, 0xffffffe4, v8
	v_cmp_eq_u32_e64 s4, 0, v12
	v_cmp_lt_u32_e64 s5, 1, v12
	v_cmp_lt_u32_e64 s6, 3, v12
	;; [unrolled: 1-line block ×3, first 2 shown]
	v_mov_b32_e32 v11, s30
	v_cmp_gt_u32_e64 s0, 8, v8
	v_cmp_lt_u32_e64 s1, 31, v8
	v_cmp_eq_u32_e64 s3, 0, v8
	v_add_nc_u32_e32 v26, 32, v25
	v_cmp_eq_u32_e64 s10, 0, v20
	v_cmp_lt_u32_e64 s11, 1, v20
	v_cmp_lt_u32_e64 s12, 3, v20
	v_add_nc_u32_e32 v30, -4, v27
	v_dual_mov_b32 v12, s31 :: v_dual_add_nc_u32 v35, v25, v0
	v_add_nc_u32_e32 v36, v31, v7
	v_add_nc_u32_e32 v37, v32, v13
	;; [unrolled: 1-line block ×4, first 2 shown]
	s_add_i32 s17, s15, s14
	s_branch .LBB64_19
.LBB64_18:                              ;   in Loop: Header=BB64_19 Depth=1
	s_barrier
	buffer_gl0_inv
	ds_store_b16 v24, v39
	ds_store_b16 v23, v42
	;; [unrolled: 1-line block ×4, first 2 shown]
	s_waitcnt lgkmcnt(0)
	s_barrier
	buffer_gl0_inv
	ds_load_u16 v39, v31
	ds_load_u16 v43, v33
	v_mad_u64_u32 v[1:2], null, v49, 6, v[24:25]
	v_mad_u64_u32 v[2:3], null, v47, 6, v[23:24]
	;; [unrolled: 1-line block ×3, first 2 shown]
	s_add_i32 s15, s15, -8
	s_delay_alu instid0(VALU_DEP_3)
	v_mad_u64_u32 v[4:5], null, v45, 6, v[0:1]
	s_waitcnt lgkmcnt(1)
	ds_load_u16_d16_hi v39, v32
	s_waitcnt lgkmcnt(1)
	ds_load_u16_d16_hi v43, v34
	s_waitcnt lgkmcnt(0)
	s_barrier
	buffer_gl0_inv
	ds_store_b64 v1, v[19:20]
	ds_store_b64 v2, v[17:18]
	;; [unrolled: 1-line block ×4, first 2 shown]
	s_waitcnt lgkmcnt(0)
	s_barrier
	buffer_gl0_inv
	ds_load_b64 v[1:2], v36
	ds_load_b64 v[3:4], v37
	;; [unrolled: 1-line block ×4, first 2 shown]
	s_waitcnt lgkmcnt(0)
	s_barrier
	buffer_gl0_inv
	s_cbranch_execz .LBB64_35
.LBB64_19:                              ; =>This Inner Loop Header: Depth=1
	v_dual_mov_b32 v41, v43 :: v_dual_and_b32 v0, 0xffff, v39
	s_min_u32 s13, s15, 8
	ds_store_2addr_b64 v25, v[9:10], v[11:12] offset0:4 offset1:5
	ds_store_2addr_b64 v26, v[9:10], v[11:12] offset0:2 offset1:3
	s_lshl_b32 s13, -1, s13
	v_lshrrev_b32_e32 v0, s14, v0
	s_not_b32 s20, s13
	s_waitcnt lgkmcnt(0)
	s_barrier
	buffer_gl0_inv
	v_and_b32_e32 v7, s20, v0
	; wave barrier
	s_delay_alu instid0(VALU_DEP_1)
	v_and_b32_e32 v0, 1, v7
	v_lshlrev_b32_e32 v13, 30, v7
	v_lshlrev_b32_e32 v14, 29, v7
	;; [unrolled: 1-line block ×4, first 2 shown]
	v_add_co_u32 v0, s13, v0, -1
	s_delay_alu instid0(VALU_DEP_1)
	v_cndmask_b32_e64 v16, 0, 1, s13
	v_not_b32_e32 v20, v13
	v_cmp_gt_i32_e64 s13, 0, v13
	v_not_b32_e32 v13, v14
	v_lshlrev_b32_e32 v19, 25, v7
	v_cmp_ne_u32_e32 vcc_lo, 0, v16
	v_ashrrev_i32_e32 v20, 31, v20
	s_delay_alu instid0(VALU_DEP_4)
	v_ashrrev_i32_e32 v13, 31, v13
	v_xor_b32_e32 v0, vcc_lo, v0
	v_cmp_gt_i32_e32 vcc_lo, 0, v14
	v_not_b32_e32 v14, v15
	v_xor_b32_e32 v20, s13, v20
	v_cmp_gt_i32_e64 s13, 0, v15
	v_and_b32_e32 v0, exec_lo, v0
	v_not_b32_e32 v15, v17
	v_xor_b32_e32 v13, vcc_lo, v13
	v_cmp_gt_i32_e32 vcc_lo, 0, v17
	v_ashrrev_i32_e32 v14, 31, v14
	v_and_b32_e32 v0, v0, v20
	v_ashrrev_i32_e32 v15, 31, v15
	s_delay_alu instid0(VALU_DEP_3) | instskip(NEXT) | instid1(VALU_DEP_3)
	v_xor_b32_e32 v14, s13, v14
	v_and_b32_e32 v0, v0, v13
	v_not_b32_e32 v13, v19
	s_delay_alu instid0(VALU_DEP_4)
	v_xor_b32_e32 v15, vcc_lo, v15
	v_cmp_gt_i32_e32 vcc_lo, 0, v19
	v_mov_b32_e32 v20, v2
	v_lshlrev_b32_e32 v18, 26, v7
	v_lshlrev_b32_e32 v16, 24, v7
	v_and_b32_e32 v0, v0, v14
	v_ashrrev_i32_e32 v13, 31, v13
	v_mov_b32_e32 v19, v1
	v_not_b32_e32 v17, v18
	v_cmp_gt_i32_e64 s13, 0, v18
	v_not_b32_e32 v14, v16
	v_and_b32_e32 v0, v0, v15
	v_xor_b32_e32 v13, vcc_lo, v13
	v_ashrrev_i32_e32 v17, 31, v17
	v_lshl_add_u32 v1, v7, 3, v29
	v_ashrrev_i32_e32 v14, 31, v14
	s_delay_alu instid0(VALU_DEP_3) | instskip(SKIP_2) | instid1(VALU_DEP_3)
	v_xor_b32_e32 v17, s13, v17
	v_cmp_gt_i32_e64 s13, 0, v16
	v_dual_mov_b32 v16, v6 :: v_dual_mov_b32 v15, v5
	v_and_b32_e32 v0, v0, v17
	s_delay_alu instid0(VALU_DEP_3) | instskip(SKIP_1) | instid1(VALU_DEP_3)
	v_xor_b32_e32 v14, s13, v14
	v_dual_mov_b32 v18, v4 :: v_dual_mov_b32 v17, v3
	v_and_b32_e32 v0, v0, v13
	s_delay_alu instid0(VALU_DEP_1) | instskip(SKIP_2) | instid1(VALU_DEP_3)
	v_dual_mov_b32 v13, v21 :: v_dual_and_b32 v0, v0, v14
	v_mov_b32_e32 v14, v22
	v_lshl_add_u32 v22, v1, 2, 32
	v_mbcnt_lo_u32_b32 v21, v0, 0
	v_cmp_ne_u32_e64 s13, 0, v0
	s_delay_alu instid0(VALU_DEP_2) | instskip(NEXT) | instid1(VALU_DEP_2)
	v_cmp_eq_u32_e32 vcc_lo, 0, v21
	s_and_b32 s21, s13, vcc_lo
	s_delay_alu instid0(SALU_CYCLE_1)
	s_and_saveexec_b32 s13, s21
	s_cbranch_execz .LBB64_21
; %bb.20:                               ;   in Loop: Header=BB64_19 Depth=1
	v_bcnt_u32_b32 v0, v0, 0
	ds_store_b32 v22, v0
.LBB64_21:                              ;   in Loop: Header=BB64_19 Depth=1
	s_or_b32 exec_lo, exec_lo, s13
	v_lshrrev_b32_e32 v42, 16, v39
	; wave barrier
	s_delay_alu instid0(VALU_DEP_1) | instskip(NEXT) | instid1(VALU_DEP_1)
	v_lshrrev_b32_e32 v0, s14, v42
	v_and_b32_e32 v0, s20, v0
	s_delay_alu instid0(VALU_DEP_1)
	v_and_b32_e32 v1, 1, v0
	v_lshlrev_b32_e32 v2, 30, v0
	v_lshlrev_b32_e32 v3, 29, v0
	;; [unrolled: 1-line block ×4, first 2 shown]
	v_add_co_u32 v1, s13, v1, -1
	s_delay_alu instid0(VALU_DEP_1)
	v_cndmask_b32_e64 v5, 0, 1, s13
	v_not_b32_e32 v24, v2
	v_cmp_gt_i32_e64 s13, 0, v2
	v_not_b32_e32 v2, v3
	v_lshlrev_b32_e32 v7, 26, v0
	v_cmp_ne_u32_e32 vcc_lo, 0, v5
	v_ashrrev_i32_e32 v24, 31, v24
	v_lshlrev_b32_e32 v23, 25, v0
	v_ashrrev_i32_e32 v2, 31, v2
	v_lshlrev_b32_e32 v5, 24, v0
	v_xor_b32_e32 v1, vcc_lo, v1
	v_cmp_gt_i32_e32 vcc_lo, 0, v3
	v_not_b32_e32 v3, v4
	v_xor_b32_e32 v24, s13, v24
	v_cmp_gt_i32_e64 s13, 0, v4
	v_and_b32_e32 v1, exec_lo, v1
	v_not_b32_e32 v4, v6
	v_ashrrev_i32_e32 v3, 31, v3
	v_xor_b32_e32 v2, vcc_lo, v2
	v_cmp_gt_i32_e32 vcc_lo, 0, v6
	v_and_b32_e32 v1, v1, v24
	v_not_b32_e32 v6, v7
	v_ashrrev_i32_e32 v4, 31, v4
	v_xor_b32_e32 v3, s13, v3
	v_cmp_gt_i32_e64 s13, 0, v7
	v_and_b32_e32 v1, v1, v2
	v_not_b32_e32 v2, v23
	v_ashrrev_i32_e32 v6, 31, v6
	v_xor_b32_e32 v4, vcc_lo, v4
	v_cmp_gt_i32_e32 vcc_lo, 0, v23
	v_and_b32_e32 v1, v1, v3
	v_not_b32_e32 v3, v5
	v_ashrrev_i32_e32 v2, 31, v2
	v_xor_b32_e32 v6, s13, v6
	v_lshlrev_b32_e32 v0, 3, v0
	v_and_b32_e32 v1, v1, v4
	v_cmp_gt_i32_e64 s13, 0, v5
	v_ashrrev_i32_e32 v3, 31, v3
	v_xor_b32_e32 v2, vcc_lo, v2
	v_add_lshl_u32 v4, v0, v29, 2
	v_and_b32_e32 v1, v1, v6
	s_delay_alu instid0(VALU_DEP_4) | instskip(SKIP_3) | instid1(VALU_DEP_2)
	v_xor_b32_e32 v0, s13, v3
	ds_load_b32 v23, v4 offset:32
	v_and_b32_e32 v1, v1, v2
	v_add_nc_u32_e32 v43, 32, v4
	; wave barrier
	v_and_b32_e32 v0, v1, v0
	s_delay_alu instid0(VALU_DEP_1) | instskip(SKIP_1) | instid1(VALU_DEP_2)
	v_mbcnt_lo_u32_b32 v24, v0, 0
	v_cmp_ne_u32_e64 s13, 0, v0
	v_cmp_eq_u32_e32 vcc_lo, 0, v24
	s_delay_alu instid0(VALU_DEP_2) | instskip(NEXT) | instid1(SALU_CYCLE_1)
	s_and_b32 s21, s13, vcc_lo
	s_and_saveexec_b32 s13, s21
	s_cbranch_execz .LBB64_23
; %bb.22:                               ;   in Loop: Header=BB64_19 Depth=1
	s_waitcnt lgkmcnt(0)
	v_bcnt_u32_b32 v0, v0, v23
	ds_store_b32 v43, v0
.LBB64_23:                              ;   in Loop: Header=BB64_19 Depth=1
	s_or_b32 exec_lo, exec_lo, s13
	v_and_b32_e32 v0, 0xffff, v41
	; wave barrier
	s_delay_alu instid0(VALU_DEP_1) | instskip(NEXT) | instid1(VALU_DEP_1)
	v_lshrrev_b32_e32 v0, s14, v0
	v_and_b32_e32 v0, s20, v0
	s_delay_alu instid0(VALU_DEP_1)
	v_and_b32_e32 v1, 1, v0
	v_lshlrev_b32_e32 v2, 30, v0
	v_lshlrev_b32_e32 v3, 29, v0
	;; [unrolled: 1-line block ×4, first 2 shown]
	v_add_co_u32 v1, s13, v1, -1
	s_delay_alu instid0(VALU_DEP_1)
	v_cndmask_b32_e64 v5, 0, 1, s13
	v_not_b32_e32 v45, v2
	v_cmp_gt_i32_e64 s13, 0, v2
	v_not_b32_e32 v2, v3
	v_lshlrev_b32_e32 v7, 26, v0
	v_cmp_ne_u32_e32 vcc_lo, 0, v5
	v_ashrrev_i32_e32 v45, 31, v45
	v_lshlrev_b32_e32 v44, 25, v0
	v_ashrrev_i32_e32 v2, 31, v2
	v_lshlrev_b32_e32 v5, 24, v0
	v_xor_b32_e32 v1, vcc_lo, v1
	v_cmp_gt_i32_e32 vcc_lo, 0, v3
	v_not_b32_e32 v3, v4
	v_xor_b32_e32 v45, s13, v45
	v_cmp_gt_i32_e64 s13, 0, v4
	v_and_b32_e32 v1, exec_lo, v1
	v_not_b32_e32 v4, v6
	v_ashrrev_i32_e32 v3, 31, v3
	v_xor_b32_e32 v2, vcc_lo, v2
	v_cmp_gt_i32_e32 vcc_lo, 0, v6
	v_and_b32_e32 v1, v1, v45
	v_not_b32_e32 v6, v7
	v_ashrrev_i32_e32 v4, 31, v4
	v_xor_b32_e32 v3, s13, v3
	v_cmp_gt_i32_e64 s13, 0, v7
	v_and_b32_e32 v1, v1, v2
	v_not_b32_e32 v2, v44
	v_ashrrev_i32_e32 v6, 31, v6
	v_xor_b32_e32 v4, vcc_lo, v4
	v_cmp_gt_i32_e32 vcc_lo, 0, v44
	v_and_b32_e32 v1, v1, v3
	v_not_b32_e32 v3, v5
	v_ashrrev_i32_e32 v2, 31, v2
	v_xor_b32_e32 v6, s13, v6
	v_lshlrev_b32_e32 v0, 3, v0
	v_and_b32_e32 v1, v1, v4
	v_cmp_gt_i32_e64 s13, 0, v5
	v_ashrrev_i32_e32 v3, 31, v3
	v_xor_b32_e32 v2, vcc_lo, v2
	v_add_lshl_u32 v4, v0, v29, 2
	v_and_b32_e32 v1, v1, v6
	s_delay_alu instid0(VALU_DEP_4) | instskip(SKIP_3) | instid1(VALU_DEP_2)
	v_xor_b32_e32 v0, s13, v3
	ds_load_b32 v45, v4 offset:32
	v_and_b32_e32 v1, v1, v2
	v_add_nc_u32_e32 v47, 32, v4
	; wave barrier
	v_and_b32_e32 v0, v1, v0
	s_delay_alu instid0(VALU_DEP_1) | instskip(SKIP_1) | instid1(VALU_DEP_2)
	v_mbcnt_lo_u32_b32 v46, v0, 0
	v_cmp_ne_u32_e64 s13, 0, v0
	v_cmp_eq_u32_e32 vcc_lo, 0, v46
	s_delay_alu instid0(VALU_DEP_2) | instskip(NEXT) | instid1(SALU_CYCLE_1)
	s_and_b32 s21, s13, vcc_lo
	s_and_saveexec_b32 s13, s21
	s_cbranch_execz .LBB64_25
; %bb.24:                               ;   in Loop: Header=BB64_19 Depth=1
	s_waitcnt lgkmcnt(0)
	v_bcnt_u32_b32 v0, v0, v45
	ds_store_b32 v47, v0
.LBB64_25:                              ;   in Loop: Header=BB64_19 Depth=1
	s_or_b32 exec_lo, exec_lo, s13
	v_lshrrev_b32_e32 v44, 16, v41
	; wave barrier
	s_delay_alu instid0(VALU_DEP_1) | instskip(NEXT) | instid1(VALU_DEP_1)
	v_lshrrev_b32_e32 v0, s14, v44
	v_and_b32_e32 v0, s20, v0
	s_delay_alu instid0(VALU_DEP_1)
	v_and_b32_e32 v1, 1, v0
	v_lshlrev_b32_e32 v2, 30, v0
	v_lshlrev_b32_e32 v3, 29, v0
	;; [unrolled: 1-line block ×4, first 2 shown]
	v_add_co_u32 v1, s13, v1, -1
	s_delay_alu instid0(VALU_DEP_1)
	v_cndmask_b32_e64 v5, 0, 1, s13
	v_not_b32_e32 v49, v2
	v_cmp_gt_i32_e64 s13, 0, v2
	v_not_b32_e32 v2, v3
	v_lshlrev_b32_e32 v7, 26, v0
	v_cmp_ne_u32_e32 vcc_lo, 0, v5
	v_ashrrev_i32_e32 v49, 31, v49
	v_lshlrev_b32_e32 v48, 25, v0
	v_ashrrev_i32_e32 v2, 31, v2
	v_lshlrev_b32_e32 v5, 24, v0
	v_xor_b32_e32 v1, vcc_lo, v1
	v_cmp_gt_i32_e32 vcc_lo, 0, v3
	v_not_b32_e32 v3, v4
	v_xor_b32_e32 v49, s13, v49
	v_cmp_gt_i32_e64 s13, 0, v4
	v_and_b32_e32 v1, exec_lo, v1
	v_not_b32_e32 v4, v6
	v_ashrrev_i32_e32 v3, 31, v3
	v_xor_b32_e32 v2, vcc_lo, v2
	v_cmp_gt_i32_e32 vcc_lo, 0, v6
	v_and_b32_e32 v1, v1, v49
	v_not_b32_e32 v6, v7
	v_ashrrev_i32_e32 v4, 31, v4
	v_xor_b32_e32 v3, s13, v3
	v_cmp_gt_i32_e64 s13, 0, v7
	v_and_b32_e32 v1, v1, v2
	v_not_b32_e32 v2, v48
	v_ashrrev_i32_e32 v6, 31, v6
	v_xor_b32_e32 v4, vcc_lo, v4
	v_cmp_gt_i32_e32 vcc_lo, 0, v48
	v_and_b32_e32 v1, v1, v3
	v_not_b32_e32 v3, v5
	v_ashrrev_i32_e32 v2, 31, v2
	v_xor_b32_e32 v6, s13, v6
	v_lshlrev_b32_e32 v0, 3, v0
	v_and_b32_e32 v1, v1, v4
	v_cmp_gt_i32_e64 s13, 0, v5
	v_ashrrev_i32_e32 v3, 31, v3
	v_xor_b32_e32 v2, vcc_lo, v2
	v_add_lshl_u32 v4, v0, v29, 2
	v_and_b32_e32 v1, v1, v6
	s_delay_alu instid0(VALU_DEP_4) | instskip(SKIP_3) | instid1(VALU_DEP_2)
	v_xor_b32_e32 v0, s13, v3
	ds_load_b32 v48, v4 offset:32
	v_and_b32_e32 v1, v1, v2
	v_add_nc_u32_e32 v49, 32, v4
	; wave barrier
	v_and_b32_e32 v0, v1, v0
	s_delay_alu instid0(VALU_DEP_1) | instskip(SKIP_1) | instid1(VALU_DEP_2)
	v_mbcnt_lo_u32_b32 v50, v0, 0
	v_cmp_ne_u32_e64 s13, 0, v0
	v_cmp_eq_u32_e32 vcc_lo, 0, v50
	s_delay_alu instid0(VALU_DEP_2) | instskip(NEXT) | instid1(SALU_CYCLE_1)
	s_and_b32 s20, s13, vcc_lo
	s_and_saveexec_b32 s13, s20
	s_cbranch_execz .LBB64_27
; %bb.26:                               ;   in Loop: Header=BB64_19 Depth=1
	s_waitcnt lgkmcnt(0)
	v_bcnt_u32_b32 v0, v0, v48
	ds_store_b32 v49, v0
.LBB64_27:                              ;   in Loop: Header=BB64_19 Depth=1
	s_or_b32 exec_lo, exec_lo, s13
	; wave barrier
	s_waitcnt lgkmcnt(0)
	s_barrier
	buffer_gl0_inv
	ds_load_2addr_b64 v[4:7], v25 offset0:4 offset1:5
	ds_load_2addr_b64 v[0:3], v26 offset0:2 offset1:3
	s_waitcnt lgkmcnt(1)
	v_add_nc_u32_e32 v51, v5, v4
	s_delay_alu instid0(VALU_DEP_1) | instskip(SKIP_1) | instid1(VALU_DEP_1)
	v_add3_u32 v51, v51, v6, v7
	s_waitcnt lgkmcnt(0)
	v_add3_u32 v51, v51, v0, v1
	s_delay_alu instid0(VALU_DEP_1) | instskip(NEXT) | instid1(VALU_DEP_1)
	v_add3_u32 v3, v51, v2, v3
	v_mov_b32_dpp v51, v3 row_shr:1 row_mask:0xf bank_mask:0xf
	s_delay_alu instid0(VALU_DEP_1) | instskip(NEXT) | instid1(VALU_DEP_1)
	v_cndmask_b32_e64 v51, v51, 0, s4
	v_add_nc_u32_e32 v3, v51, v3
	s_delay_alu instid0(VALU_DEP_1) | instskip(NEXT) | instid1(VALU_DEP_1)
	v_mov_b32_dpp v51, v3 row_shr:2 row_mask:0xf bank_mask:0xf
	v_cndmask_b32_e64 v51, 0, v51, s5
	s_delay_alu instid0(VALU_DEP_1) | instskip(NEXT) | instid1(VALU_DEP_1)
	v_add_nc_u32_e32 v3, v3, v51
	v_mov_b32_dpp v51, v3 row_shr:4 row_mask:0xf bank_mask:0xf
	s_delay_alu instid0(VALU_DEP_1) | instskip(NEXT) | instid1(VALU_DEP_1)
	v_cndmask_b32_e64 v51, 0, v51, s6
	v_add_nc_u32_e32 v3, v3, v51
	s_delay_alu instid0(VALU_DEP_1) | instskip(NEXT) | instid1(VALU_DEP_1)
	v_mov_b32_dpp v51, v3 row_shr:8 row_mask:0xf bank_mask:0xf
	v_cndmask_b32_e64 v51, 0, v51, s7
	s_delay_alu instid0(VALU_DEP_1) | instskip(SKIP_3) | instid1(VALU_DEP_1)
	v_add_nc_u32_e32 v3, v3, v51
	ds_swizzle_b32 v51, v3 offset:swizzle(BROADCAST,32,15)
	s_waitcnt lgkmcnt(0)
	v_cndmask_b32_e64 v51, v51, 0, s8
	v_add_nc_u32_e32 v3, v3, v51
	s_and_saveexec_b32 s13, s9
	s_cbranch_execz .LBB64_29
; %bb.28:                               ;   in Loop: Header=BB64_19 Depth=1
	ds_store_b32 v27, v3
.LBB64_29:                              ;   in Loop: Header=BB64_19 Depth=1
	s_or_b32 exec_lo, exec_lo, s13
	s_waitcnt lgkmcnt(0)
	s_barrier
	buffer_gl0_inv
	s_and_saveexec_b32 s13, s0
	s_cbranch_execz .LBB64_31
; %bb.30:                               ;   in Loop: Header=BB64_19 Depth=1
	ds_load_b32 v51, v35
	s_waitcnt lgkmcnt(0)
	v_mov_b32_dpp v52, v51 row_shr:1 row_mask:0xf bank_mask:0xf
	s_delay_alu instid0(VALU_DEP_1) | instskip(NEXT) | instid1(VALU_DEP_1)
	v_cndmask_b32_e64 v52, v52, 0, s10
	v_add_nc_u32_e32 v51, v52, v51
	s_delay_alu instid0(VALU_DEP_1) | instskip(NEXT) | instid1(VALU_DEP_1)
	v_mov_b32_dpp v52, v51 row_shr:2 row_mask:0xf bank_mask:0xf
	v_cndmask_b32_e64 v52, 0, v52, s11
	s_delay_alu instid0(VALU_DEP_1) | instskip(NEXT) | instid1(VALU_DEP_1)
	v_add_nc_u32_e32 v51, v51, v52
	v_mov_b32_dpp v52, v51 row_shr:4 row_mask:0xf bank_mask:0xf
	s_delay_alu instid0(VALU_DEP_1) | instskip(NEXT) | instid1(VALU_DEP_1)
	v_cndmask_b32_e64 v52, 0, v52, s12
	v_add_nc_u32_e32 v51, v51, v52
	ds_store_b32 v35, v51
.LBB64_31:                              ;   in Loop: Header=BB64_19 Depth=1
	s_or_b32 exec_lo, exec_lo, s13
	v_mov_b32_e32 v51, 0
	s_waitcnt lgkmcnt(0)
	s_barrier
	buffer_gl0_inv
	s_and_saveexec_b32 s13, s1
	s_cbranch_execz .LBB64_33
; %bb.32:                               ;   in Loop: Header=BB64_19 Depth=1
	ds_load_b32 v51, v30
.LBB64_33:                              ;   in Loop: Header=BB64_19 Depth=1
	s_or_b32 exec_lo, exec_lo, s13
	s_waitcnt lgkmcnt(0)
	v_add_nc_u32_e32 v3, v51, v3
	s_add_i32 s14, s14, 8
	s_delay_alu instid0(SALU_CYCLE_1) | instskip(SKIP_3) | instid1(VALU_DEP_1)
	s_cmp_ge_u32 s14, s17
	ds_bpermute_b32 v3, v28, v3
	s_waitcnt lgkmcnt(0)
	v_cndmask_b32_e64 v3, v3, v51, s2
	v_cndmask_b32_e64 v3, v3, 0, s3
	s_delay_alu instid0(VALU_DEP_1) | instskip(NEXT) | instid1(VALU_DEP_1)
	v_add_nc_u32_e32 v4, v3, v4
	v_add_nc_u32_e32 v5, v4, v5
	s_delay_alu instid0(VALU_DEP_1) | instskip(NEXT) | instid1(VALU_DEP_1)
	v_add_nc_u32_e32 v6, v5, v6
	v_add_nc_u32_e32 v51, v6, v7
	;; [unrolled: 3-line block ×3, first 2 shown]
	s_delay_alu instid0(VALU_DEP_1)
	v_add_nc_u32_e32 v1, v0, v2
	ds_store_2addr_b64 v25, v[3:4], v[5:6] offset0:4 offset1:5
	ds_store_2addr_b64 v26, v[51:52], v[0:1] offset0:2 offset1:3
	v_mov_b32_e32 v51, v39
	s_waitcnt lgkmcnt(0)
	s_barrier
	buffer_gl0_inv
	ds_load_b32 v0, v22
	ds_load_b32 v1, v43
	;; [unrolled: 1-line block ×4, first 2 shown]
	s_waitcnt lgkmcnt(0)
	v_add_nc_u32_e32 v49, v0, v21
	v_add3_u32 v47, v24, v23, v1
	v_add3_u32 v46, v46, v45, v2
	;; [unrolled: 1-line block ×3, first 2 shown]
	s_delay_alu instid0(VALU_DEP_4) | instskip(NEXT) | instid1(VALU_DEP_4)
	v_lshlrev_b32_e32 v24, 1, v49
	v_lshlrev_b32_e32 v23, 1, v47
	s_delay_alu instid0(VALU_DEP_4) | instskip(NEXT) | instid1(VALU_DEP_4)
	v_lshlrev_b32_e32 v7, 1, v46
	v_lshlrev_b32_e32 v0, 1, v45
	s_cbranch_scc0 .LBB64_18
; %bb.34:
                                        ; implicit-def: $vgpr43
                                        ; implicit-def: $vgpr39
                                        ; implicit-def: $sgpr14
                                        ; implicit-def: $vgpr1_vgpr2
                                        ; implicit-def: $vgpr3_vgpr4
                                        ; implicit-def: $vgpr5_vgpr6
                                        ; implicit-def: $vgpr21_vgpr22
.LBB64_35:
	v_mad_u64_u32 v[1:2], null, v49, 6, v[24:25]
	v_lshlrev_b32_e32 v9, 1, v8
	v_mad_u64_u32 v[2:3], null, v47, 6, v[23:24]
	v_mad_u64_u32 v[3:4], null, v46, 6, v[7:8]
	s_barrier
	s_delay_alu instid0(VALU_DEP_4)
	v_mad_u64_u32 v[4:5], null, v45, 6, v[0:1]
	buffer_gl0_inv
	ds_store_b16 v24, v51
	ds_store_b16 v23, v42
	;; [unrolled: 1-line block ×4, first 2 shown]
	s_waitcnt lgkmcnt(0)
	s_barrier
	buffer_gl0_inv
	ds_load_u16 v10, v9
	ds_load_u16 v11, v9 offset:512
	ds_load_u16 v12, v9 offset:1024
	;; [unrolled: 1-line block ×3, first 2 shown]
	v_mad_u32_u24 v0, v8, 6, v9
	s_waitcnt lgkmcnt(0)
	s_barrier
	buffer_gl0_inv
	ds_store_b64 v1, v[19:20]
	ds_store_b64 v2, v[17:18]
	;; [unrolled: 1-line block ×4, first 2 shown]
	s_waitcnt lgkmcnt(0)
	s_barrier
	buffer_gl0_inv
	ds_load_2addr_stride64_b64 v[4:7], v0 offset1:4
	ds_load_2addr_stride64_b64 v[0:3], v0 offset0:8 offset1:12
	s_add_u32 s0, s18, s26
	s_addc_u32 s1, s19, s27
	v_add_co_u32 v9, s0, s0, v9
	s_mov_b32 s2, 0
	s_and_not1_b32 vcc_lo, exec_lo, s28
	v_xor_b32_e32 v15, 0xffff8000, v10
	v_xor_b32_e32 v13, 0xffff8000, v11
	;; [unrolled: 1-line block ×4, first 2 shown]
	v_add_co_ci_u32_e64 v10, null, s1, 0, s0
	v_lshlrev_b32_e32 v11, 3, v8
	s_mov_b32 s0, -1
	s_cbranch_vccz .LBB64_39
; %bb.36:
	s_and_not1_b32 vcc_lo, exec_lo, s0
	s_cbranch_vccz .LBB64_40
.LBB64_37:
	s_and_saveexec_b32 s0, s2
	s_cbranch_execnz .LBB64_53
.LBB64_38:
	s_nop 0
	s_sendmsg sendmsg(MSG_DEALLOC_VGPRS)
	s_endpgm
.LBB64_39:
	s_lshl_b64 s[0:1], s[24:25], 3
	s_mov_b32 s2, -1
	s_add_u32 s4, s22, s0
	s_addc_u32 s5, s23, s1
	v_add_co_u32 v16, s0, s4, v11
	s_delay_alu instid0(VALU_DEP_1) | instskip(NEXT) | instid1(VALU_DEP_2)
	v_add_co_ci_u32_e64 v17, null, s5, 0, s0
	v_add_co_u32 v16, vcc_lo, 0x1000, v16
	s_delay_alu instid0(VALU_DEP_2)
	v_add_co_ci_u32_e32 v17, vcc_lo, 0, v17, vcc_lo
	s_clause 0x3
	global_store_b16 v[9:10], v15, off
	global_store_b16 v[9:10], v13, off offset:512
	global_store_b16 v[9:10], v14, off offset:1024
	;; [unrolled: 1-line block ×3, first 2 shown]
	s_waitcnt lgkmcnt(1)
	s_clause 0x1
	global_store_b64 v11, v[6:7], s[4:5] offset:2048
	global_store_b64 v11, v[4:5], s[4:5]
	s_waitcnt lgkmcnt(0)
	global_store_b64 v[16:17], v[0:1], off
	s_cbranch_execnz .LBB64_37
.LBB64_40:
	v_cmp_gt_u32_e32 vcc_lo, s16, v8
	s_and_saveexec_b32 s0, vcc_lo
	s_cbranch_execz .LBB64_42
; %bb.41:
	global_store_b16 v[9:10], v15, off
.LBB64_42:
	s_or_b32 exec_lo, exec_lo, s0
	v_add_nc_u32_e32 v15, 0x100, v8
	s_delay_alu instid0(VALU_DEP_1) | instskip(NEXT) | instid1(VALU_DEP_1)
	v_cmp_gt_u32_e64 s0, s16, v15
	s_and_saveexec_b32 s1, s0
	s_cbranch_execz .LBB64_44
; %bb.43:
	global_store_b16 v[9:10], v13, off offset:512
.LBB64_44:
	s_or_b32 exec_lo, exec_lo, s1
	v_add_nc_u32_e32 v13, 0x200, v8
	s_delay_alu instid0(VALU_DEP_1) | instskip(NEXT) | instid1(VALU_DEP_1)
	v_cmp_gt_u32_e64 s1, s16, v13
	s_and_saveexec_b32 s2, s1
	s_cbranch_execz .LBB64_46
; %bb.45:
	global_store_b16 v[9:10], v14, off offset:1024
.LBB64_46:
	;; [unrolled: 9-line block ×3, first 2 shown]
	s_or_b32 exec_lo, exec_lo, s3
	s_lshl_b64 s[4:5], s[24:25], 3
	s_delay_alu instid0(SALU_CYCLE_1) | instskip(SKIP_2) | instid1(VALU_DEP_1)
	s_add_u32 s3, s22, s4
	s_addc_u32 s4, s23, s5
	v_add_co_u32 v8, s3, s3, v11
	v_add_co_ci_u32_e64 v9, null, s4, 0, s3
	s_and_saveexec_b32 s3, vcc_lo
	s_cbranch_execnz .LBB64_57
; %bb.49:
	s_or_b32 exec_lo, exec_lo, s3
	s_and_saveexec_b32 s3, s0
	s_cbranch_execnz .LBB64_58
.LBB64_50:
	s_or_b32 exec_lo, exec_lo, s3
	s_and_saveexec_b32 s0, s1
	s_cbranch_execz .LBB64_52
.LBB64_51:
	s_waitcnt lgkmcnt(1)
	v_add_co_u32 v4, vcc_lo, 0x1000, v8
	v_add_co_ci_u32_e32 v5, vcc_lo, 0, v9, vcc_lo
	s_waitcnt lgkmcnt(0)
	global_store_b64 v[4:5], v[0:1], off
.LBB64_52:
	s_or_b32 exec_lo, exec_lo, s0
	s_and_saveexec_b32 s0, s2
	s_cbranch_execz .LBB64_38
.LBB64_53:
	s_lshl_b64 s[0:1], s[24:25], 3
	s_delay_alu instid0(SALU_CYCLE_1) | instskip(SKIP_3) | instid1(VALU_DEP_1)
	s_add_u32 s0, s22, s0
	s_addc_u32 s1, s23, s1
	s_waitcnt lgkmcnt(0)
	v_add_co_u32 v0, s0, s0, v11
	v_add_co_ci_u32_e64 v1, null, s1, 0, s0
	s_delay_alu instid0(VALU_DEP_2) | instskip(NEXT) | instid1(VALU_DEP_2)
	v_add_co_u32 v0, vcc_lo, 0x1000, v0
	v_add_co_ci_u32_e32 v1, vcc_lo, 0, v1, vcc_lo
	global_store_b64 v[0:1], v[2:3], off offset:2048
	s_nop 0
	s_sendmsg sendmsg(MSG_DEALLOC_VGPRS)
	s_endpgm
.LBB64_54:
	global_load_b64 v[1:2], v[11:12], off
	s_or_b32 exec_lo, exec_lo, s5
                                        ; implicit-def: $vgpr3_vgpr4
	s_and_saveexec_b32 s5, s2
	s_cbranch_execz .LBB64_13
.LBB64_55:
	global_load_b64 v[3:4], v[11:12], off offset:256
	s_or_b32 exec_lo, exec_lo, s5
                                        ; implicit-def: $vgpr5_vgpr6
	s_and_saveexec_b32 s2, s3
	s_cbranch_execz .LBB64_14
.LBB64_56:
	global_load_b64 v[5:6], v[11:12], off offset:512
	s_or_b32 exec_lo, exec_lo, s2
                                        ; implicit-def: $vgpr21_vgpr22
	s_and_saveexec_b32 s2, s4
	s_cbranch_execnz .LBB64_15
	s_branch .LBB64_16
.LBB64_57:
	s_waitcnt lgkmcnt(1)
	global_store_b64 v[8:9], v[4:5], off
	s_or_b32 exec_lo, exec_lo, s3
	s_and_saveexec_b32 s3, s0
	s_cbranch_execz .LBB64_50
.LBB64_58:
	s_waitcnt lgkmcnt(1)
	global_store_b64 v[8:9], v[6:7], off offset:2048
	s_or_b32 exec_lo, exec_lo, s3
	s_and_saveexec_b32 s0, s1
	s_cbranch_execnz .LBB64_51
	s_branch .LBB64_52
	.section	.rodata,"a",@progbits
	.p2align	6, 0x0
	.amdhsa_kernel _ZN7rocprim17ROCPRIM_304000_NS6detail28radix_sort_block_sort_kernelINS1_36wrapped_radix_sort_block_sort_configINS0_13kernel_configILj256ELj4ELj4294967295EEEsN2at4cuda3cub6detail10OpaqueTypeILi8EEEEELb0EPKsPsPKSB_PSB_NS0_19identity_decomposerEEEvT1_T2_T3_T4_jT5_jj
		.amdhsa_group_segment_fixed_size 8224
		.amdhsa_private_segment_fixed_size 0
		.amdhsa_kernarg_size 304
		.amdhsa_user_sgpr_count 15
		.amdhsa_user_sgpr_dispatch_ptr 0
		.amdhsa_user_sgpr_queue_ptr 0
		.amdhsa_user_sgpr_kernarg_segment_ptr 1
		.amdhsa_user_sgpr_dispatch_id 0
		.amdhsa_user_sgpr_private_segment_size 0
		.amdhsa_wavefront_size32 1
		.amdhsa_uses_dynamic_stack 0
		.amdhsa_enable_private_segment 0
		.amdhsa_system_sgpr_workgroup_id_x 1
		.amdhsa_system_sgpr_workgroup_id_y 0
		.amdhsa_system_sgpr_workgroup_id_z 0
		.amdhsa_system_sgpr_workgroup_info 0
		.amdhsa_system_vgpr_workitem_id 2
		.amdhsa_next_free_vgpr 53
		.amdhsa_next_free_sgpr 32
		.amdhsa_reserve_vcc 1
		.amdhsa_float_round_mode_32 0
		.amdhsa_float_round_mode_16_64 0
		.amdhsa_float_denorm_mode_32 3
		.amdhsa_float_denorm_mode_16_64 3
		.amdhsa_dx10_clamp 1
		.amdhsa_ieee_mode 1
		.amdhsa_fp16_overflow 0
		.amdhsa_workgroup_processor_mode 1
		.amdhsa_memory_ordered 1
		.amdhsa_forward_progress 0
		.amdhsa_shared_vgpr_count 0
		.amdhsa_exception_fp_ieee_invalid_op 0
		.amdhsa_exception_fp_denorm_src 0
		.amdhsa_exception_fp_ieee_div_zero 0
		.amdhsa_exception_fp_ieee_overflow 0
		.amdhsa_exception_fp_ieee_underflow 0
		.amdhsa_exception_fp_ieee_inexact 0
		.amdhsa_exception_int_div_zero 0
	.end_amdhsa_kernel
	.section	.text._ZN7rocprim17ROCPRIM_304000_NS6detail28radix_sort_block_sort_kernelINS1_36wrapped_radix_sort_block_sort_configINS0_13kernel_configILj256ELj4ELj4294967295EEEsN2at4cuda3cub6detail10OpaqueTypeILi8EEEEELb0EPKsPsPKSB_PSB_NS0_19identity_decomposerEEEvT1_T2_T3_T4_jT5_jj,"axG",@progbits,_ZN7rocprim17ROCPRIM_304000_NS6detail28radix_sort_block_sort_kernelINS1_36wrapped_radix_sort_block_sort_configINS0_13kernel_configILj256ELj4ELj4294967295EEEsN2at4cuda3cub6detail10OpaqueTypeILi8EEEEELb0EPKsPsPKSB_PSB_NS0_19identity_decomposerEEEvT1_T2_T3_T4_jT5_jj,comdat
.Lfunc_end64:
	.size	_ZN7rocprim17ROCPRIM_304000_NS6detail28radix_sort_block_sort_kernelINS1_36wrapped_radix_sort_block_sort_configINS0_13kernel_configILj256ELj4ELj4294967295EEEsN2at4cuda3cub6detail10OpaqueTypeILi8EEEEELb0EPKsPsPKSB_PSB_NS0_19identity_decomposerEEEvT1_T2_T3_T4_jT5_jj, .Lfunc_end64-_ZN7rocprim17ROCPRIM_304000_NS6detail28radix_sort_block_sort_kernelINS1_36wrapped_radix_sort_block_sort_configINS0_13kernel_configILj256ELj4ELj4294967295EEEsN2at4cuda3cub6detail10OpaqueTypeILi8EEEEELb0EPKsPsPKSB_PSB_NS0_19identity_decomposerEEEvT1_T2_T3_T4_jT5_jj
                                        ; -- End function
	.section	.AMDGPU.csdata,"",@progbits
; Kernel info:
; codeLenInByte = 4204
; NumSgprs: 34
; NumVgprs: 53
; ScratchSize: 0
; MemoryBound: 0
; FloatMode: 240
; IeeeMode: 1
; LDSByteSize: 8224 bytes/workgroup (compile time only)
; SGPRBlocks: 4
; VGPRBlocks: 6
; NumSGPRsForWavesPerEU: 34
; NumVGPRsForWavesPerEU: 53
; Occupancy: 16
; WaveLimiterHint : 1
; COMPUTE_PGM_RSRC2:SCRATCH_EN: 0
; COMPUTE_PGM_RSRC2:USER_SGPR: 15
; COMPUTE_PGM_RSRC2:TRAP_HANDLER: 0
; COMPUTE_PGM_RSRC2:TGID_X_EN: 1
; COMPUTE_PGM_RSRC2:TGID_Y_EN: 0
; COMPUTE_PGM_RSRC2:TGID_Z_EN: 0
; COMPUTE_PGM_RSRC2:TIDIG_COMP_CNT: 2
	.section	.text._ZN7rocprim17ROCPRIM_304000_NS6detail45device_block_merge_mergepath_partition_kernelINS1_37wrapped_merge_sort_block_merge_configINS0_14default_configEsN2at4cuda3cub6detail10OpaqueTypeILi8EEEEEPsjNS1_19radix_merge_compareILb0ELb0EsNS0_19identity_decomposerEEEEEvT0_T1_jPSH_T2_SH_,"axG",@progbits,_ZN7rocprim17ROCPRIM_304000_NS6detail45device_block_merge_mergepath_partition_kernelINS1_37wrapped_merge_sort_block_merge_configINS0_14default_configEsN2at4cuda3cub6detail10OpaqueTypeILi8EEEEEPsjNS1_19radix_merge_compareILb0ELb0EsNS0_19identity_decomposerEEEEEvT0_T1_jPSH_T2_SH_,comdat
	.protected	_ZN7rocprim17ROCPRIM_304000_NS6detail45device_block_merge_mergepath_partition_kernelINS1_37wrapped_merge_sort_block_merge_configINS0_14default_configEsN2at4cuda3cub6detail10OpaqueTypeILi8EEEEEPsjNS1_19radix_merge_compareILb0ELb0EsNS0_19identity_decomposerEEEEEvT0_T1_jPSH_T2_SH_ ; -- Begin function _ZN7rocprim17ROCPRIM_304000_NS6detail45device_block_merge_mergepath_partition_kernelINS1_37wrapped_merge_sort_block_merge_configINS0_14default_configEsN2at4cuda3cub6detail10OpaqueTypeILi8EEEEEPsjNS1_19radix_merge_compareILb0ELb0EsNS0_19identity_decomposerEEEEEvT0_T1_jPSH_T2_SH_
	.globl	_ZN7rocprim17ROCPRIM_304000_NS6detail45device_block_merge_mergepath_partition_kernelINS1_37wrapped_merge_sort_block_merge_configINS0_14default_configEsN2at4cuda3cub6detail10OpaqueTypeILi8EEEEEPsjNS1_19radix_merge_compareILb0ELb0EsNS0_19identity_decomposerEEEEEvT0_T1_jPSH_T2_SH_
	.p2align	8
	.type	_ZN7rocprim17ROCPRIM_304000_NS6detail45device_block_merge_mergepath_partition_kernelINS1_37wrapped_merge_sort_block_merge_configINS0_14default_configEsN2at4cuda3cub6detail10OpaqueTypeILi8EEEEEPsjNS1_19radix_merge_compareILb0ELb0EsNS0_19identity_decomposerEEEEEvT0_T1_jPSH_T2_SH_,@function
_ZN7rocprim17ROCPRIM_304000_NS6detail45device_block_merge_mergepath_partition_kernelINS1_37wrapped_merge_sort_block_merge_configINS0_14default_configEsN2at4cuda3cub6detail10OpaqueTypeILi8EEEEEPsjNS1_19radix_merge_compareILb0ELb0EsNS0_19identity_decomposerEEEEEvT0_T1_jPSH_T2_SH_: ; @_ZN7rocprim17ROCPRIM_304000_NS6detail45device_block_merge_mergepath_partition_kernelINS1_37wrapped_merge_sort_block_merge_configINS0_14default_configEsN2at4cuda3cub6detail10OpaqueTypeILi8EEEEEPsjNS1_19radix_merge_compareILb0ELb0EsNS0_19identity_decomposerEEEEEvT0_T1_jPSH_T2_SH_
; %bb.0:
	s_load_b64 s[2:3], s[0:1], 0x8
	v_lshl_or_b32 v0, s15, 7, v0
	s_waitcnt lgkmcnt(0)
	s_delay_alu instid0(VALU_DEP_1)
	v_cmp_gt_u32_e32 vcc_lo, s3, v0
	s_and_saveexec_b32 s3, vcc_lo
	s_cbranch_execz .LBB65_6
; %bb.1:
	s_load_b32 s3, s[0:1], 0x1c
	s_waitcnt lgkmcnt(0)
	s_lshr_b32 s4, s3, 9
	s_delay_alu instid0(SALU_CYCLE_1) | instskip(NEXT) | instid1(SALU_CYCLE_1)
	s_and_b32 s4, s4, 0x7ffffe
	s_sub_i32 s5, 0, s4
	s_add_i32 s4, s4, -1
	v_and_b32_e32 v1, s5, v0
	v_and_b32_e32 v5, s4, v0
	s_delay_alu instid0(VALU_DEP_2) | instskip(NEXT) | instid1(VALU_DEP_1)
	v_lshlrev_b32_e32 v1, 10, v1
	v_add_nc_u32_e32 v2, s3, v1
	s_delay_alu instid0(VALU_DEP_1) | instskip(SKIP_1) | instid1(VALU_DEP_2)
	v_min_u32_e32 v4, s2, v2
	v_min_u32_e32 v2, s2, v1
	v_add_nc_u32_e32 v3, s3, v4
	s_delay_alu instid0(VALU_DEP_1) | instskip(SKIP_2) | instid1(VALU_DEP_2)
	v_min_u32_e32 v1, s2, v3
	v_lshlrev_b32_e32 v3, 10, v5
	s_mov_b32 s2, exec_lo
	v_sub_nc_u32_e32 v5, v1, v2
	v_sub_nc_u32_e32 v6, v1, v4
	s_delay_alu instid0(VALU_DEP_2) | instskip(SKIP_1) | instid1(VALU_DEP_2)
	v_min_u32_e32 v1, v5, v3
	v_sub_nc_u32_e32 v3, v4, v2
	v_sub_nc_u32_e64 v6, v1, v6 clamp
	s_delay_alu instid0(VALU_DEP_2) | instskip(NEXT) | instid1(VALU_DEP_1)
	v_min_u32_e32 v7, v1, v3
	v_cmpx_lt_u32_e64 v6, v7
	s_cbranch_execz .LBB65_5
; %bb.2:
	s_load_b64 s[4:5], s[0:1], 0x0
	v_mov_b32_e32 v5, 0
	s_mov_b32 s3, 0
	s_delay_alu instid0(VALU_DEP_1) | instskip(SKIP_1) | instid1(VALU_DEP_2)
	v_mov_b32_e32 v3, v5
	v_lshlrev_b64 v[10:11], 1, v[4:5]
	v_lshlrev_b64 v[8:9], 1, v[2:3]
	s_waitcnt lgkmcnt(0)
	s_delay_alu instid0(VALU_DEP_1) | instskip(NEXT) | instid1(VALU_DEP_2)
	v_add_co_u32 v3, vcc_lo, s4, v8
	v_add_co_ci_u32_e32 v8, vcc_lo, s5, v9, vcc_lo
	s_delay_alu instid0(VALU_DEP_4)
	v_add_co_u32 v9, vcc_lo, s4, v10
	v_add_co_ci_u32_e32 v10, vcc_lo, s5, v11, vcc_lo
	.p2align	6
.LBB65_3:                               ; =>This Inner Loop Header: Depth=1
	v_add_nc_u32_e32 v4, v7, v6
	s_delay_alu instid0(VALU_DEP_1) | instskip(SKIP_1) | instid1(VALU_DEP_2)
	v_lshrrev_b32_e32 v15, 1, v4
	v_and_b32_e32 v11, -2, v4
	v_xad_u32 v4, v15, -1, v1
	s_delay_alu instid0(VALU_DEP_2) | instskip(SKIP_1) | instid1(VALU_DEP_3)
	v_add_co_u32 v11, vcc_lo, v3, v11
	v_add_co_ci_u32_e32 v12, vcc_lo, 0, v8, vcc_lo
	v_lshlrev_b64 v[13:14], 1, v[4:5]
	s_delay_alu instid0(VALU_DEP_1) | instskip(NEXT) | instid1(VALU_DEP_2)
	v_add_co_u32 v13, vcc_lo, v9, v13
	v_add_co_ci_u32_e32 v14, vcc_lo, v10, v14, vcc_lo
	s_clause 0x1
	global_load_u16 v4, v[11:12], off
	global_load_u16 v11, v[13:14], off
	v_add_nc_u32_e32 v12, 1, v15
	s_waitcnt vmcnt(0)
	v_cmp_gt_i16_e32 vcc_lo, v4, v11
	s_delay_alu instid0(VALU_DEP_2) | instskip(NEXT) | instid1(VALU_DEP_1)
	v_dual_cndmask_b32 v6, v12, v6 :: v_dual_cndmask_b32 v7, v7, v15
	v_cmp_ge_u32_e32 vcc_lo, v6, v7
	s_or_b32 s3, vcc_lo, s3
	s_delay_alu instid0(SALU_CYCLE_1)
	s_and_not1_b32 exec_lo, exec_lo, s3
	s_cbranch_execnz .LBB65_3
; %bb.4:
	s_or_b32 exec_lo, exec_lo, s3
.LBB65_5:
	s_delay_alu instid0(SALU_CYCLE_1) | instskip(SKIP_2) | instid1(VALU_DEP_1)
	s_or_b32 exec_lo, exec_lo, s2
	s_load_b64 s[0:1], s[0:1], 0x10
	v_dual_mov_b32 v1, 0 :: v_dual_add_nc_u32 v2, v6, v2
	v_lshlrev_b64 v[0:1], 2, v[0:1]
	s_waitcnt lgkmcnt(0)
	s_delay_alu instid0(VALU_DEP_1) | instskip(NEXT) | instid1(VALU_DEP_2)
	v_add_co_u32 v0, vcc_lo, s0, v0
	v_add_co_ci_u32_e32 v1, vcc_lo, s1, v1, vcc_lo
	global_store_b32 v[0:1], v2, off
.LBB65_6:
	s_nop 0
	s_sendmsg sendmsg(MSG_DEALLOC_VGPRS)
	s_endpgm
	.section	.rodata,"a",@progbits
	.p2align	6, 0x0
	.amdhsa_kernel _ZN7rocprim17ROCPRIM_304000_NS6detail45device_block_merge_mergepath_partition_kernelINS1_37wrapped_merge_sort_block_merge_configINS0_14default_configEsN2at4cuda3cub6detail10OpaqueTypeILi8EEEEEPsjNS1_19radix_merge_compareILb0ELb0EsNS0_19identity_decomposerEEEEEvT0_T1_jPSH_T2_SH_
		.amdhsa_group_segment_fixed_size 0
		.amdhsa_private_segment_fixed_size 0
		.amdhsa_kernarg_size 32
		.amdhsa_user_sgpr_count 15
		.amdhsa_user_sgpr_dispatch_ptr 0
		.amdhsa_user_sgpr_queue_ptr 0
		.amdhsa_user_sgpr_kernarg_segment_ptr 1
		.amdhsa_user_sgpr_dispatch_id 0
		.amdhsa_user_sgpr_private_segment_size 0
		.amdhsa_wavefront_size32 1
		.amdhsa_uses_dynamic_stack 0
		.amdhsa_enable_private_segment 0
		.amdhsa_system_sgpr_workgroup_id_x 1
		.amdhsa_system_sgpr_workgroup_id_y 0
		.amdhsa_system_sgpr_workgroup_id_z 0
		.amdhsa_system_sgpr_workgroup_info 0
		.amdhsa_system_vgpr_workitem_id 0
		.amdhsa_next_free_vgpr 16
		.amdhsa_next_free_sgpr 16
		.amdhsa_reserve_vcc 1
		.amdhsa_float_round_mode_32 0
		.amdhsa_float_round_mode_16_64 0
		.amdhsa_float_denorm_mode_32 3
		.amdhsa_float_denorm_mode_16_64 3
		.amdhsa_dx10_clamp 1
		.amdhsa_ieee_mode 1
		.amdhsa_fp16_overflow 0
		.amdhsa_workgroup_processor_mode 1
		.amdhsa_memory_ordered 1
		.amdhsa_forward_progress 0
		.amdhsa_shared_vgpr_count 0
		.amdhsa_exception_fp_ieee_invalid_op 0
		.amdhsa_exception_fp_denorm_src 0
		.amdhsa_exception_fp_ieee_div_zero 0
		.amdhsa_exception_fp_ieee_overflow 0
		.amdhsa_exception_fp_ieee_underflow 0
		.amdhsa_exception_fp_ieee_inexact 0
		.amdhsa_exception_int_div_zero 0
	.end_amdhsa_kernel
	.section	.text._ZN7rocprim17ROCPRIM_304000_NS6detail45device_block_merge_mergepath_partition_kernelINS1_37wrapped_merge_sort_block_merge_configINS0_14default_configEsN2at4cuda3cub6detail10OpaqueTypeILi8EEEEEPsjNS1_19radix_merge_compareILb0ELb0EsNS0_19identity_decomposerEEEEEvT0_T1_jPSH_T2_SH_,"axG",@progbits,_ZN7rocprim17ROCPRIM_304000_NS6detail45device_block_merge_mergepath_partition_kernelINS1_37wrapped_merge_sort_block_merge_configINS0_14default_configEsN2at4cuda3cub6detail10OpaqueTypeILi8EEEEEPsjNS1_19radix_merge_compareILb0ELb0EsNS0_19identity_decomposerEEEEEvT0_T1_jPSH_T2_SH_,comdat
.Lfunc_end65:
	.size	_ZN7rocprim17ROCPRIM_304000_NS6detail45device_block_merge_mergepath_partition_kernelINS1_37wrapped_merge_sort_block_merge_configINS0_14default_configEsN2at4cuda3cub6detail10OpaqueTypeILi8EEEEEPsjNS1_19radix_merge_compareILb0ELb0EsNS0_19identity_decomposerEEEEEvT0_T1_jPSH_T2_SH_, .Lfunc_end65-_ZN7rocprim17ROCPRIM_304000_NS6detail45device_block_merge_mergepath_partition_kernelINS1_37wrapped_merge_sort_block_merge_configINS0_14default_configEsN2at4cuda3cub6detail10OpaqueTypeILi8EEEEEPsjNS1_19radix_merge_compareILb0ELb0EsNS0_19identity_decomposerEEEEEvT0_T1_jPSH_T2_SH_
                                        ; -- End function
	.section	.AMDGPU.csdata,"",@progbits
; Kernel info:
; codeLenInByte = 452
; NumSgprs: 18
; NumVgprs: 16
; ScratchSize: 0
; MemoryBound: 0
; FloatMode: 240
; IeeeMode: 1
; LDSByteSize: 0 bytes/workgroup (compile time only)
; SGPRBlocks: 2
; VGPRBlocks: 1
; NumSGPRsForWavesPerEU: 18
; NumVGPRsForWavesPerEU: 16
; Occupancy: 16
; WaveLimiterHint : 0
; COMPUTE_PGM_RSRC2:SCRATCH_EN: 0
; COMPUTE_PGM_RSRC2:USER_SGPR: 15
; COMPUTE_PGM_RSRC2:TRAP_HANDLER: 0
; COMPUTE_PGM_RSRC2:TGID_X_EN: 1
; COMPUTE_PGM_RSRC2:TGID_Y_EN: 0
; COMPUTE_PGM_RSRC2:TGID_Z_EN: 0
; COMPUTE_PGM_RSRC2:TIDIG_COMP_CNT: 0
	.section	.text._ZN7rocprim17ROCPRIM_304000_NS6detail35device_block_merge_mergepath_kernelINS1_37wrapped_merge_sort_block_merge_configINS0_14default_configEsN2at4cuda3cub6detail10OpaqueTypeILi8EEEEEPsSC_PSA_SD_jNS1_19radix_merge_compareILb0ELb0EsNS0_19identity_decomposerEEEEEvT0_T1_T2_T3_T4_SL_jT5_PKSL_NS1_7vsmem_tE,"axG",@progbits,_ZN7rocprim17ROCPRIM_304000_NS6detail35device_block_merge_mergepath_kernelINS1_37wrapped_merge_sort_block_merge_configINS0_14default_configEsN2at4cuda3cub6detail10OpaqueTypeILi8EEEEEPsSC_PSA_SD_jNS1_19radix_merge_compareILb0ELb0EsNS0_19identity_decomposerEEEEEvT0_T1_T2_T3_T4_SL_jT5_PKSL_NS1_7vsmem_tE,comdat
	.protected	_ZN7rocprim17ROCPRIM_304000_NS6detail35device_block_merge_mergepath_kernelINS1_37wrapped_merge_sort_block_merge_configINS0_14default_configEsN2at4cuda3cub6detail10OpaqueTypeILi8EEEEEPsSC_PSA_SD_jNS1_19radix_merge_compareILb0ELb0EsNS0_19identity_decomposerEEEEEvT0_T1_T2_T3_T4_SL_jT5_PKSL_NS1_7vsmem_tE ; -- Begin function _ZN7rocprim17ROCPRIM_304000_NS6detail35device_block_merge_mergepath_kernelINS1_37wrapped_merge_sort_block_merge_configINS0_14default_configEsN2at4cuda3cub6detail10OpaqueTypeILi8EEEEEPsSC_PSA_SD_jNS1_19radix_merge_compareILb0ELb0EsNS0_19identity_decomposerEEEEEvT0_T1_T2_T3_T4_SL_jT5_PKSL_NS1_7vsmem_tE
	.globl	_ZN7rocprim17ROCPRIM_304000_NS6detail35device_block_merge_mergepath_kernelINS1_37wrapped_merge_sort_block_merge_configINS0_14default_configEsN2at4cuda3cub6detail10OpaqueTypeILi8EEEEEPsSC_PSA_SD_jNS1_19radix_merge_compareILb0ELb0EsNS0_19identity_decomposerEEEEEvT0_T1_T2_T3_T4_SL_jT5_PKSL_NS1_7vsmem_tE
	.p2align	8
	.type	_ZN7rocprim17ROCPRIM_304000_NS6detail35device_block_merge_mergepath_kernelINS1_37wrapped_merge_sort_block_merge_configINS0_14default_configEsN2at4cuda3cub6detail10OpaqueTypeILi8EEEEEPsSC_PSA_SD_jNS1_19radix_merge_compareILb0ELb0EsNS0_19identity_decomposerEEEEEvT0_T1_T2_T3_T4_SL_jT5_PKSL_NS1_7vsmem_tE,@function
_ZN7rocprim17ROCPRIM_304000_NS6detail35device_block_merge_mergepath_kernelINS1_37wrapped_merge_sort_block_merge_configINS0_14default_configEsN2at4cuda3cub6detail10OpaqueTypeILi8EEEEEPsSC_PSA_SD_jNS1_19radix_merge_compareILb0ELb0EsNS0_19identity_decomposerEEEEEvT0_T1_T2_T3_T4_SL_jT5_PKSL_NS1_7vsmem_tE: ; @_ZN7rocprim17ROCPRIM_304000_NS6detail35device_block_merge_mergepath_kernelINS1_37wrapped_merge_sort_block_merge_configINS0_14default_configEsN2at4cuda3cub6detail10OpaqueTypeILi8EEEEEPsSC_PSA_SD_jNS1_19radix_merge_compareILb0ELb0EsNS0_19identity_decomposerEEEEEvT0_T1_T2_T3_T4_SL_jT5_PKSL_NS1_7vsmem_tE
; %bb.0:
	s_clause 0x1
	s_load_b64 s[22:23], s[0:1], 0x40
	s_load_b128 s[16:19], s[0:1], 0x20
	s_add_u32 s20, s0, 64
	s_addc_u32 s21, s1, 0
	s_waitcnt lgkmcnt(0)
	s_mul_i32 s2, s23, s15
	s_delay_alu instid0(SALU_CYCLE_1) | instskip(NEXT) | instid1(SALU_CYCLE_1)
	s_add_i32 s2, s2, s14
	s_mul_i32 s2, s2, s22
	s_delay_alu instid0(SALU_CYCLE_1) | instskip(NEXT) | instid1(SALU_CYCLE_1)
	s_add_i32 s2, s2, s13
	s_cmp_ge_u32 s2, s18
	s_cbranch_scc1 .LBB66_53
; %bb.1:
	s_load_b64 s[4:5], s[0:1], 0x30
	s_lshr_b32 s27, s16, 10
	s_mov_b32 s15, 0
	s_cmp_lg_u32 s2, s27
	s_mov_b32 s3, s15
	s_cselect_b32 s23, -1, 0
	s_lshl_b64 s[6:7], s[2:3], 2
	v_mov_b32_e32 v4, 0
	s_mov_b32 s19, s15
	v_lshlrev_b32_e32 v5, 1, v0
	s_waitcnt lgkmcnt(0)
	s_add_u32 s4, s4, s6
	s_addc_u32 s5, s5, s7
	s_lshl_b32 s12, s2, 10
	s_load_b64 s[24:25], s[4:5], 0x0
	s_load_b256 s[4:11], s[0:1], 0x0
	global_load_b32 v1, v4, s[20:21] offset:14
	s_lshr_b32 s0, s17, 9
	s_delay_alu instid0(SALU_CYCLE_1) | instskip(NEXT) | instid1(SALU_CYCLE_1)
	s_and_b32 s0, s0, 0x7ffffe
	s_sub_i32 s0, 0, s0
	s_delay_alu instid0(SALU_CYCLE_1)
	s_and_b32 s1, s2, s0
	s_or_b32 s0, s2, s0
	s_lshl_b32 s3, s1, 11
	s_lshl_b32 s1, s1, 10
	s_add_i32 s3, s3, s17
	s_sub_i32 s14, s12, s1
	s_sub_i32 s1, s3, s1
	s_add_i32 s3, s3, s14
	s_min_u32 s26, s16, s1
	s_add_i32 s1, s1, s17
	s_waitcnt lgkmcnt(0)
	s_sub_i32 s14, s3, s24
	s_sub_i32 s3, s3, s25
	s_min_u32 s18, s16, s14
	s_addk_i32 s3, 0x400
	s_cmp_eq_u32 s0, -1
	s_mov_b32 s14, s24
	s_cselect_b32 s3, s1, s3
	s_cselect_b32 s17, s26, s25
	s_min_u32 s3, s3, s16
	s_lshl_b64 s[0:1], s[14:15], 1
	s_sub_i32 s17, s17, s24
	s_sub_i32 s24, s3, s18
	s_add_u32 s25, s4, s0
	s_addc_u32 s26, s5, s1
	s_lshl_b64 s[28:29], s[18:19], 1
	v_cmp_gt_u32_e32 vcc_lo, s17, v0
	s_add_u32 s1, s4, s28
	s_addc_u32 s4, s5, s29
	s_cmp_lt_u32 s13, s22
	s_cselect_b32 s0, 12, 18
	s_delay_alu instid0(SALU_CYCLE_1)
	s_add_u32 s20, s20, s0
	s_addc_u32 s21, s21, 0
	s_cmp_eq_u32 s2, s27
	s_mov_b32 s0, -1
	s_waitcnt vmcnt(0)
	v_lshrrev_b32_e32 v3, 16, v1
	v_and_b32_e32 v1, 0xffff, v1
	global_load_u16 v2, v4, s[20:21]
	v_mul_lo_u32 v1, v1, v3
	s_waitcnt vmcnt(0)
	s_delay_alu instid0(VALU_DEP_1) | instskip(NEXT) | instid1(VALU_DEP_1)
	v_mul_lo_u32 v1, v1, v2
	v_add_nc_u32_e32 v1, v1, v0
	s_cbranch_scc1 .LBB66_3
; %bb.2:
	v_subrev_nc_u32_e32 v3, s17, v0
	v_add_co_u32 v6, s0, s25, v5
	s_delay_alu instid0(VALU_DEP_1) | instskip(NEXT) | instid1(VALU_DEP_3)
	v_add_co_ci_u32_e64 v7, null, s26, 0, s0
	v_lshlrev_b64 v[2:3], 1, v[3:4]
	s_add_i32 s3, s24, s17
	s_delay_alu instid0(VALU_DEP_1) | instskip(NEXT) | instid1(VALU_DEP_1)
	v_add_co_u32 v2, s0, s1, v2
	v_add_co_ci_u32_e64 v3, s0, s4, v3, s0
	s_mov_b32 s0, s15
	s_delay_alu instid0(VALU_DEP_1) | instskip(SKIP_3) | instid1(VALU_DEP_2)
	v_dual_cndmask_b32 v2, v2, v6 :: v_dual_cndmask_b32 v3, v3, v7
	global_load_u16 v6, v[2:3], off
	v_mov_b32_e32 v2, v4
	v_subrev_nc_u32_e32 v3, s17, v1
	v_lshlrev_b64 v[7:8], 1, v[1:2]
	s_delay_alu instid0(VALU_DEP_2) | instskip(NEXT) | instid1(VALU_DEP_2)
	v_lshlrev_b64 v[2:3], 1, v[3:4]
	v_add_co_u32 v4, vcc_lo, s25, v7
	s_delay_alu instid0(VALU_DEP_3) | instskip(NEXT) | instid1(VALU_DEP_3)
	v_add_co_ci_u32_e32 v7, vcc_lo, s26, v8, vcc_lo
	v_add_co_u32 v2, vcc_lo, s1, v2
	s_delay_alu instid0(VALU_DEP_4) | instskip(SKIP_1) | instid1(VALU_DEP_2)
	v_add_co_ci_u32_e32 v3, vcc_lo, s4, v3, vcc_lo
	v_cmp_gt_u32_e32 vcc_lo, s17, v1
	v_dual_cndmask_b32 v3, v3, v7 :: v_dual_cndmask_b32 v2, v2, v4
	global_load_d16_hi_b16 v6, v[2:3], off
	s_and_not1_b32 vcc_lo, exec_lo, s0
	s_cbranch_vccz .LBB66_4
	s_branch .LBB66_9
.LBB66_3:
                                        ; implicit-def: $vgpr6
                                        ; implicit-def: $sgpr3
	s_and_not1_b32 vcc_lo, exec_lo, s0
	s_cbranch_vccnz .LBB66_9
.LBB66_4:
	s_add_i32 s3, s24, s17
	s_mov_b32 s0, exec_lo
                                        ; implicit-def: $vgpr6
	v_cmpx_gt_u32_e64 s3, v0
	s_cbranch_execz .LBB66_6
; %bb.5:
	v_subrev_nc_u32_e32 v2, s17, v0
	v_add_co_u32 v4, s2, s25, v5
	v_mov_b32_e32 v3, 0
	s_waitcnt vmcnt(0)
	v_add_co_ci_u32_e64 v6, null, s26, 0, s2
	s_delay_alu instid0(VALU_DEP_2) | instskip(NEXT) | instid1(VALU_DEP_1)
	v_lshlrev_b64 v[2:3], 1, v[2:3]
	v_add_co_u32 v2, vcc_lo, s1, v2
	s_delay_alu instid0(VALU_DEP_2) | instskip(SKIP_1) | instid1(VALU_DEP_2)
	v_add_co_ci_u32_e32 v3, vcc_lo, s4, v3, vcc_lo
	v_cmp_gt_u32_e32 vcc_lo, s17, v0
	v_dual_cndmask_b32 v2, v2, v4 :: v_dual_cndmask_b32 v3, v3, v6
	global_load_d16_b16 v6, v[2:3], off
.LBB66_6:
	s_or_b32 exec_lo, exec_lo, s0
	s_delay_alu instid0(SALU_CYCLE_1)
	s_mov_b32 s2, exec_lo
	v_cmpx_gt_u32_e64 s3, v1
	s_cbranch_execz .LBB66_8
; %bb.7:
	v_mov_b32_e32 v2, 0
	s_delay_alu instid0(VALU_DEP_1) | instskip(NEXT) | instid1(VALU_DEP_1)
	v_lshlrev_b64 v[3:4], 1, v[1:2]
	v_add_co_u32 v3, vcc_lo, s25, v3
	s_delay_alu instid0(VALU_DEP_2) | instskip(SKIP_2) | instid1(VALU_DEP_1)
	v_add_co_ci_u32_e32 v4, vcc_lo, s26, v4, vcc_lo
	v_cmp_gt_u32_e32 vcc_lo, s17, v1
	v_subrev_nc_u32_e32 v1, s17, v1
	v_lshlrev_b64 v[1:2], 1, v[1:2]
	s_delay_alu instid0(VALU_DEP_1) | instskip(NEXT) | instid1(VALU_DEP_1)
	v_add_co_u32 v1, s0, s1, v1
	v_add_co_ci_u32_e64 v2, s0, s4, v2, s0
	s_delay_alu instid0(VALU_DEP_1)
	v_dual_cndmask_b32 v1, v1, v3 :: v_dual_cndmask_b32 v2, v2, v4
	global_load_d16_hi_b16 v6, v[1:2], off
.LBB66_8:
	s_or_b32 exec_lo, exec_lo, s2
.LBB66_9:
	v_min_u32_e32 v2, s3, v5
	s_mov_b32 s0, exec_lo
	s_waitcnt vmcnt(0)
	ds_store_b16 v5, v6
	ds_store_b16_d16_hi v5, v6 offset:1024
	s_waitcnt lgkmcnt(0)
	s_barrier
	v_sub_nc_u32_e64 v1, v2, s24 clamp
	v_min_u32_e32 v3, s17, v2
	buffer_gl0_inv
	v_cmpx_lt_u32_e64 v1, v3
	s_cbranch_execz .LBB66_13
; %bb.10:
	v_lshlrev_b32_e32 v4, 1, v2
	s_mov_b32 s1, 0
	s_delay_alu instid0(VALU_DEP_1)
	v_lshl_add_u32 v4, s17, 1, v4
	.p2align	6
.LBB66_11:                              ; =>This Inner Loop Header: Depth=1
	v_add_nc_u32_e32 v7, v3, v1
	s_delay_alu instid0(VALU_DEP_1) | instskip(SKIP_1) | instid1(VALU_DEP_2)
	v_lshrrev_b32_e32 v8, 1, v7
	v_and_b32_e32 v7, -2, v7
	v_not_b32_e32 v9, v8
	v_add_nc_u32_e32 v10, 1, v8
	s_delay_alu instid0(VALU_DEP_2)
	v_lshl_add_u32 v9, v9, 1, v4
	ds_load_u16 v7, v7
	ds_load_u16 v9, v9
	s_waitcnt lgkmcnt(0)
	v_cmp_gt_i16_e32 vcc_lo, v7, v9
	v_cndmask_b32_e32 v3, v3, v8, vcc_lo
	v_cndmask_b32_e32 v1, v10, v1, vcc_lo
	s_delay_alu instid0(VALU_DEP_1) | instskip(SKIP_1) | instid1(SALU_CYCLE_1)
	v_cmp_ge_u32_e32 vcc_lo, v1, v3
	s_or_b32 s1, vcc_lo, s1
	s_and_not1_b32 exec_lo, exec_lo, s1
	s_cbranch_execnz .LBB66_11
; %bb.12:
	s_or_b32 exec_lo, exec_lo, s1
.LBB66_13:
	s_delay_alu instid0(SALU_CYCLE_1) | instskip(SKIP_2) | instid1(VALU_DEP_2)
	s_or_b32 exec_lo, exec_lo, s0
	v_sub_nc_u32_e32 v2, v2, v1
	v_cmp_ge_u32_e32 vcc_lo, s17, v1
                                        ; implicit-def: $vgpr8
                                        ; implicit-def: $vgpr9
	v_add_nc_u32_e32 v2, s17, v2
	s_delay_alu instid0(VALU_DEP_1) | instskip(NEXT) | instid1(VALU_DEP_1)
	v_cmp_ge_u32_e64 s0, s3, v2
	s_or_b32 s0, vcc_lo, s0
	s_delay_alu instid0(SALU_CYCLE_1)
	s_and_saveexec_b32 s4, s0
	s_cbranch_execz .LBB66_19
; %bb.14:
	v_cmp_gt_u32_e32 vcc_lo, s17, v1
                                        ; implicit-def: $vgpr3
	s_and_saveexec_b32 s0, vcc_lo
	s_cbranch_execz .LBB66_16
; %bb.15:
	v_lshlrev_b32_e32 v3, 1, v1
	ds_load_u16 v3, v3
.LBB66_16:
	s_or_b32 exec_lo, exec_lo, s0
	v_cmp_le_u32_e64 s0, s3, v2
	s_mov_b32 s2, exec_lo
                                        ; implicit-def: $vgpr4
	v_cmpx_gt_u32_e64 s3, v2
	s_cbranch_execz .LBB66_18
; %bb.17:
	v_lshlrev_b32_e32 v4, 1, v2
	ds_load_u16 v4, v4
.LBB66_18:
	s_or_b32 exec_lo, exec_lo, s2
	s_waitcnt lgkmcnt(0)
	v_cmp_le_i16_e64 s1, v3, v4
	s_delay_alu instid0(VALU_DEP_1) | instskip(NEXT) | instid1(SALU_CYCLE_1)
	s_and_b32 s1, vcc_lo, s1
	s_or_b32 vcc_lo, s0, s1
	v_dual_mov_b32 v6, s17 :: v_dual_cndmask_b32 v9, v2, v1
	s_delay_alu instid0(VALU_DEP_1) | instskip(NEXT) | instid1(VALU_DEP_1)
	v_dual_cndmask_b32 v6, s3, v6 :: v_dual_add_nc_u32 v7, 1, v9
	v_dual_cndmask_b32 v1, v1, v7 :: v_dual_add_nc_u32 v6, -1, v6
	v_cndmask_b32_e32 v2, v7, v2, vcc_lo
	s_delay_alu instid0(VALU_DEP_2) | instskip(NEXT) | instid1(VALU_DEP_3)
	v_min_u32_e32 v6, v7, v6
	v_cmp_gt_u32_e64 s0, s17, v1
	s_delay_alu instid0(VALU_DEP_3) | instskip(NEXT) | instid1(VALU_DEP_3)
	v_cmp_le_u32_e64 s2, s3, v2
	v_lshlrev_b32_e32 v6, 1, v6
	ds_load_u16 v6, v6
	s_waitcnt lgkmcnt(0)
	v_cndmask_b32_e32 v10, v6, v4, vcc_lo
	v_dual_cndmask_b32 v6, v3, v6 :: v_dual_cndmask_b32 v3, v4, v3
	s_delay_alu instid0(VALU_DEP_1) | instskip(NEXT) | instid1(VALU_DEP_1)
	v_cmp_le_i16_e64 s1, v6, v10
	s_and_b32 s0, s0, s1
	s_delay_alu instid0(SALU_CYCLE_1) | instskip(SKIP_2) | instid1(VALU_DEP_1)
	s_or_b32 vcc_lo, s2, s0
	v_cndmask_b32_e32 v8, v2, v1, vcc_lo
	v_cndmask_b32_e32 v1, v10, v6, vcc_lo
	v_perm_b32 v6, v1, v3, 0x5040100
.LBB66_19:
	s_or_b32 exec_lo, exec_lo, s4
	s_lshl_b64 s[0:1], s[14:15], 3
	v_or_b32_e32 v7, 0x200, v0
	s_add_u32 s2, s8, s0
	s_addc_u32 s4, s9, s1
	s_lshl_b64 s[14:15], s[18:19], 3
	v_cmp_gt_u32_e64 s1, s17, v0
	v_cmp_le_u32_e64 s0, s17, v0
	s_add_u32 s8, s8, s14
	s_mov_b32 s5, 0
	s_addc_u32 s9, s9, s15
	s_and_not1_b32 vcc_lo, exec_lo, s23
	s_barrier
	buffer_gl0_inv
	s_cbranch_vccnz .LBB66_21
; %bb.20:
	v_subrev_nc_u32_e32 v1, s17, v0
	v_mov_b32_e32 v2, 0
	v_lshlrev_b32_e32 v12, 3, v0
	s_delay_alu instid0(VALU_DEP_2) | instskip(NEXT) | instid1(VALU_DEP_2)
	v_lshlrev_b64 v[3:4], 3, v[1:2]
	v_add_co_u32 v13, s5, s2, v12
	s_delay_alu instid0(VALU_DEP_1) | instskip(SKIP_1) | instid1(VALU_DEP_3)
	v_add_co_ci_u32_e64 v14, null, s4, 0, s5
	s_mov_b32 s5, -1
	v_add_co_u32 v1, vcc_lo, s8, v3
	s_delay_alu instid0(VALU_DEP_4) | instskip(NEXT) | instid1(VALU_DEP_1)
	v_add_co_ci_u32_e32 v3, vcc_lo, s9, v4, vcc_lo
	v_cndmask_b32_e64 v4, v3, v14, s1
	s_delay_alu instid0(VALU_DEP_3)
	v_cndmask_b32_e64 v3, v1, v13, s1
	v_subrev_nc_u32_e32 v1, s17, v7
	global_load_b64 v[10:11], v[3:4], off
	v_lshlrev_b64 v[1:2], 3, v[1:2]
	v_add_co_u32 v3, vcc_lo, 0x1000, v13
	v_add_co_ci_u32_e32 v4, vcc_lo, 0, v14, vcc_lo
	s_delay_alu instid0(VALU_DEP_3) | instskip(NEXT) | instid1(VALU_DEP_4)
	v_add_co_u32 v1, vcc_lo, s8, v1
	v_add_co_ci_u32_e32 v2, vcc_lo, s9, v2, vcc_lo
	v_cmp_gt_u32_e32 vcc_lo, s17, v7
	s_delay_alu instid0(VALU_DEP_2)
	v_dual_cndmask_b32 v1, v1, v3 :: v_dual_cndmask_b32 v2, v2, v4
	v_or_b32_e32 v4, 0x1000, v12
	s_waitcnt vmcnt(0)
	ds_store_b64 v12, v[10:11]
	s_cbranch_execz .LBB66_22
	s_branch .LBB66_33
.LBB66_21:
                                        ; implicit-def: $vgpr4
                                        ; implicit-def: $vgpr1_vgpr2
.LBB66_22:
	s_mov_b32 s1, 0
                                        ; implicit-def: $vgpr1_vgpr2
	s_and_saveexec_b32 s13, s0
	s_delay_alu instid0(SALU_CYCLE_1)
	s_xor_b32 s0, exec_lo, s13
	s_cbranch_execnz .LBB66_54
; %bb.23:
	s_and_not1_saveexec_b32 s0, s0
	s_cbranch_execnz .LBB66_57
.LBB66_24:
	s_or_b32 exec_lo, exec_lo, s0
	s_and_saveexec_b32 s0, s1
	s_cbranch_execz .LBB66_26
.LBB66_25:
	global_load_b64 v[1:2], v[1:2], off
	v_mad_u32_u24 v3, v0, 6, v5
	s_waitcnt vmcnt(0)
	ds_store_b64 v3, v[1:2]
.LBB66_26:
	s_or_b32 exec_lo, exec_lo, s0
	s_delay_alu instid0(SALU_CYCLE_1)
	s_mov_b32 s0, exec_lo
                                        ; implicit-def: $vgpr4
                                        ; implicit-def: $vgpr1_vgpr2
	v_cmpx_le_u32_e64 s17, v7
	s_xor_b32 s0, exec_lo, s0
	s_cbranch_execz .LBB66_30
; %bb.27:
	v_subrev_nc_u32_e32 v3, s17, v7
	s_mov_b32 s13, s5
	s_mov_b32 s1, exec_lo
                                        ; implicit-def: $vgpr4
                                        ; implicit-def: $vgpr1_vgpr2
	s_delay_alu instid0(VALU_DEP_1)
	v_cmpx_gt_u32_e64 s24, v3
; %bb.28:
	v_mov_b32_e32 v4, 0
	v_mul_u32_u24_e32 v10, 6, v0
	s_or_b32 s13, s5, exec_lo
	s_delay_alu instid0(VALU_DEP_2) | instskip(NEXT) | instid1(VALU_DEP_2)
	v_lshlrev_b64 v[1:2], 3, v[3:4]
	v_add3_u32 v4, v5, v10, 0x1000
	s_delay_alu instid0(VALU_DEP_2) | instskip(NEXT) | instid1(VALU_DEP_3)
	v_add_co_u32 v1, vcc_lo, s8, v1
	v_add_co_ci_u32_e32 v2, vcc_lo, s9, v2, vcc_lo
; %bb.29:
	s_or_b32 exec_lo, exec_lo, s1
	s_delay_alu instid0(SALU_CYCLE_1) | instskip(SKIP_1) | instid1(SALU_CYCLE_1)
	s_and_not1_b32 s1, s5, exec_lo
	s_and_b32 s5, s13, exec_lo
	s_or_b32 s5, s1, s5
.LBB66_30:
	s_and_not1_saveexec_b32 s0, s0
; %bb.31:
	v_lshlrev_b32_e32 v1, 3, v7
	v_mul_u32_u24_e32 v3, 6, v0
	s_or_b32 s5, s5, exec_lo
	s_delay_alu instid0(VALU_DEP_2) | instskip(NEXT) | instid1(VALU_DEP_1)
	v_add_co_u32 v1, s1, s2, v1
	v_add_co_ci_u32_e64 v2, null, s4, 0, s1
	s_delay_alu instid0(VALU_DEP_3)
	v_add3_u32 v4, v5, v3, 0x1000
; %bb.32:
	s_or_b32 exec_lo, exec_lo, s0
.LBB66_33:
	s_and_saveexec_b32 s0, s5
	s_cbranch_execz .LBB66_35
; %bb.34:
	global_load_b64 v[1:2], v[1:2], off
	s_waitcnt vmcnt(0)
	ds_store_b64 v4, v[1:2]
.LBB66_35:
	s_or_b32 exec_lo, exec_lo, s0
	v_add_nc_u32_e32 v1, s12, v5
	s_and_not1_b32 vcc_lo, exec_lo, s23
	s_waitcnt lgkmcnt(0)
	s_barrier
	buffer_gl0_inv
	s_cbranch_vccnz .LBB66_37
; %bb.36:
	v_lshlrev_b32_e32 v2, 3, v9
	s_mov_b32 s0, -1
	ds_load_b64 v[3:4], v2
	v_mov_b32_e32 v2, 0
	s_delay_alu instid0(VALU_DEP_1) | instskip(NEXT) | instid1(VALU_DEP_1)
	v_lshlrev_b64 v[10:11], 3, v[1:2]
	v_add_co_u32 v10, vcc_lo, s10, v10
	s_delay_alu instid0(VALU_DEP_2)
	v_add_co_ci_u32_e32 v11, vcc_lo, s11, v11, vcc_lo
	s_waitcnt lgkmcnt(0)
	global_store_b64 v[10:11], v[3:4], off
	s_cbranch_execz .LBB66_38
	s_branch .LBB66_43
.LBB66_37:
	s_mov_b32 s0, 0
.LBB66_38:
	s_mov_b32 s1, exec_lo
	v_cmpx_gt_u32_e64 s3, v5
	s_cbranch_execz .LBB66_40
; %bb.39:
	v_lshlrev_b32_e32 v2, 3, v9
	ds_load_b64 v[3:4], v2
	v_mov_b32_e32 v2, 0
	s_delay_alu instid0(VALU_DEP_1) | instskip(NEXT) | instid1(VALU_DEP_1)
	v_lshlrev_b64 v[9:10], 3, v[1:2]
	v_add_co_u32 v9, vcc_lo, s10, v9
	s_delay_alu instid0(VALU_DEP_2)
	v_add_co_ci_u32_e32 v10, vcc_lo, s11, v10, vcc_lo
	s_waitcnt lgkmcnt(0)
	global_store_b64 v[9:10], v[3:4], off
.LBB66_40:
	s_or_b32 exec_lo, exec_lo, s1
	v_or_b32_e32 v2, 1, v5
	s_mov_b32 s1, exec_lo
	s_delay_alu instid0(VALU_DEP_1)
	v_cmpx_gt_u32_e64 s3, v2
; %bb.41:
	v_mov_b32_e32 v2, 0
	s_or_b32 s0, s0, exec_lo
; %bb.42:
	s_or_b32 exec_lo, exec_lo, s1
.LBB66_43:
	s_and_saveexec_b32 s1, s0
	s_cbranch_execz .LBB66_45
; %bb.44:
	v_lshlrev_b32_e32 v3, 3, v8
	v_lshlrev_b64 v[1:2], 3, v[1:2]
	ds_load_b64 v[3:4], v3
	v_add_co_u32 v1, vcc_lo, s10, v1
	v_add_co_ci_u32_e32 v2, vcc_lo, s11, v2, vcc_lo
	s_waitcnt lgkmcnt(0)
	global_store_b64 v[1:2], v[3:4], off offset:8
.LBB66_45:
	s_or_b32 exec_lo, exec_lo, s1
	v_lshrrev_b32_e32 v1, 3, v0
	v_lshrrev_b32_e32 v2, 4, v0
	;; [unrolled: 1-line block ×3, first 2 shown]
	s_mov_b32 s13, 0
	s_waitcnt_vscnt null, 0x0
	v_and_b32_e32 v1, 60, v1
	s_lshl_b64 s[0:1], s[12:13], 1
	v_and_b32_e32 v2, 28, v2
	v_and_b32_e32 v4, 60, v3
	s_add_u32 s0, s6, s0
	v_lshl_add_u32 v1, v5, 1, v1
	s_barrier
	buffer_gl0_inv
	s_barrier
	buffer_gl0_inv
	s_addc_u32 s1, s7, s1
	ds_store_b32 v1, v6
	v_add_co_u32 v1, s0, s0, v5
	v_add_nc_u32_e32 v3, v5, v2
	v_add_nc_u32_e32 v6, v5, v4
	v_add_co_ci_u32_e64 v2, null, s1, 0, s0
	s_and_b32 vcc_lo, exec_lo, s23
	s_waitcnt lgkmcnt(0)
	s_cbranch_vccz .LBB66_47
; %bb.46:
	s_barrier
	buffer_gl0_inv
	ds_load_u16 v5, v3
	ds_load_u16 v4, v6 offset:1024
	s_mov_b32 s13, -1
	s_waitcnt lgkmcnt(1)
	global_store_b16 v[1:2], v5, off
	s_cbranch_execz .LBB66_48
	s_branch .LBB66_51
.LBB66_47:
                                        ; implicit-def: $vgpr4
.LBB66_48:
	s_waitcnt lgkmcnt(0)
	s_waitcnt_vscnt null, 0x0
	s_barrier
	buffer_gl0_inv
	ds_load_u16 v4, v6 offset:1024
	s_sub_i32 s0, s16, s12
	s_mov_b32 s1, exec_lo
	v_cmpx_gt_u32_e64 s0, v0
	s_cbranch_execz .LBB66_50
; %bb.49:
	ds_load_u16 v0, v3
	s_waitcnt lgkmcnt(0)
	global_store_b16 v[1:2], v0, off
.LBB66_50:
	s_or_b32 exec_lo, exec_lo, s1
	v_cmp_gt_u32_e64 s13, s0, v7
.LBB66_51:
	s_delay_alu instid0(VALU_DEP_1)
	s_and_saveexec_b32 s0, s13
	s_cbranch_execz .LBB66_53
; %bb.52:
	s_waitcnt lgkmcnt(0)
	global_store_b16 v[1:2], v4, off offset:1024
.LBB66_53:
	s_nop 0
	s_sendmsg sendmsg(MSG_DEALLOC_VGPRS)
	s_endpgm
.LBB66_54:
	v_subrev_nc_u32_e32 v3, s17, v0
	s_mov_b32 s13, exec_lo
                                        ; implicit-def: $vgpr1_vgpr2
	s_delay_alu instid0(VALU_DEP_1)
	v_cmpx_gt_u32_e64 s24, v3
	s_xor_b32 s13, exec_lo, s13
; %bb.55:
	v_mov_b32_e32 v4, 0
	s_mov_b32 s1, exec_lo
	s_delay_alu instid0(VALU_DEP_1) | instskip(NEXT) | instid1(VALU_DEP_1)
	v_lshlrev_b64 v[1:2], 3, v[3:4]
	v_add_co_u32 v1, vcc_lo, s8, v1
	s_delay_alu instid0(VALU_DEP_2)
	v_add_co_ci_u32_e32 v2, vcc_lo, s9, v2, vcc_lo
; %bb.56:
	s_or_b32 exec_lo, exec_lo, s13
	s_delay_alu instid0(SALU_CYCLE_1)
	s_and_b32 s1, s1, exec_lo
	s_and_not1_saveexec_b32 s0, s0
	s_cbranch_execz .LBB66_24
.LBB66_57:
	v_lshlrev_b32_e32 v1, 3, v0
	s_or_b32 s1, s1, exec_lo
	s_delay_alu instid0(VALU_DEP_1) | instskip(NEXT) | instid1(VALU_DEP_1)
	v_add_co_u32 v1, s13, s2, v1
	v_add_co_ci_u32_e64 v2, null, s4, 0, s13
	s_or_b32 exec_lo, exec_lo, s0
	s_and_saveexec_b32 s0, s1
	s_cbranch_execnz .LBB66_25
	s_branch .LBB66_26
	.section	.rodata,"a",@progbits
	.p2align	6, 0x0
	.amdhsa_kernel _ZN7rocprim17ROCPRIM_304000_NS6detail35device_block_merge_mergepath_kernelINS1_37wrapped_merge_sort_block_merge_configINS0_14default_configEsN2at4cuda3cub6detail10OpaqueTypeILi8EEEEEPsSC_PSA_SD_jNS1_19radix_merge_compareILb0ELb0EsNS0_19identity_decomposerEEEEEvT0_T1_T2_T3_T4_SL_jT5_PKSL_NS1_7vsmem_tE
		.amdhsa_group_segment_fixed_size 8208
		.amdhsa_private_segment_fixed_size 0
		.amdhsa_kernarg_size 320
		.amdhsa_user_sgpr_count 13
		.amdhsa_user_sgpr_dispatch_ptr 0
		.amdhsa_user_sgpr_queue_ptr 0
		.amdhsa_user_sgpr_kernarg_segment_ptr 1
		.amdhsa_user_sgpr_dispatch_id 0
		.amdhsa_user_sgpr_private_segment_size 0
		.amdhsa_wavefront_size32 1
		.amdhsa_uses_dynamic_stack 0
		.amdhsa_enable_private_segment 0
		.amdhsa_system_sgpr_workgroup_id_x 1
		.amdhsa_system_sgpr_workgroup_id_y 1
		.amdhsa_system_sgpr_workgroup_id_z 1
		.amdhsa_system_sgpr_workgroup_info 0
		.amdhsa_system_vgpr_workitem_id 0
		.amdhsa_next_free_vgpr 15
		.amdhsa_next_free_sgpr 30
		.amdhsa_reserve_vcc 1
		.amdhsa_float_round_mode_32 0
		.amdhsa_float_round_mode_16_64 0
		.amdhsa_float_denorm_mode_32 3
		.amdhsa_float_denorm_mode_16_64 3
		.amdhsa_dx10_clamp 1
		.amdhsa_ieee_mode 1
		.amdhsa_fp16_overflow 0
		.amdhsa_workgroup_processor_mode 1
		.amdhsa_memory_ordered 1
		.amdhsa_forward_progress 0
		.amdhsa_shared_vgpr_count 0
		.amdhsa_exception_fp_ieee_invalid_op 0
		.amdhsa_exception_fp_denorm_src 0
		.amdhsa_exception_fp_ieee_div_zero 0
		.amdhsa_exception_fp_ieee_overflow 0
		.amdhsa_exception_fp_ieee_underflow 0
		.amdhsa_exception_fp_ieee_inexact 0
		.amdhsa_exception_int_div_zero 0
	.end_amdhsa_kernel
	.section	.text._ZN7rocprim17ROCPRIM_304000_NS6detail35device_block_merge_mergepath_kernelINS1_37wrapped_merge_sort_block_merge_configINS0_14default_configEsN2at4cuda3cub6detail10OpaqueTypeILi8EEEEEPsSC_PSA_SD_jNS1_19radix_merge_compareILb0ELb0EsNS0_19identity_decomposerEEEEEvT0_T1_T2_T3_T4_SL_jT5_PKSL_NS1_7vsmem_tE,"axG",@progbits,_ZN7rocprim17ROCPRIM_304000_NS6detail35device_block_merge_mergepath_kernelINS1_37wrapped_merge_sort_block_merge_configINS0_14default_configEsN2at4cuda3cub6detail10OpaqueTypeILi8EEEEEPsSC_PSA_SD_jNS1_19radix_merge_compareILb0ELb0EsNS0_19identity_decomposerEEEEEvT0_T1_T2_T3_T4_SL_jT5_PKSL_NS1_7vsmem_tE,comdat
.Lfunc_end66:
	.size	_ZN7rocprim17ROCPRIM_304000_NS6detail35device_block_merge_mergepath_kernelINS1_37wrapped_merge_sort_block_merge_configINS0_14default_configEsN2at4cuda3cub6detail10OpaqueTypeILi8EEEEEPsSC_PSA_SD_jNS1_19radix_merge_compareILb0ELb0EsNS0_19identity_decomposerEEEEEvT0_T1_T2_T3_T4_SL_jT5_PKSL_NS1_7vsmem_tE, .Lfunc_end66-_ZN7rocprim17ROCPRIM_304000_NS6detail35device_block_merge_mergepath_kernelINS1_37wrapped_merge_sort_block_merge_configINS0_14default_configEsN2at4cuda3cub6detail10OpaqueTypeILi8EEEEEPsSC_PSA_SD_jNS1_19radix_merge_compareILb0ELb0EsNS0_19identity_decomposerEEEEEvT0_T1_T2_T3_T4_SL_jT5_PKSL_NS1_7vsmem_tE
                                        ; -- End function
	.section	.AMDGPU.csdata,"",@progbits
; Kernel info:
; codeLenInByte = 2428
; NumSgprs: 32
; NumVgprs: 15
; ScratchSize: 0
; MemoryBound: 1
; FloatMode: 240
; IeeeMode: 1
; LDSByteSize: 8208 bytes/workgroup (compile time only)
; SGPRBlocks: 3
; VGPRBlocks: 1
; NumSGPRsForWavesPerEU: 32
; NumVGPRsForWavesPerEU: 15
; Occupancy: 16
; WaveLimiterHint : 1
; COMPUTE_PGM_RSRC2:SCRATCH_EN: 0
; COMPUTE_PGM_RSRC2:USER_SGPR: 13
; COMPUTE_PGM_RSRC2:TRAP_HANDLER: 0
; COMPUTE_PGM_RSRC2:TGID_X_EN: 1
; COMPUTE_PGM_RSRC2:TGID_Y_EN: 1
; COMPUTE_PGM_RSRC2:TGID_Z_EN: 1
; COMPUTE_PGM_RSRC2:TIDIG_COMP_CNT: 0
	.section	.text._ZN7rocprim17ROCPRIM_304000_NS6detail33device_block_merge_oddeven_kernelINS1_37wrapped_merge_sort_block_merge_configINS0_14default_configEsN2at4cuda3cub6detail10OpaqueTypeILi8EEEEEPsSC_PSA_SD_jNS1_19radix_merge_compareILb0ELb0EsNS0_19identity_decomposerEEEEEvT0_T1_T2_T3_T4_SL_T5_,"axG",@progbits,_ZN7rocprim17ROCPRIM_304000_NS6detail33device_block_merge_oddeven_kernelINS1_37wrapped_merge_sort_block_merge_configINS0_14default_configEsN2at4cuda3cub6detail10OpaqueTypeILi8EEEEEPsSC_PSA_SD_jNS1_19radix_merge_compareILb0ELb0EsNS0_19identity_decomposerEEEEEvT0_T1_T2_T3_T4_SL_T5_,comdat
	.protected	_ZN7rocprim17ROCPRIM_304000_NS6detail33device_block_merge_oddeven_kernelINS1_37wrapped_merge_sort_block_merge_configINS0_14default_configEsN2at4cuda3cub6detail10OpaqueTypeILi8EEEEEPsSC_PSA_SD_jNS1_19radix_merge_compareILb0ELb0EsNS0_19identity_decomposerEEEEEvT0_T1_T2_T3_T4_SL_T5_ ; -- Begin function _ZN7rocprim17ROCPRIM_304000_NS6detail33device_block_merge_oddeven_kernelINS1_37wrapped_merge_sort_block_merge_configINS0_14default_configEsN2at4cuda3cub6detail10OpaqueTypeILi8EEEEEPsSC_PSA_SD_jNS1_19radix_merge_compareILb0ELb0EsNS0_19identity_decomposerEEEEEvT0_T1_T2_T3_T4_SL_T5_
	.globl	_ZN7rocprim17ROCPRIM_304000_NS6detail33device_block_merge_oddeven_kernelINS1_37wrapped_merge_sort_block_merge_configINS0_14default_configEsN2at4cuda3cub6detail10OpaqueTypeILi8EEEEEPsSC_PSA_SD_jNS1_19radix_merge_compareILb0ELb0EsNS0_19identity_decomposerEEEEEvT0_T1_T2_T3_T4_SL_T5_
	.p2align	8
	.type	_ZN7rocprim17ROCPRIM_304000_NS6detail33device_block_merge_oddeven_kernelINS1_37wrapped_merge_sort_block_merge_configINS0_14default_configEsN2at4cuda3cub6detail10OpaqueTypeILi8EEEEEPsSC_PSA_SD_jNS1_19radix_merge_compareILb0ELb0EsNS0_19identity_decomposerEEEEEvT0_T1_T2_T3_T4_SL_T5_,@function
_ZN7rocprim17ROCPRIM_304000_NS6detail33device_block_merge_oddeven_kernelINS1_37wrapped_merge_sort_block_merge_configINS0_14default_configEsN2at4cuda3cub6detail10OpaqueTypeILi8EEEEEPsSC_PSA_SD_jNS1_19radix_merge_compareILb0ELb0EsNS0_19identity_decomposerEEEEEvT0_T1_T2_T3_T4_SL_T5_: ; @_ZN7rocprim17ROCPRIM_304000_NS6detail33device_block_merge_oddeven_kernelINS1_37wrapped_merge_sort_block_merge_configINS0_14default_configEsN2at4cuda3cub6detail10OpaqueTypeILi8EEEEEPsSC_PSA_SD_jNS1_19radix_merge_compareILb0ELb0EsNS0_19identity_decomposerEEEEEvT0_T1_T2_T3_T4_SL_T5_
; %bb.0:
	s_load_b64 s[16:17], s[0:1], 0x20
	s_waitcnt lgkmcnt(0)
	s_lshr_b32 s2, s16, 8
	s_delay_alu instid0(SALU_CYCLE_1) | instskip(SKIP_4) | instid1(SALU_CYCLE_1)
	s_cmp_lg_u32 s15, s2
	s_cselect_b32 s4, -1, 0
	s_cmp_eq_u32 s15, s2
	s_cselect_b32 s3, -1, 0
	s_lshl_b32 s12, s15, 8
	s_sub_i32 s2, s16, s12
	s_delay_alu instid0(SALU_CYCLE_1) | instskip(NEXT) | instid1(VALU_DEP_1)
	v_cmp_gt_u32_e64 s2, s2, v0
	s_or_b32 s4, s4, s2
	s_delay_alu instid0(SALU_CYCLE_1)
	s_and_saveexec_b32 s5, s4
	s_cbranch_execz .LBB67_26
; %bb.1:
	s_load_b256 s[4:11], s[0:1], 0x0
	s_mov_b32 s13, 0
	v_lshlrev_b32_e32 v1, 3, v0
	s_lshl_b64 s[0:1], s[12:13], 1
	v_lshlrev_b32_e32 v3, 1, v0
	v_add_nc_u32_e32 v5, s12, v0
	s_waitcnt lgkmcnt(0)
	s_add_u32 s0, s4, s0
	s_addc_u32 s1, s5, s1
	s_lshl_b64 s[18:19], s[12:13], 3
	s_delay_alu instid0(SALU_CYCLE_1) | instskip(SKIP_4) | instid1(SALU_CYCLE_1)
	s_add_u32 s8, s8, s18
	s_addc_u32 s9, s9, s19
	global_load_b64 v[1:2], v1, s[8:9]
	global_load_u16 v7, v3, s[0:1]
	s_lshr_b32 s0, s17, 8
	s_sub_i32 s1, 0, s0
	s_delay_alu instid0(SALU_CYCLE_1) | instskip(NEXT) | instid1(SALU_CYCLE_1)
	s_and_b32 s1, s15, s1
	s_and_b32 s0, s1, s0
	s_lshl_b32 s9, s1, 8
	s_sub_i32 s1, 0, s17
	s_cmp_eq_u32 s0, 0
	s_cselect_b32 s0, -1, 0
	s_delay_alu instid0(SALU_CYCLE_1) | instskip(SKIP_1) | instid1(SALU_CYCLE_1)
	s_and_b32 s8, s0, exec_lo
	s_cselect_b32 s1, s17, s1
	s_add_i32 s1, s1, s9
	s_delay_alu instid0(SALU_CYCLE_1)
	s_cmp_lt_u32 s1, s16
	s_cbranch_scc1 .LBB67_6
; %bb.2:
	s_and_b32 vcc_lo, exec_lo, s3
	s_cbranch_vccz .LBB67_7
; %bb.3:
	s_mov_b32 s8, 0
	s_mov_b32 s12, exec_lo
                                        ; implicit-def: $vgpr3_vgpr4
	v_cmpx_gt_u32_e64 s16, v5
	s_cbranch_execz .LBB67_5
; %bb.4:
	v_mov_b32_e32 v6, 0
	s_mov_b32 s13, exec_lo
	s_delay_alu instid0(VALU_DEP_1) | instskip(SKIP_1) | instid1(VALU_DEP_2)
	v_lshlrev_b64 v[3:4], 1, v[5:6]
	v_lshlrev_b64 v[8:9], 3, v[5:6]
	v_add_co_u32 v10, vcc_lo, s6, v3
	s_delay_alu instid0(VALU_DEP_3) | instskip(NEXT) | instid1(VALU_DEP_3)
	v_add_co_ci_u32_e32 v11, vcc_lo, s7, v4, vcc_lo
	v_add_co_u32 v3, vcc_lo, s10, v8
	s_delay_alu instid0(VALU_DEP_4)
	v_add_co_ci_u32_e32 v4, vcc_lo, s11, v9, vcc_lo
	s_waitcnt vmcnt(0)
	global_store_b16 v[10:11], v7, off
.LBB67_5:
	s_or_b32 exec_lo, exec_lo, s12
	s_delay_alu instid0(SALU_CYCLE_1)
	s_and_b32 vcc_lo, exec_lo, s8
	s_cbranch_vccnz .LBB67_8
	s_branch .LBB67_9
.LBB67_6:
                                        ; implicit-def: $vgpr3_vgpr4
	s_cbranch_execnz .LBB67_10
	s_branch .LBB67_24
.LBB67_7:
                                        ; implicit-def: $vgpr3_vgpr4
	s_cbranch_execz .LBB67_9
.LBB67_8:
	v_mov_b32_e32 v6, 0
	s_or_b32 s13, s13, exec_lo
	s_delay_alu instid0(VALU_DEP_1) | instskip(SKIP_1) | instid1(VALU_DEP_2)
	v_lshlrev_b64 v[3:4], 1, v[5:6]
	v_lshlrev_b64 v[8:9], 3, v[5:6]
	v_add_co_u32 v10, vcc_lo, s6, v3
	s_delay_alu instid0(VALU_DEP_3) | instskip(NEXT) | instid1(VALU_DEP_3)
	v_add_co_ci_u32_e32 v11, vcc_lo, s7, v4, vcc_lo
	v_add_co_u32 v3, vcc_lo, s10, v8
	s_delay_alu instid0(VALU_DEP_4)
	v_add_co_ci_u32_e32 v4, vcc_lo, s11, v9, vcc_lo
	s_waitcnt vmcnt(0)
	global_store_b16 v[10:11], v7, off
.LBB67_9:
	s_branch .LBB67_24
.LBB67_10:
	s_min_u32 s8, s1, s16
	s_and_b32 vcc_lo, exec_lo, s3
	s_add_i32 s12, s9, s8
	s_min_u32 s9, s9, s8
	v_subrev_nc_u32_e32 v0, s12, v5
	s_add_i32 s12, s8, s17
	s_delay_alu instid0(SALU_CYCLE_1) | instskip(NEXT) | instid1(VALU_DEP_1)
	s_min_u32 s3, s12, s16
	v_add_nc_u32_e32 v0, s9, v0
	s_cbranch_vccz .LBB67_18
; %bb.11:
                                        ; implicit-def: $vgpr3_vgpr4
	s_and_saveexec_b32 s9, s2
	s_cbranch_execz .LBB67_17
; %bb.12:
	v_mov_b32_e32 v3, s8
	s_cmp_ge_u32 s1, s3
	s_cbranch_scc1 .LBB67_16
; %bb.13:
	v_dual_mov_b32 v4, s3 :: v_dual_mov_b32 v3, s8
	s_mov_b32 s2, 0
	.p2align	6
.LBB67_14:                              ; =>This Inner Loop Header: Depth=1
	s_delay_alu instid0(VALU_DEP_1) | instskip(NEXT) | instid1(VALU_DEP_1)
	v_add_nc_u32_e32 v5, v3, v4
	v_and_b32_e32 v6, -2, v5
	v_lshrrev_b32_e32 v5, 1, v5
	global_load_u16 v6, v6, s[4:5]
	s_waitcnt vmcnt(0)
	v_cmp_gt_i16_e32 vcc_lo, v7, v6
	v_cndmask_b32_e64 v8, 0, 1, vcc_lo
	v_cmp_le_i16_e32 vcc_lo, v6, v7
	v_cndmask_b32_e64 v6, 0, 1, vcc_lo
	s_delay_alu instid0(VALU_DEP_1) | instskip(SKIP_1) | instid1(VALU_DEP_2)
	v_cndmask_b32_e64 v6, v6, v8, s0
	v_add_nc_u32_e32 v8, 1, v5
	v_and_b32_e32 v6, 1, v6
	s_delay_alu instid0(VALU_DEP_1) | instskip(NEXT) | instid1(VALU_DEP_3)
	v_cmp_eq_u32_e32 vcc_lo, 1, v6
	v_cndmask_b32_e32 v3, v3, v8, vcc_lo
	v_cndmask_b32_e32 v4, v5, v4, vcc_lo
	s_delay_alu instid0(VALU_DEP_1) | instskip(SKIP_1) | instid1(SALU_CYCLE_1)
	v_cmp_ge_u32_e32 vcc_lo, v3, v4
	s_or_b32 s2, vcc_lo, s2
	s_and_not1_b32 exec_lo, exec_lo, s2
	s_cbranch_execnz .LBB67_14
; %bb.15:
	s_or_b32 exec_lo, exec_lo, s2
.LBB67_16:
	s_delay_alu instid0(VALU_DEP_1) | instskip(SKIP_1) | instid1(VALU_DEP_1)
	v_dual_mov_b32 v4, 0 :: v_dual_add_nc_u32 v3, v3, v0
	s_or_b32 s13, s13, exec_lo
	v_lshlrev_b64 v[5:6], 1, v[3:4]
	v_lshlrev_b64 v[3:4], 3, v[3:4]
	s_delay_alu instid0(VALU_DEP_2) | instskip(NEXT) | instid1(VALU_DEP_3)
	v_add_co_u32 v5, vcc_lo, s6, v5
	v_add_co_ci_u32_e32 v6, vcc_lo, s7, v6, vcc_lo
	s_delay_alu instid0(VALU_DEP_3) | instskip(NEXT) | instid1(VALU_DEP_4)
	v_add_co_u32 v3, vcc_lo, s10, v3
	v_add_co_ci_u32_e32 v4, vcc_lo, s11, v4, vcc_lo
	s_waitcnt vmcnt(0)
	global_store_b16 v[5:6], v7, off
.LBB67_17:
	s_or_b32 exec_lo, exec_lo, s9
	s_branch .LBB67_24
.LBB67_18:
                                        ; implicit-def: $vgpr3_vgpr4
	s_cbranch_execz .LBB67_24
; %bb.19:
	v_mov_b32_e32 v3, s8
	s_cmp_ge_u32 s1, s3
	s_cbranch_scc1 .LBB67_23
; %bb.20:
	v_dual_mov_b32 v4, s3 :: v_dual_mov_b32 v3, s8
	s_mov_b32 s1, 0
	.p2align	6
.LBB67_21:                              ; =>This Inner Loop Header: Depth=1
	s_delay_alu instid0(VALU_DEP_1) | instskip(NEXT) | instid1(VALU_DEP_1)
	v_add_nc_u32_e32 v5, v3, v4
	v_and_b32_e32 v6, -2, v5
	v_lshrrev_b32_e32 v5, 1, v5
	global_load_u16 v6, v6, s[4:5]
	s_waitcnt vmcnt(0)
	v_cmp_gt_i16_e32 vcc_lo, v7, v6
	v_cndmask_b32_e64 v8, 0, 1, vcc_lo
	v_cmp_le_i16_e32 vcc_lo, v6, v7
	v_cndmask_b32_e64 v6, 0, 1, vcc_lo
	s_delay_alu instid0(VALU_DEP_1) | instskip(SKIP_1) | instid1(VALU_DEP_2)
	v_cndmask_b32_e64 v6, v6, v8, s0
	v_add_nc_u32_e32 v8, 1, v5
	v_and_b32_e32 v6, 1, v6
	s_delay_alu instid0(VALU_DEP_1) | instskip(NEXT) | instid1(VALU_DEP_3)
	v_cmp_eq_u32_e32 vcc_lo, 1, v6
	v_cndmask_b32_e32 v3, v3, v8, vcc_lo
	v_cndmask_b32_e32 v4, v5, v4, vcc_lo
	s_delay_alu instid0(VALU_DEP_1) | instskip(SKIP_1) | instid1(SALU_CYCLE_1)
	v_cmp_ge_u32_e32 vcc_lo, v3, v4
	s_or_b32 s1, vcc_lo, s1
	s_and_not1_b32 exec_lo, exec_lo, s1
	s_cbranch_execnz .LBB67_21
; %bb.22:
	s_or_b32 exec_lo, exec_lo, s1
.LBB67_23:
	s_delay_alu instid0(VALU_DEP_1) | instskip(SKIP_1) | instid1(VALU_DEP_1)
	v_dual_mov_b32 v4, 0 :: v_dual_add_nc_u32 v3, v3, v0
	s_mov_b32 s13, -1
	v_lshlrev_b64 v[5:6], 1, v[3:4]
	v_lshlrev_b64 v[3:4], 3, v[3:4]
	s_delay_alu instid0(VALU_DEP_2) | instskip(NEXT) | instid1(VALU_DEP_3)
	v_add_co_u32 v5, vcc_lo, s6, v5
	v_add_co_ci_u32_e32 v6, vcc_lo, s7, v6, vcc_lo
	s_delay_alu instid0(VALU_DEP_3) | instskip(NEXT) | instid1(VALU_DEP_4)
	v_add_co_u32 v3, vcc_lo, s10, v3
	v_add_co_ci_u32_e32 v4, vcc_lo, s11, v4, vcc_lo
	s_waitcnt vmcnt(0)
	global_store_b16 v[5:6], v7, off
.LBB67_24:
	s_and_b32 exec_lo, exec_lo, s13
	s_cbranch_execz .LBB67_26
; %bb.25:
	s_waitcnt vmcnt(1)
	global_store_b64 v[3:4], v[1:2], off
.LBB67_26:
	s_nop 0
	s_sendmsg sendmsg(MSG_DEALLOC_VGPRS)
	s_endpgm
	.section	.rodata,"a",@progbits
	.p2align	6, 0x0
	.amdhsa_kernel _ZN7rocprim17ROCPRIM_304000_NS6detail33device_block_merge_oddeven_kernelINS1_37wrapped_merge_sort_block_merge_configINS0_14default_configEsN2at4cuda3cub6detail10OpaqueTypeILi8EEEEEPsSC_PSA_SD_jNS1_19radix_merge_compareILb0ELb0EsNS0_19identity_decomposerEEEEEvT0_T1_T2_T3_T4_SL_T5_
		.amdhsa_group_segment_fixed_size 0
		.amdhsa_private_segment_fixed_size 0
		.amdhsa_kernarg_size 44
		.amdhsa_user_sgpr_count 15
		.amdhsa_user_sgpr_dispatch_ptr 0
		.amdhsa_user_sgpr_queue_ptr 0
		.amdhsa_user_sgpr_kernarg_segment_ptr 1
		.amdhsa_user_sgpr_dispatch_id 0
		.amdhsa_user_sgpr_private_segment_size 0
		.amdhsa_wavefront_size32 1
		.amdhsa_uses_dynamic_stack 0
		.amdhsa_enable_private_segment 0
		.amdhsa_system_sgpr_workgroup_id_x 1
		.amdhsa_system_sgpr_workgroup_id_y 0
		.amdhsa_system_sgpr_workgroup_id_z 0
		.amdhsa_system_sgpr_workgroup_info 0
		.amdhsa_system_vgpr_workitem_id 0
		.amdhsa_next_free_vgpr 12
		.amdhsa_next_free_sgpr 20
		.amdhsa_reserve_vcc 1
		.amdhsa_float_round_mode_32 0
		.amdhsa_float_round_mode_16_64 0
		.amdhsa_float_denorm_mode_32 3
		.amdhsa_float_denorm_mode_16_64 3
		.amdhsa_dx10_clamp 1
		.amdhsa_ieee_mode 1
		.amdhsa_fp16_overflow 0
		.amdhsa_workgroup_processor_mode 1
		.amdhsa_memory_ordered 1
		.amdhsa_forward_progress 0
		.amdhsa_shared_vgpr_count 0
		.amdhsa_exception_fp_ieee_invalid_op 0
		.amdhsa_exception_fp_denorm_src 0
		.amdhsa_exception_fp_ieee_div_zero 0
		.amdhsa_exception_fp_ieee_overflow 0
		.amdhsa_exception_fp_ieee_underflow 0
		.amdhsa_exception_fp_ieee_inexact 0
		.amdhsa_exception_int_div_zero 0
	.end_amdhsa_kernel
	.section	.text._ZN7rocprim17ROCPRIM_304000_NS6detail33device_block_merge_oddeven_kernelINS1_37wrapped_merge_sort_block_merge_configINS0_14default_configEsN2at4cuda3cub6detail10OpaqueTypeILi8EEEEEPsSC_PSA_SD_jNS1_19radix_merge_compareILb0ELb0EsNS0_19identity_decomposerEEEEEvT0_T1_T2_T3_T4_SL_T5_,"axG",@progbits,_ZN7rocprim17ROCPRIM_304000_NS6detail33device_block_merge_oddeven_kernelINS1_37wrapped_merge_sort_block_merge_configINS0_14default_configEsN2at4cuda3cub6detail10OpaqueTypeILi8EEEEEPsSC_PSA_SD_jNS1_19radix_merge_compareILb0ELb0EsNS0_19identity_decomposerEEEEEvT0_T1_T2_T3_T4_SL_T5_,comdat
.Lfunc_end67:
	.size	_ZN7rocprim17ROCPRIM_304000_NS6detail33device_block_merge_oddeven_kernelINS1_37wrapped_merge_sort_block_merge_configINS0_14default_configEsN2at4cuda3cub6detail10OpaqueTypeILi8EEEEEPsSC_PSA_SD_jNS1_19radix_merge_compareILb0ELb0EsNS0_19identity_decomposerEEEEEvT0_T1_T2_T3_T4_SL_T5_, .Lfunc_end67-_ZN7rocprim17ROCPRIM_304000_NS6detail33device_block_merge_oddeven_kernelINS1_37wrapped_merge_sort_block_merge_configINS0_14default_configEsN2at4cuda3cub6detail10OpaqueTypeILi8EEEEEPsSC_PSA_SD_jNS1_19radix_merge_compareILb0ELb0EsNS0_19identity_decomposerEEEEEvT0_T1_T2_T3_T4_SL_T5_
                                        ; -- End function
	.section	.AMDGPU.csdata,"",@progbits
; Kernel info:
; codeLenInByte = 932
; NumSgprs: 22
; NumVgprs: 12
; ScratchSize: 0
; MemoryBound: 0
; FloatMode: 240
; IeeeMode: 1
; LDSByteSize: 0 bytes/workgroup (compile time only)
; SGPRBlocks: 2
; VGPRBlocks: 1
; NumSGPRsForWavesPerEU: 22
; NumVGPRsForWavesPerEU: 12
; Occupancy: 16
; WaveLimiterHint : 0
; COMPUTE_PGM_RSRC2:SCRATCH_EN: 0
; COMPUTE_PGM_RSRC2:USER_SGPR: 15
; COMPUTE_PGM_RSRC2:TRAP_HANDLER: 0
; COMPUTE_PGM_RSRC2:TGID_X_EN: 1
; COMPUTE_PGM_RSRC2:TGID_Y_EN: 0
; COMPUTE_PGM_RSRC2:TGID_Z_EN: 0
; COMPUTE_PGM_RSRC2:TIDIG_COMP_CNT: 0
	.section	.text._ZN7rocprim17ROCPRIM_304000_NS6detail45device_block_merge_mergepath_partition_kernelINS1_37wrapped_merge_sort_block_merge_configINS0_14default_configEsN2at4cuda3cub6detail10OpaqueTypeILi8EEEEEPsjNS1_19radix_merge_compareILb0ELb1EsNS0_19identity_decomposerEEEEEvT0_T1_jPSH_T2_SH_,"axG",@progbits,_ZN7rocprim17ROCPRIM_304000_NS6detail45device_block_merge_mergepath_partition_kernelINS1_37wrapped_merge_sort_block_merge_configINS0_14default_configEsN2at4cuda3cub6detail10OpaqueTypeILi8EEEEEPsjNS1_19radix_merge_compareILb0ELb1EsNS0_19identity_decomposerEEEEEvT0_T1_jPSH_T2_SH_,comdat
	.protected	_ZN7rocprim17ROCPRIM_304000_NS6detail45device_block_merge_mergepath_partition_kernelINS1_37wrapped_merge_sort_block_merge_configINS0_14default_configEsN2at4cuda3cub6detail10OpaqueTypeILi8EEEEEPsjNS1_19radix_merge_compareILb0ELb1EsNS0_19identity_decomposerEEEEEvT0_T1_jPSH_T2_SH_ ; -- Begin function _ZN7rocprim17ROCPRIM_304000_NS6detail45device_block_merge_mergepath_partition_kernelINS1_37wrapped_merge_sort_block_merge_configINS0_14default_configEsN2at4cuda3cub6detail10OpaqueTypeILi8EEEEEPsjNS1_19radix_merge_compareILb0ELb1EsNS0_19identity_decomposerEEEEEvT0_T1_jPSH_T2_SH_
	.globl	_ZN7rocprim17ROCPRIM_304000_NS6detail45device_block_merge_mergepath_partition_kernelINS1_37wrapped_merge_sort_block_merge_configINS0_14default_configEsN2at4cuda3cub6detail10OpaqueTypeILi8EEEEEPsjNS1_19radix_merge_compareILb0ELb1EsNS0_19identity_decomposerEEEEEvT0_T1_jPSH_T2_SH_
	.p2align	8
	.type	_ZN7rocprim17ROCPRIM_304000_NS6detail45device_block_merge_mergepath_partition_kernelINS1_37wrapped_merge_sort_block_merge_configINS0_14default_configEsN2at4cuda3cub6detail10OpaqueTypeILi8EEEEEPsjNS1_19radix_merge_compareILb0ELb1EsNS0_19identity_decomposerEEEEEvT0_T1_jPSH_T2_SH_,@function
_ZN7rocprim17ROCPRIM_304000_NS6detail45device_block_merge_mergepath_partition_kernelINS1_37wrapped_merge_sort_block_merge_configINS0_14default_configEsN2at4cuda3cub6detail10OpaqueTypeILi8EEEEEPsjNS1_19radix_merge_compareILb0ELb1EsNS0_19identity_decomposerEEEEEvT0_T1_jPSH_T2_SH_: ; @_ZN7rocprim17ROCPRIM_304000_NS6detail45device_block_merge_mergepath_partition_kernelINS1_37wrapped_merge_sort_block_merge_configINS0_14default_configEsN2at4cuda3cub6detail10OpaqueTypeILi8EEEEEPsjNS1_19radix_merge_compareILb0ELb1EsNS0_19identity_decomposerEEEEEvT0_T1_jPSH_T2_SH_
; %bb.0:
	s_load_b64 s[4:5], s[0:1], 0x8
	v_lshl_or_b32 v0, s15, 7, v0
	s_mov_b32 s2, exec_lo
	s_waitcnt lgkmcnt(0)
	s_delay_alu instid0(VALU_DEP_1)
	v_cmpx_gt_u32_e64 s5, v0
	s_cbranch_execz .LBB68_6
; %bb.1:
	s_load_b64 s[2:3], s[0:1], 0x18
	s_waitcnt lgkmcnt(0)
	s_lshr_b32 s5, s3, 9
	s_delay_alu instid0(SALU_CYCLE_1) | instskip(NEXT) | instid1(SALU_CYCLE_1)
	s_and_b32 s5, s5, 0x7ffffe
	s_sub_i32 s6, 0, s5
	s_add_i32 s5, s5, -1
	v_and_b32_e32 v1, s6, v0
	v_and_b32_e32 v5, s5, v0
	s_delay_alu instid0(VALU_DEP_2) | instskip(NEXT) | instid1(VALU_DEP_1)
	v_lshlrev_b32_e32 v1, 10, v1
	v_add_nc_u32_e32 v2, s3, v1
	s_delay_alu instid0(VALU_DEP_1) | instskip(SKIP_1) | instid1(VALU_DEP_2)
	v_min_u32_e32 v4, s4, v2
	v_min_u32_e32 v2, s4, v1
	v_add_nc_u32_e32 v3, s3, v4
	s_mov_b32 s3, exec_lo
	s_delay_alu instid0(VALU_DEP_1) | instskip(SKIP_1) | instid1(VALU_DEP_2)
	v_min_u32_e32 v1, s4, v3
	v_lshlrev_b32_e32 v3, 10, v5
	v_sub_nc_u32_e32 v5, v1, v2
	v_sub_nc_u32_e32 v6, v1, v4
	s_delay_alu instid0(VALU_DEP_2) | instskip(SKIP_1) | instid1(VALU_DEP_2)
	v_min_u32_e32 v1, v5, v3
	v_sub_nc_u32_e32 v3, v4, v2
	v_sub_nc_u32_e64 v6, v1, v6 clamp
	s_delay_alu instid0(VALU_DEP_2) | instskip(NEXT) | instid1(VALU_DEP_1)
	v_min_u32_e32 v7, v1, v3
	v_cmpx_lt_u32_e64 v6, v7
	s_cbranch_execz .LBB68_5
; %bb.2:
	s_load_b64 s[4:5], s[0:1], 0x0
	v_mov_b32_e32 v5, 0
	s_delay_alu instid0(VALU_DEP_1) | instskip(SKIP_1) | instid1(VALU_DEP_2)
	v_mov_b32_e32 v3, v5
	v_lshlrev_b64 v[10:11], 1, v[4:5]
	v_lshlrev_b64 v[8:9], 1, v[2:3]
	s_waitcnt lgkmcnt(0)
	s_delay_alu instid0(VALU_DEP_1) | instskip(NEXT) | instid1(VALU_DEP_2)
	v_add_co_u32 v3, vcc_lo, s4, v8
	v_add_co_ci_u32_e32 v8, vcc_lo, s5, v9, vcc_lo
	s_delay_alu instid0(VALU_DEP_4)
	v_add_co_u32 v9, vcc_lo, s4, v10
	v_add_co_ci_u32_e32 v10, vcc_lo, s5, v11, vcc_lo
	s_mov_b32 s4, 0
	.p2align	6
.LBB68_3:                               ; =>This Inner Loop Header: Depth=1
	v_add_nc_u32_e32 v4, v7, v6
	s_delay_alu instid0(VALU_DEP_1) | instskip(SKIP_1) | instid1(VALU_DEP_2)
	v_lshrrev_b32_e32 v15, 1, v4
	v_and_b32_e32 v11, -2, v4
	v_xad_u32 v4, v15, -1, v1
	s_delay_alu instid0(VALU_DEP_2) | instskip(SKIP_1) | instid1(VALU_DEP_3)
	v_add_co_u32 v11, vcc_lo, v3, v11
	v_add_co_ci_u32_e32 v12, vcc_lo, 0, v8, vcc_lo
	v_lshlrev_b64 v[13:14], 1, v[4:5]
	s_delay_alu instid0(VALU_DEP_1) | instskip(NEXT) | instid1(VALU_DEP_2)
	v_add_co_u32 v13, vcc_lo, v9, v13
	v_add_co_ci_u32_e32 v14, vcc_lo, v10, v14, vcc_lo
	s_clause 0x1
	global_load_u16 v4, v[11:12], off
	global_load_u16 v11, v[13:14], off
	v_add_nc_u32_e32 v12, 1, v15
	s_waitcnt vmcnt(1)
	v_and_b32_e32 v4, s2, v4
	s_waitcnt vmcnt(0)
	v_and_b32_e32 v11, s2, v11
	s_delay_alu instid0(VALU_DEP_1) | instskip(SKIP_1) | instid1(VALU_DEP_1)
	v_cmp_gt_i16_e32 vcc_lo, v4, v11
	v_dual_cndmask_b32 v7, v7, v15 :: v_dual_cndmask_b32 v6, v12, v6
	v_cmp_ge_u32_e32 vcc_lo, v6, v7
	s_or_b32 s4, vcc_lo, s4
	s_delay_alu instid0(SALU_CYCLE_1)
	s_and_not1_b32 exec_lo, exec_lo, s4
	s_cbranch_execnz .LBB68_3
; %bb.4:
	s_or_b32 exec_lo, exec_lo, s4
.LBB68_5:
	s_delay_alu instid0(SALU_CYCLE_1) | instskip(SKIP_2) | instid1(VALU_DEP_1)
	s_or_b32 exec_lo, exec_lo, s3
	s_load_b64 s[0:1], s[0:1], 0x10
	v_dual_mov_b32 v1, 0 :: v_dual_add_nc_u32 v2, v6, v2
	v_lshlrev_b64 v[0:1], 2, v[0:1]
	s_waitcnt lgkmcnt(0)
	s_delay_alu instid0(VALU_DEP_1) | instskip(NEXT) | instid1(VALU_DEP_2)
	v_add_co_u32 v0, vcc_lo, s0, v0
	v_add_co_ci_u32_e32 v1, vcc_lo, s1, v1, vcc_lo
	global_store_b32 v[0:1], v2, off
.LBB68_6:
	s_nop 0
	s_sendmsg sendmsg(MSG_DEALLOC_VGPRS)
	s_endpgm
	.section	.rodata,"a",@progbits
	.p2align	6, 0x0
	.amdhsa_kernel _ZN7rocprim17ROCPRIM_304000_NS6detail45device_block_merge_mergepath_partition_kernelINS1_37wrapped_merge_sort_block_merge_configINS0_14default_configEsN2at4cuda3cub6detail10OpaqueTypeILi8EEEEEPsjNS1_19radix_merge_compareILb0ELb1EsNS0_19identity_decomposerEEEEEvT0_T1_jPSH_T2_SH_
		.amdhsa_group_segment_fixed_size 0
		.amdhsa_private_segment_fixed_size 0
		.amdhsa_kernarg_size 32
		.amdhsa_user_sgpr_count 15
		.amdhsa_user_sgpr_dispatch_ptr 0
		.amdhsa_user_sgpr_queue_ptr 0
		.amdhsa_user_sgpr_kernarg_segment_ptr 1
		.amdhsa_user_sgpr_dispatch_id 0
		.amdhsa_user_sgpr_private_segment_size 0
		.amdhsa_wavefront_size32 1
		.amdhsa_uses_dynamic_stack 0
		.amdhsa_enable_private_segment 0
		.amdhsa_system_sgpr_workgroup_id_x 1
		.amdhsa_system_sgpr_workgroup_id_y 0
		.amdhsa_system_sgpr_workgroup_id_z 0
		.amdhsa_system_sgpr_workgroup_info 0
		.amdhsa_system_vgpr_workitem_id 0
		.amdhsa_next_free_vgpr 16
		.amdhsa_next_free_sgpr 16
		.amdhsa_reserve_vcc 1
		.amdhsa_float_round_mode_32 0
		.amdhsa_float_round_mode_16_64 0
		.amdhsa_float_denorm_mode_32 3
		.amdhsa_float_denorm_mode_16_64 3
		.amdhsa_dx10_clamp 1
		.amdhsa_ieee_mode 1
		.amdhsa_fp16_overflow 0
		.amdhsa_workgroup_processor_mode 1
		.amdhsa_memory_ordered 1
		.amdhsa_forward_progress 0
		.amdhsa_shared_vgpr_count 0
		.amdhsa_exception_fp_ieee_invalid_op 0
		.amdhsa_exception_fp_denorm_src 0
		.amdhsa_exception_fp_ieee_div_zero 0
		.amdhsa_exception_fp_ieee_overflow 0
		.amdhsa_exception_fp_ieee_underflow 0
		.amdhsa_exception_fp_ieee_inexact 0
		.amdhsa_exception_int_div_zero 0
	.end_amdhsa_kernel
	.section	.text._ZN7rocprim17ROCPRIM_304000_NS6detail45device_block_merge_mergepath_partition_kernelINS1_37wrapped_merge_sort_block_merge_configINS0_14default_configEsN2at4cuda3cub6detail10OpaqueTypeILi8EEEEEPsjNS1_19radix_merge_compareILb0ELb1EsNS0_19identity_decomposerEEEEEvT0_T1_jPSH_T2_SH_,"axG",@progbits,_ZN7rocprim17ROCPRIM_304000_NS6detail45device_block_merge_mergepath_partition_kernelINS1_37wrapped_merge_sort_block_merge_configINS0_14default_configEsN2at4cuda3cub6detail10OpaqueTypeILi8EEEEEPsjNS1_19radix_merge_compareILb0ELb1EsNS0_19identity_decomposerEEEEEvT0_T1_jPSH_T2_SH_,comdat
.Lfunc_end68:
	.size	_ZN7rocprim17ROCPRIM_304000_NS6detail45device_block_merge_mergepath_partition_kernelINS1_37wrapped_merge_sort_block_merge_configINS0_14default_configEsN2at4cuda3cub6detail10OpaqueTypeILi8EEEEEPsjNS1_19radix_merge_compareILb0ELb1EsNS0_19identity_decomposerEEEEEvT0_T1_jPSH_T2_SH_, .Lfunc_end68-_ZN7rocprim17ROCPRIM_304000_NS6detail45device_block_merge_mergepath_partition_kernelINS1_37wrapped_merge_sort_block_merge_configINS0_14default_configEsN2at4cuda3cub6detail10OpaqueTypeILi8EEEEEPsjNS1_19radix_merge_compareILb0ELb1EsNS0_19identity_decomposerEEEEEvT0_T1_jPSH_T2_SH_
                                        ; -- End function
	.section	.AMDGPU.csdata,"",@progbits
; Kernel info:
; codeLenInByte = 468
; NumSgprs: 18
; NumVgprs: 16
; ScratchSize: 0
; MemoryBound: 0
; FloatMode: 240
; IeeeMode: 1
; LDSByteSize: 0 bytes/workgroup (compile time only)
; SGPRBlocks: 2
; VGPRBlocks: 1
; NumSGPRsForWavesPerEU: 18
; NumVGPRsForWavesPerEU: 16
; Occupancy: 16
; WaveLimiterHint : 0
; COMPUTE_PGM_RSRC2:SCRATCH_EN: 0
; COMPUTE_PGM_RSRC2:USER_SGPR: 15
; COMPUTE_PGM_RSRC2:TRAP_HANDLER: 0
; COMPUTE_PGM_RSRC2:TGID_X_EN: 1
; COMPUTE_PGM_RSRC2:TGID_Y_EN: 0
; COMPUTE_PGM_RSRC2:TGID_Z_EN: 0
; COMPUTE_PGM_RSRC2:TIDIG_COMP_CNT: 0
	.section	.text._ZN7rocprim17ROCPRIM_304000_NS6detail35device_block_merge_mergepath_kernelINS1_37wrapped_merge_sort_block_merge_configINS0_14default_configEsN2at4cuda3cub6detail10OpaqueTypeILi8EEEEEPsSC_PSA_SD_jNS1_19radix_merge_compareILb0ELb1EsNS0_19identity_decomposerEEEEEvT0_T1_T2_T3_T4_SL_jT5_PKSL_NS1_7vsmem_tE,"axG",@progbits,_ZN7rocprim17ROCPRIM_304000_NS6detail35device_block_merge_mergepath_kernelINS1_37wrapped_merge_sort_block_merge_configINS0_14default_configEsN2at4cuda3cub6detail10OpaqueTypeILi8EEEEEPsSC_PSA_SD_jNS1_19radix_merge_compareILb0ELb1EsNS0_19identity_decomposerEEEEEvT0_T1_T2_T3_T4_SL_jT5_PKSL_NS1_7vsmem_tE,comdat
	.protected	_ZN7rocprim17ROCPRIM_304000_NS6detail35device_block_merge_mergepath_kernelINS1_37wrapped_merge_sort_block_merge_configINS0_14default_configEsN2at4cuda3cub6detail10OpaqueTypeILi8EEEEEPsSC_PSA_SD_jNS1_19radix_merge_compareILb0ELb1EsNS0_19identity_decomposerEEEEEvT0_T1_T2_T3_T4_SL_jT5_PKSL_NS1_7vsmem_tE ; -- Begin function _ZN7rocprim17ROCPRIM_304000_NS6detail35device_block_merge_mergepath_kernelINS1_37wrapped_merge_sort_block_merge_configINS0_14default_configEsN2at4cuda3cub6detail10OpaqueTypeILi8EEEEEPsSC_PSA_SD_jNS1_19radix_merge_compareILb0ELb1EsNS0_19identity_decomposerEEEEEvT0_T1_T2_T3_T4_SL_jT5_PKSL_NS1_7vsmem_tE
	.globl	_ZN7rocprim17ROCPRIM_304000_NS6detail35device_block_merge_mergepath_kernelINS1_37wrapped_merge_sort_block_merge_configINS0_14default_configEsN2at4cuda3cub6detail10OpaqueTypeILi8EEEEEPsSC_PSA_SD_jNS1_19radix_merge_compareILb0ELb1EsNS0_19identity_decomposerEEEEEvT0_T1_T2_T3_T4_SL_jT5_PKSL_NS1_7vsmem_tE
	.p2align	8
	.type	_ZN7rocprim17ROCPRIM_304000_NS6detail35device_block_merge_mergepath_kernelINS1_37wrapped_merge_sort_block_merge_configINS0_14default_configEsN2at4cuda3cub6detail10OpaqueTypeILi8EEEEEPsSC_PSA_SD_jNS1_19radix_merge_compareILb0ELb1EsNS0_19identity_decomposerEEEEEvT0_T1_T2_T3_T4_SL_jT5_PKSL_NS1_7vsmem_tE,@function
_ZN7rocprim17ROCPRIM_304000_NS6detail35device_block_merge_mergepath_kernelINS1_37wrapped_merge_sort_block_merge_configINS0_14default_configEsN2at4cuda3cub6detail10OpaqueTypeILi8EEEEEPsSC_PSA_SD_jNS1_19radix_merge_compareILb0ELb1EsNS0_19identity_decomposerEEEEEvT0_T1_T2_T3_T4_SL_jT5_PKSL_NS1_7vsmem_tE: ; @_ZN7rocprim17ROCPRIM_304000_NS6detail35device_block_merge_mergepath_kernelINS1_37wrapped_merge_sort_block_merge_configINS0_14default_configEsN2at4cuda3cub6detail10OpaqueTypeILi8EEEEEPsSC_PSA_SD_jNS1_19radix_merge_compareILb0ELb1EsNS0_19identity_decomposerEEEEEvT0_T1_T2_T3_T4_SL_jT5_PKSL_NS1_7vsmem_tE
; %bb.0:
	s_clause 0x1
	s_load_b64 s[24:25], s[0:1], 0x40
	s_load_b128 s[16:19], s[0:1], 0x20
	s_add_u32 s22, s0, 64
	s_addc_u32 s23, s1, 0
	s_waitcnt lgkmcnt(0)
	s_mul_i32 s2, s25, s15
	s_delay_alu instid0(SALU_CYCLE_1) | instskip(NEXT) | instid1(SALU_CYCLE_1)
	s_add_i32 s2, s2, s14
	s_mul_i32 s2, s2, s24
	s_delay_alu instid0(SALU_CYCLE_1) | instskip(NEXT) | instid1(SALU_CYCLE_1)
	s_add_i32 s2, s2, s13
	s_cmp_ge_u32 s2, s18
	s_cbranch_scc1 .LBB69_53
; %bb.1:
	s_load_b64 s[4:5], s[0:1], 0x30
	s_lshr_b32 s30, s16, 10
	s_mov_b32 s15, 0
	s_cmp_lg_u32 s2, s30
	s_mov_b32 s3, s15
	s_cselect_b32 s18, -1, 0
	s_lshl_b64 s[6:7], s[2:3], 2
	v_mov_b32_e32 v4, 0
	s_mov_b32 s21, s15
	v_lshlrev_b32_e32 v5, 1, v0
	s_waitcnt lgkmcnt(0)
	s_add_u32 s4, s4, s6
	s_addc_u32 s5, s5, s7
	s_lshl_b32 s12, s2, 10
	s_load_b64 s[26:27], s[4:5], 0x0
	s_load_b256 s[4:11], s[0:1], 0x0
	global_load_b32 v1, v4, s[22:23] offset:14
	s_lshr_b32 s0, s17, 9
	s_delay_alu instid0(SALU_CYCLE_1) | instskip(NEXT) | instid1(SALU_CYCLE_1)
	s_and_b32 s0, s0, 0x7ffffe
	s_sub_i32 s0, 0, s0
	s_delay_alu instid0(SALU_CYCLE_1)
	s_and_b32 s1, s2, s0
	s_or_b32 s0, s2, s0
	s_lshl_b32 s3, s1, 11
	s_lshl_b32 s1, s1, 10
	s_add_i32 s3, s3, s17
	s_sub_i32 s14, s12, s1
	s_sub_i32 s1, s3, s1
	s_add_i32 s3, s3, s14
	s_min_u32 s25, s16, s1
	s_add_i32 s1, s1, s17
	s_waitcnt lgkmcnt(0)
	s_sub_i32 s14, s3, s26
	s_sub_i32 s3, s3, s27
	s_min_u32 s20, s16, s14
	s_addk_i32 s3, 0x400
	s_cmp_eq_u32 s0, -1
	s_mov_b32 s14, s26
	s_cselect_b32 s3, s1, s3
	s_cselect_b32 s17, s25, s27
	s_min_u32 s3, s3, s16
	s_lshl_b64 s[0:1], s[14:15], 1
	s_sub_i32 s17, s17, s26
	s_sub_i32 s25, s3, s20
	s_add_u32 s26, s4, s0
	s_addc_u32 s27, s5, s1
	s_lshl_b64 s[28:29], s[20:21], 1
	v_cmp_gt_u32_e32 vcc_lo, s17, v0
	s_add_u32 s1, s4, s28
	s_addc_u32 s4, s5, s29
	s_cmp_lt_u32 s13, s24
	s_cselect_b32 s0, 12, 18
	s_delay_alu instid0(SALU_CYCLE_1)
	s_add_u32 s22, s22, s0
	s_addc_u32 s23, s23, 0
	s_cmp_eq_u32 s2, s30
	s_mov_b32 s0, -1
	s_waitcnt vmcnt(0)
	v_lshrrev_b32_e32 v3, 16, v1
	v_and_b32_e32 v1, 0xffff, v1
	global_load_u16 v2, v4, s[22:23]
	v_mul_lo_u32 v1, v1, v3
	s_waitcnt vmcnt(0)
	s_delay_alu instid0(VALU_DEP_1) | instskip(NEXT) | instid1(VALU_DEP_1)
	v_mul_lo_u32 v1, v1, v2
	v_add_nc_u32_e32 v1, v1, v0
	s_cbranch_scc1 .LBB69_3
; %bb.2:
	v_subrev_nc_u32_e32 v3, s17, v0
	v_add_co_u32 v6, s0, s26, v5
	s_delay_alu instid0(VALU_DEP_1) | instskip(NEXT) | instid1(VALU_DEP_3)
	v_add_co_ci_u32_e64 v7, null, s27, 0, s0
	v_lshlrev_b64 v[2:3], 1, v[3:4]
	s_add_i32 s3, s25, s17
	s_delay_alu instid0(VALU_DEP_1) | instskip(NEXT) | instid1(VALU_DEP_1)
	v_add_co_u32 v2, s0, s1, v2
	v_add_co_ci_u32_e64 v3, s0, s4, v3, s0
	s_mov_b32 s0, s15
	s_delay_alu instid0(VALU_DEP_1) | instskip(SKIP_3) | instid1(VALU_DEP_2)
	v_dual_cndmask_b32 v2, v2, v6 :: v_dual_cndmask_b32 v3, v3, v7
	global_load_u16 v6, v[2:3], off
	v_mov_b32_e32 v2, v4
	v_subrev_nc_u32_e32 v3, s17, v1
	v_lshlrev_b64 v[7:8], 1, v[1:2]
	s_delay_alu instid0(VALU_DEP_2) | instskip(NEXT) | instid1(VALU_DEP_2)
	v_lshlrev_b64 v[2:3], 1, v[3:4]
	v_add_co_u32 v4, vcc_lo, s26, v7
	s_delay_alu instid0(VALU_DEP_3) | instskip(NEXT) | instid1(VALU_DEP_3)
	v_add_co_ci_u32_e32 v7, vcc_lo, s27, v8, vcc_lo
	v_add_co_u32 v2, vcc_lo, s1, v2
	s_delay_alu instid0(VALU_DEP_4) | instskip(SKIP_1) | instid1(VALU_DEP_2)
	v_add_co_ci_u32_e32 v3, vcc_lo, s4, v3, vcc_lo
	v_cmp_gt_u32_e32 vcc_lo, s17, v1
	v_dual_cndmask_b32 v3, v3, v7 :: v_dual_cndmask_b32 v2, v2, v4
	global_load_d16_hi_b16 v6, v[2:3], off
	s_and_not1_b32 vcc_lo, exec_lo, s0
	s_cbranch_vccz .LBB69_4
	s_branch .LBB69_9
.LBB69_3:
                                        ; implicit-def: $vgpr6
                                        ; implicit-def: $sgpr3
	s_and_not1_b32 vcc_lo, exec_lo, s0
	s_cbranch_vccnz .LBB69_9
.LBB69_4:
	s_add_i32 s3, s25, s17
	s_mov_b32 s0, exec_lo
                                        ; implicit-def: $vgpr6
	v_cmpx_gt_u32_e64 s3, v0
	s_cbranch_execz .LBB69_6
; %bb.5:
	v_subrev_nc_u32_e32 v2, s17, v0
	v_add_co_u32 v4, s2, s26, v5
	v_mov_b32_e32 v3, 0
	s_waitcnt vmcnt(0)
	v_add_co_ci_u32_e64 v6, null, s27, 0, s2
	s_delay_alu instid0(VALU_DEP_2) | instskip(NEXT) | instid1(VALU_DEP_1)
	v_lshlrev_b64 v[2:3], 1, v[2:3]
	v_add_co_u32 v2, vcc_lo, s1, v2
	s_delay_alu instid0(VALU_DEP_2) | instskip(SKIP_1) | instid1(VALU_DEP_2)
	v_add_co_ci_u32_e32 v3, vcc_lo, s4, v3, vcc_lo
	v_cmp_gt_u32_e32 vcc_lo, s17, v0
	v_dual_cndmask_b32 v2, v2, v4 :: v_dual_cndmask_b32 v3, v3, v6
	global_load_d16_b16 v6, v[2:3], off
.LBB69_6:
	s_or_b32 exec_lo, exec_lo, s0
	s_delay_alu instid0(SALU_CYCLE_1)
	s_mov_b32 s2, exec_lo
	v_cmpx_gt_u32_e64 s3, v1
	s_cbranch_execz .LBB69_8
; %bb.7:
	v_mov_b32_e32 v2, 0
	s_delay_alu instid0(VALU_DEP_1) | instskip(NEXT) | instid1(VALU_DEP_1)
	v_lshlrev_b64 v[3:4], 1, v[1:2]
	v_add_co_u32 v3, vcc_lo, s26, v3
	s_delay_alu instid0(VALU_DEP_2) | instskip(SKIP_2) | instid1(VALU_DEP_1)
	v_add_co_ci_u32_e32 v4, vcc_lo, s27, v4, vcc_lo
	v_cmp_gt_u32_e32 vcc_lo, s17, v1
	v_subrev_nc_u32_e32 v1, s17, v1
	v_lshlrev_b64 v[1:2], 1, v[1:2]
	s_delay_alu instid0(VALU_DEP_1) | instskip(NEXT) | instid1(VALU_DEP_1)
	v_add_co_u32 v1, s0, s1, v1
	v_add_co_ci_u32_e64 v2, s0, s4, v2, s0
	s_delay_alu instid0(VALU_DEP_1)
	v_dual_cndmask_b32 v1, v1, v3 :: v_dual_cndmask_b32 v2, v2, v4
	global_load_d16_hi_b16 v6, v[1:2], off
.LBB69_8:
	s_or_b32 exec_lo, exec_lo, s2
.LBB69_9:
	v_min_u32_e32 v2, s3, v5
	s_mov_b32 s0, exec_lo
	s_waitcnt vmcnt(0)
	ds_store_b16 v5, v6
	ds_store_b16_d16_hi v5, v6 offset:1024
	s_waitcnt lgkmcnt(0)
	s_barrier
	v_sub_nc_u32_e64 v1, v2, s25 clamp
	v_min_u32_e32 v3, s17, v2
	buffer_gl0_inv
	v_cmpx_lt_u32_e64 v1, v3
	s_cbranch_execz .LBB69_13
; %bb.10:
	v_lshlrev_b32_e32 v4, 1, v2
	s_mov_b32 s1, 0
	s_delay_alu instid0(VALU_DEP_1)
	v_lshl_add_u32 v4, s17, 1, v4
	.p2align	6
.LBB69_11:                              ; =>This Inner Loop Header: Depth=1
	v_add_nc_u32_e32 v7, v3, v1
	s_delay_alu instid0(VALU_DEP_1) | instskip(SKIP_1) | instid1(VALU_DEP_2)
	v_lshrrev_b32_e32 v8, 1, v7
	v_and_b32_e32 v7, -2, v7
	v_not_b32_e32 v9, v8
	v_add_nc_u32_e32 v10, 1, v8
	s_delay_alu instid0(VALU_DEP_2)
	v_lshl_add_u32 v9, v9, 1, v4
	ds_load_u16 v7, v7
	ds_load_u16 v9, v9
	s_waitcnt lgkmcnt(1)
	v_and_b32_e32 v7, s19, v7
	s_waitcnt lgkmcnt(0)
	v_and_b32_e32 v9, s19, v9
	s_delay_alu instid0(VALU_DEP_1) | instskip(SKIP_2) | instid1(VALU_DEP_1)
	v_cmp_gt_i16_e32 vcc_lo, v7, v9
	v_cndmask_b32_e32 v3, v3, v8, vcc_lo
	v_cndmask_b32_e32 v1, v10, v1, vcc_lo
	v_cmp_ge_u32_e32 vcc_lo, v1, v3
	s_or_b32 s1, vcc_lo, s1
	s_delay_alu instid0(SALU_CYCLE_1)
	s_and_not1_b32 exec_lo, exec_lo, s1
	s_cbranch_execnz .LBB69_11
; %bb.12:
	s_or_b32 exec_lo, exec_lo, s1
.LBB69_13:
	s_delay_alu instid0(SALU_CYCLE_1) | instskip(SKIP_2) | instid1(VALU_DEP_2)
	s_or_b32 exec_lo, exec_lo, s0
	v_sub_nc_u32_e32 v2, v2, v1
	v_cmp_ge_u32_e32 vcc_lo, s17, v1
                                        ; implicit-def: $vgpr8
                                        ; implicit-def: $vgpr9
	v_add_nc_u32_e32 v2, s17, v2
	s_delay_alu instid0(VALU_DEP_1) | instskip(NEXT) | instid1(VALU_DEP_1)
	v_cmp_ge_u32_e64 s0, s3, v2
	s_or_b32 s0, vcc_lo, s0
	s_delay_alu instid0(SALU_CYCLE_1)
	s_and_saveexec_b32 s4, s0
	s_cbranch_execz .LBB69_19
; %bb.14:
	v_cmp_gt_u32_e32 vcc_lo, s17, v1
                                        ; implicit-def: $vgpr3
	s_and_saveexec_b32 s0, vcc_lo
	s_cbranch_execz .LBB69_16
; %bb.15:
	v_lshlrev_b32_e32 v3, 1, v1
	ds_load_u16 v3, v3
.LBB69_16:
	s_or_b32 exec_lo, exec_lo, s0
	v_cmp_le_u32_e64 s0, s3, v2
	s_mov_b32 s2, exec_lo
                                        ; implicit-def: $vgpr4
	v_cmpx_gt_u32_e64 s3, v2
	s_cbranch_execz .LBB69_18
; %bb.17:
	v_lshlrev_b32_e32 v4, 1, v2
	ds_load_u16 v4, v4
.LBB69_18:
	s_or_b32 exec_lo, exec_lo, s2
	s_waitcnt lgkmcnt(0)
	v_and_b32_e32 v6, s19, v4
	v_and_b32_e32 v7, s19, v3
	s_delay_alu instid0(VALU_DEP_1) | instskip(SKIP_1) | instid1(VALU_DEP_2)
	v_cmp_le_i16_e64 s1, v7, v6
	v_mov_b32_e32 v6, s17
	s_and_b32 s1, vcc_lo, s1
	s_delay_alu instid0(SALU_CYCLE_1) | instskip(SKIP_1) | instid1(VALU_DEP_1)
	s_or_b32 vcc_lo, s0, s1
	v_cndmask_b32_e32 v9, v2, v1, vcc_lo
	v_dual_cndmask_b32 v6, s3, v6 :: v_dual_add_nc_u32 v7, 1, v9
	s_delay_alu instid0(VALU_DEP_1) | instskip(NEXT) | instid1(VALU_DEP_1)
	v_dual_cndmask_b32 v1, v1, v7 :: v_dual_add_nc_u32 v6, -1, v6
	v_min_u32_e32 v6, v7, v6
	v_cndmask_b32_e32 v2, v7, v2, vcc_lo
	s_delay_alu instid0(VALU_DEP_3) | instskip(NEXT) | instid1(VALU_DEP_3)
	v_cmp_gt_u32_e64 s0, s17, v1
	v_lshlrev_b32_e32 v6, 1, v6
	s_delay_alu instid0(VALU_DEP_3) | instskip(SKIP_4) | instid1(VALU_DEP_1)
	v_cmp_le_u32_e64 s2, s3, v2
	ds_load_u16 v6, v6
	s_waitcnt lgkmcnt(0)
	v_cndmask_b32_e32 v10, v6, v4, vcc_lo
	v_dual_cndmask_b32 v6, v3, v6 :: v_dual_cndmask_b32 v3, v4, v3
	v_and_b32_e32 v11, s19, v6
	s_delay_alu instid0(VALU_DEP_3) | instskip(NEXT) | instid1(VALU_DEP_1)
	v_and_b32_e32 v8, s19, v10
	v_cmp_le_i16_e64 s1, v11, v8
	s_delay_alu instid0(VALU_DEP_1) | instskip(NEXT) | instid1(SALU_CYCLE_1)
	s_and_b32 s0, s0, s1
	s_or_b32 vcc_lo, s2, s0
	v_cndmask_b32_e32 v8, v2, v1, vcc_lo
	v_cndmask_b32_e32 v1, v10, v6, vcc_lo
	s_delay_alu instid0(VALU_DEP_1)
	v_perm_b32 v6, v1, v3, 0x5040100
.LBB69_19:
	s_or_b32 exec_lo, exec_lo, s4
	s_lshl_b64 s[0:1], s[14:15], 3
	v_or_b32_e32 v7, 0x200, v0
	s_add_u32 s2, s8, s0
	s_addc_u32 s4, s9, s1
	s_lshl_b64 s[14:15], s[20:21], 3
	v_cmp_gt_u32_e64 s1, s17, v0
	v_cmp_le_u32_e64 s0, s17, v0
	s_add_u32 s8, s8, s14
	s_mov_b32 s5, 0
	s_addc_u32 s9, s9, s15
	s_and_not1_b32 vcc_lo, exec_lo, s18
	s_barrier
	buffer_gl0_inv
	s_cbranch_vccnz .LBB69_21
; %bb.20:
	v_subrev_nc_u32_e32 v1, s17, v0
	v_mov_b32_e32 v2, 0
	v_lshlrev_b32_e32 v12, 3, v0
	s_delay_alu instid0(VALU_DEP_2) | instskip(NEXT) | instid1(VALU_DEP_2)
	v_lshlrev_b64 v[3:4], 3, v[1:2]
	v_add_co_u32 v13, s5, s2, v12
	s_delay_alu instid0(VALU_DEP_1) | instskip(SKIP_1) | instid1(VALU_DEP_3)
	v_add_co_ci_u32_e64 v14, null, s4, 0, s5
	s_mov_b32 s5, -1
	v_add_co_u32 v1, vcc_lo, s8, v3
	s_delay_alu instid0(VALU_DEP_4) | instskip(NEXT) | instid1(VALU_DEP_1)
	v_add_co_ci_u32_e32 v3, vcc_lo, s9, v4, vcc_lo
	v_cndmask_b32_e64 v4, v3, v14, s1
	s_delay_alu instid0(VALU_DEP_3)
	v_cndmask_b32_e64 v3, v1, v13, s1
	v_subrev_nc_u32_e32 v1, s17, v7
	global_load_b64 v[10:11], v[3:4], off
	v_lshlrev_b64 v[1:2], 3, v[1:2]
	v_add_co_u32 v3, vcc_lo, 0x1000, v13
	v_add_co_ci_u32_e32 v4, vcc_lo, 0, v14, vcc_lo
	s_delay_alu instid0(VALU_DEP_3) | instskip(NEXT) | instid1(VALU_DEP_4)
	v_add_co_u32 v1, vcc_lo, s8, v1
	v_add_co_ci_u32_e32 v2, vcc_lo, s9, v2, vcc_lo
	v_cmp_gt_u32_e32 vcc_lo, s17, v7
	s_delay_alu instid0(VALU_DEP_2)
	v_dual_cndmask_b32 v1, v1, v3 :: v_dual_cndmask_b32 v2, v2, v4
	v_or_b32_e32 v4, 0x1000, v12
	s_waitcnt vmcnt(0)
	ds_store_b64 v12, v[10:11]
	s_cbranch_execz .LBB69_22
	s_branch .LBB69_33
.LBB69_21:
                                        ; implicit-def: $vgpr4
                                        ; implicit-def: $vgpr1_vgpr2
.LBB69_22:
	s_mov_b32 s1, 0
                                        ; implicit-def: $vgpr1_vgpr2
	s_and_saveexec_b32 s13, s0
	s_delay_alu instid0(SALU_CYCLE_1)
	s_xor_b32 s0, exec_lo, s13
	s_cbranch_execnz .LBB69_54
; %bb.23:
	s_and_not1_saveexec_b32 s0, s0
	s_cbranch_execnz .LBB69_57
.LBB69_24:
	s_or_b32 exec_lo, exec_lo, s0
	s_and_saveexec_b32 s0, s1
	s_cbranch_execz .LBB69_26
.LBB69_25:
	global_load_b64 v[1:2], v[1:2], off
	v_mad_u32_u24 v3, v0, 6, v5
	s_waitcnt vmcnt(0)
	ds_store_b64 v3, v[1:2]
.LBB69_26:
	s_or_b32 exec_lo, exec_lo, s0
	s_delay_alu instid0(SALU_CYCLE_1)
	s_mov_b32 s0, exec_lo
                                        ; implicit-def: $vgpr4
                                        ; implicit-def: $vgpr1_vgpr2
	v_cmpx_le_u32_e64 s17, v7
	s_xor_b32 s0, exec_lo, s0
	s_cbranch_execz .LBB69_30
; %bb.27:
	v_subrev_nc_u32_e32 v3, s17, v7
	s_mov_b32 s13, s5
	s_mov_b32 s1, exec_lo
                                        ; implicit-def: $vgpr4
                                        ; implicit-def: $vgpr1_vgpr2
	s_delay_alu instid0(VALU_DEP_1)
	v_cmpx_gt_u32_e64 s25, v3
; %bb.28:
	v_mov_b32_e32 v4, 0
	v_mul_u32_u24_e32 v10, 6, v0
	s_or_b32 s13, s5, exec_lo
	s_delay_alu instid0(VALU_DEP_2) | instskip(NEXT) | instid1(VALU_DEP_2)
	v_lshlrev_b64 v[1:2], 3, v[3:4]
	v_add3_u32 v4, v5, v10, 0x1000
	s_delay_alu instid0(VALU_DEP_2) | instskip(NEXT) | instid1(VALU_DEP_3)
	v_add_co_u32 v1, vcc_lo, s8, v1
	v_add_co_ci_u32_e32 v2, vcc_lo, s9, v2, vcc_lo
; %bb.29:
	s_or_b32 exec_lo, exec_lo, s1
	s_delay_alu instid0(SALU_CYCLE_1) | instskip(SKIP_1) | instid1(SALU_CYCLE_1)
	s_and_not1_b32 s1, s5, exec_lo
	s_and_b32 s5, s13, exec_lo
	s_or_b32 s5, s1, s5
.LBB69_30:
	s_and_not1_saveexec_b32 s0, s0
; %bb.31:
	v_lshlrev_b32_e32 v1, 3, v7
	v_mul_u32_u24_e32 v3, 6, v0
	s_or_b32 s5, s5, exec_lo
	s_delay_alu instid0(VALU_DEP_2) | instskip(NEXT) | instid1(VALU_DEP_1)
	v_add_co_u32 v1, s1, s2, v1
	v_add_co_ci_u32_e64 v2, null, s4, 0, s1
	s_delay_alu instid0(VALU_DEP_3)
	v_add3_u32 v4, v5, v3, 0x1000
; %bb.32:
	s_or_b32 exec_lo, exec_lo, s0
.LBB69_33:
	s_and_saveexec_b32 s0, s5
	s_cbranch_execz .LBB69_35
; %bb.34:
	global_load_b64 v[1:2], v[1:2], off
	s_waitcnt vmcnt(0)
	ds_store_b64 v4, v[1:2]
.LBB69_35:
	s_or_b32 exec_lo, exec_lo, s0
	v_add_nc_u32_e32 v1, s12, v5
	s_and_not1_b32 vcc_lo, exec_lo, s18
	s_waitcnt lgkmcnt(0)
	s_barrier
	buffer_gl0_inv
	s_cbranch_vccnz .LBB69_37
; %bb.36:
	v_lshlrev_b32_e32 v2, 3, v9
	s_mov_b32 s0, -1
	ds_load_b64 v[3:4], v2
	v_mov_b32_e32 v2, 0
	s_delay_alu instid0(VALU_DEP_1) | instskip(NEXT) | instid1(VALU_DEP_1)
	v_lshlrev_b64 v[10:11], 3, v[1:2]
	v_add_co_u32 v10, vcc_lo, s10, v10
	s_delay_alu instid0(VALU_DEP_2)
	v_add_co_ci_u32_e32 v11, vcc_lo, s11, v11, vcc_lo
	s_waitcnt lgkmcnt(0)
	global_store_b64 v[10:11], v[3:4], off
	s_cbranch_execz .LBB69_38
	s_branch .LBB69_43
.LBB69_37:
	s_mov_b32 s0, 0
.LBB69_38:
	s_mov_b32 s1, exec_lo
	v_cmpx_gt_u32_e64 s3, v5
	s_cbranch_execz .LBB69_40
; %bb.39:
	v_lshlrev_b32_e32 v2, 3, v9
	ds_load_b64 v[3:4], v2
	v_mov_b32_e32 v2, 0
	s_delay_alu instid0(VALU_DEP_1) | instskip(NEXT) | instid1(VALU_DEP_1)
	v_lshlrev_b64 v[9:10], 3, v[1:2]
	v_add_co_u32 v9, vcc_lo, s10, v9
	s_delay_alu instid0(VALU_DEP_2)
	v_add_co_ci_u32_e32 v10, vcc_lo, s11, v10, vcc_lo
	s_waitcnt lgkmcnt(0)
	global_store_b64 v[9:10], v[3:4], off
.LBB69_40:
	s_or_b32 exec_lo, exec_lo, s1
	v_or_b32_e32 v2, 1, v5
	s_mov_b32 s1, exec_lo
	s_delay_alu instid0(VALU_DEP_1)
	v_cmpx_gt_u32_e64 s3, v2
; %bb.41:
	v_mov_b32_e32 v2, 0
	s_or_b32 s0, s0, exec_lo
; %bb.42:
	s_or_b32 exec_lo, exec_lo, s1
.LBB69_43:
	s_and_saveexec_b32 s1, s0
	s_cbranch_execz .LBB69_45
; %bb.44:
	v_lshlrev_b32_e32 v3, 3, v8
	v_lshlrev_b64 v[1:2], 3, v[1:2]
	ds_load_b64 v[3:4], v3
	v_add_co_u32 v1, vcc_lo, s10, v1
	v_add_co_ci_u32_e32 v2, vcc_lo, s11, v2, vcc_lo
	s_waitcnt lgkmcnt(0)
	global_store_b64 v[1:2], v[3:4], off offset:8
.LBB69_45:
	s_or_b32 exec_lo, exec_lo, s1
	v_lshrrev_b32_e32 v1, 3, v0
	v_lshrrev_b32_e32 v2, 4, v0
	v_lshrrev_b32_e32 v3, 4, v7
	s_mov_b32 s13, 0
	s_waitcnt_vscnt null, 0x0
	v_and_b32_e32 v1, 60, v1
	s_lshl_b64 s[0:1], s[12:13], 1
	v_and_b32_e32 v2, 28, v2
	v_and_b32_e32 v4, 60, v3
	s_add_u32 s0, s6, s0
	v_lshl_add_u32 v1, v5, 1, v1
	s_barrier
	buffer_gl0_inv
	s_barrier
	buffer_gl0_inv
	s_addc_u32 s1, s7, s1
	ds_store_b32 v1, v6
	v_add_co_u32 v1, s0, s0, v5
	v_add_nc_u32_e32 v3, v5, v2
	v_add_nc_u32_e32 v6, v5, v4
	v_add_co_ci_u32_e64 v2, null, s1, 0, s0
	s_and_b32 vcc_lo, exec_lo, s18
	s_waitcnt lgkmcnt(0)
	s_cbranch_vccz .LBB69_47
; %bb.46:
	s_barrier
	buffer_gl0_inv
	ds_load_u16 v5, v3
	ds_load_u16 v4, v6 offset:1024
	s_mov_b32 s13, -1
	s_waitcnt lgkmcnt(1)
	global_store_b16 v[1:2], v5, off
	s_cbranch_execz .LBB69_48
	s_branch .LBB69_51
.LBB69_47:
                                        ; implicit-def: $vgpr4
.LBB69_48:
	s_waitcnt lgkmcnt(0)
	s_waitcnt_vscnt null, 0x0
	s_barrier
	buffer_gl0_inv
	ds_load_u16 v4, v6 offset:1024
	s_sub_i32 s0, s16, s12
	s_mov_b32 s1, exec_lo
	v_cmpx_gt_u32_e64 s0, v0
	s_cbranch_execz .LBB69_50
; %bb.49:
	ds_load_u16 v0, v3
	s_waitcnt lgkmcnt(0)
	global_store_b16 v[1:2], v0, off
.LBB69_50:
	s_or_b32 exec_lo, exec_lo, s1
	v_cmp_gt_u32_e64 s13, s0, v7
.LBB69_51:
	s_delay_alu instid0(VALU_DEP_1)
	s_and_saveexec_b32 s0, s13
	s_cbranch_execz .LBB69_53
; %bb.52:
	s_waitcnt lgkmcnt(0)
	global_store_b16 v[1:2], v4, off offset:1024
.LBB69_53:
	s_nop 0
	s_sendmsg sendmsg(MSG_DEALLOC_VGPRS)
	s_endpgm
.LBB69_54:
	v_subrev_nc_u32_e32 v3, s17, v0
	s_mov_b32 s13, exec_lo
                                        ; implicit-def: $vgpr1_vgpr2
	s_delay_alu instid0(VALU_DEP_1)
	v_cmpx_gt_u32_e64 s25, v3
	s_xor_b32 s13, exec_lo, s13
; %bb.55:
	v_mov_b32_e32 v4, 0
	s_mov_b32 s1, exec_lo
	s_delay_alu instid0(VALU_DEP_1) | instskip(NEXT) | instid1(VALU_DEP_1)
	v_lshlrev_b64 v[1:2], 3, v[3:4]
	v_add_co_u32 v1, vcc_lo, s8, v1
	s_delay_alu instid0(VALU_DEP_2)
	v_add_co_ci_u32_e32 v2, vcc_lo, s9, v2, vcc_lo
; %bb.56:
	s_or_b32 exec_lo, exec_lo, s13
	s_delay_alu instid0(SALU_CYCLE_1)
	s_and_b32 s1, s1, exec_lo
	s_and_not1_saveexec_b32 s0, s0
	s_cbranch_execz .LBB69_24
.LBB69_57:
	v_lshlrev_b32_e32 v1, 3, v0
	s_or_b32 s1, s1, exec_lo
	s_delay_alu instid0(VALU_DEP_1) | instskip(NEXT) | instid1(VALU_DEP_1)
	v_add_co_u32 v1, s13, s2, v1
	v_add_co_ci_u32_e64 v2, null, s4, 0, s13
	s_or_b32 exec_lo, exec_lo, s0
	s_and_saveexec_b32 s0, s1
	s_cbranch_execnz .LBB69_25
	s_branch .LBB69_26
	.section	.rodata,"a",@progbits
	.p2align	6, 0x0
	.amdhsa_kernel _ZN7rocprim17ROCPRIM_304000_NS6detail35device_block_merge_mergepath_kernelINS1_37wrapped_merge_sort_block_merge_configINS0_14default_configEsN2at4cuda3cub6detail10OpaqueTypeILi8EEEEEPsSC_PSA_SD_jNS1_19radix_merge_compareILb0ELb1EsNS0_19identity_decomposerEEEEEvT0_T1_T2_T3_T4_SL_jT5_PKSL_NS1_7vsmem_tE
		.amdhsa_group_segment_fixed_size 8208
		.amdhsa_private_segment_fixed_size 0
		.amdhsa_kernarg_size 320
		.amdhsa_user_sgpr_count 13
		.amdhsa_user_sgpr_dispatch_ptr 0
		.amdhsa_user_sgpr_queue_ptr 0
		.amdhsa_user_sgpr_kernarg_segment_ptr 1
		.amdhsa_user_sgpr_dispatch_id 0
		.amdhsa_user_sgpr_private_segment_size 0
		.amdhsa_wavefront_size32 1
		.amdhsa_uses_dynamic_stack 0
		.amdhsa_enable_private_segment 0
		.amdhsa_system_sgpr_workgroup_id_x 1
		.amdhsa_system_sgpr_workgroup_id_y 1
		.amdhsa_system_sgpr_workgroup_id_z 1
		.amdhsa_system_sgpr_workgroup_info 0
		.amdhsa_system_vgpr_workitem_id 0
		.amdhsa_next_free_vgpr 15
		.amdhsa_next_free_sgpr 31
		.amdhsa_reserve_vcc 1
		.amdhsa_float_round_mode_32 0
		.amdhsa_float_round_mode_16_64 0
		.amdhsa_float_denorm_mode_32 3
		.amdhsa_float_denorm_mode_16_64 3
		.amdhsa_dx10_clamp 1
		.amdhsa_ieee_mode 1
		.amdhsa_fp16_overflow 0
		.amdhsa_workgroup_processor_mode 1
		.amdhsa_memory_ordered 1
		.amdhsa_forward_progress 0
		.amdhsa_shared_vgpr_count 0
		.amdhsa_exception_fp_ieee_invalid_op 0
		.amdhsa_exception_fp_denorm_src 0
		.amdhsa_exception_fp_ieee_div_zero 0
		.amdhsa_exception_fp_ieee_overflow 0
		.amdhsa_exception_fp_ieee_underflow 0
		.amdhsa_exception_fp_ieee_inexact 0
		.amdhsa_exception_int_div_zero 0
	.end_amdhsa_kernel
	.section	.text._ZN7rocprim17ROCPRIM_304000_NS6detail35device_block_merge_mergepath_kernelINS1_37wrapped_merge_sort_block_merge_configINS0_14default_configEsN2at4cuda3cub6detail10OpaqueTypeILi8EEEEEPsSC_PSA_SD_jNS1_19radix_merge_compareILb0ELb1EsNS0_19identity_decomposerEEEEEvT0_T1_T2_T3_T4_SL_jT5_PKSL_NS1_7vsmem_tE,"axG",@progbits,_ZN7rocprim17ROCPRIM_304000_NS6detail35device_block_merge_mergepath_kernelINS1_37wrapped_merge_sort_block_merge_configINS0_14default_configEsN2at4cuda3cub6detail10OpaqueTypeILi8EEEEEPsSC_PSA_SD_jNS1_19radix_merge_compareILb0ELb1EsNS0_19identity_decomposerEEEEEvT0_T1_T2_T3_T4_SL_jT5_PKSL_NS1_7vsmem_tE,comdat
.Lfunc_end69:
	.size	_ZN7rocprim17ROCPRIM_304000_NS6detail35device_block_merge_mergepath_kernelINS1_37wrapped_merge_sort_block_merge_configINS0_14default_configEsN2at4cuda3cub6detail10OpaqueTypeILi8EEEEEPsSC_PSA_SD_jNS1_19radix_merge_compareILb0ELb1EsNS0_19identity_decomposerEEEEEvT0_T1_T2_T3_T4_SL_jT5_PKSL_NS1_7vsmem_tE, .Lfunc_end69-_ZN7rocprim17ROCPRIM_304000_NS6detail35device_block_merge_mergepath_kernelINS1_37wrapped_merge_sort_block_merge_configINS0_14default_configEsN2at4cuda3cub6detail10OpaqueTypeILi8EEEEEPsSC_PSA_SD_jNS1_19radix_merge_compareILb0ELb1EsNS0_19identity_decomposerEEEEEvT0_T1_T2_T3_T4_SL_jT5_PKSL_NS1_7vsmem_tE
                                        ; -- End function
	.section	.AMDGPU.csdata,"",@progbits
; Kernel info:
; codeLenInByte = 2468
; NumSgprs: 33
; NumVgprs: 15
; ScratchSize: 0
; MemoryBound: 1
; FloatMode: 240
; IeeeMode: 1
; LDSByteSize: 8208 bytes/workgroup (compile time only)
; SGPRBlocks: 4
; VGPRBlocks: 1
; NumSGPRsForWavesPerEU: 33
; NumVGPRsForWavesPerEU: 15
; Occupancy: 16
; WaveLimiterHint : 1
; COMPUTE_PGM_RSRC2:SCRATCH_EN: 0
; COMPUTE_PGM_RSRC2:USER_SGPR: 13
; COMPUTE_PGM_RSRC2:TRAP_HANDLER: 0
; COMPUTE_PGM_RSRC2:TGID_X_EN: 1
; COMPUTE_PGM_RSRC2:TGID_Y_EN: 1
; COMPUTE_PGM_RSRC2:TGID_Z_EN: 1
; COMPUTE_PGM_RSRC2:TIDIG_COMP_CNT: 0
	.section	.text._ZN7rocprim17ROCPRIM_304000_NS6detail33device_block_merge_oddeven_kernelINS1_37wrapped_merge_sort_block_merge_configINS0_14default_configEsN2at4cuda3cub6detail10OpaqueTypeILi8EEEEEPsSC_PSA_SD_jNS1_19radix_merge_compareILb0ELb1EsNS0_19identity_decomposerEEEEEvT0_T1_T2_T3_T4_SL_T5_,"axG",@progbits,_ZN7rocprim17ROCPRIM_304000_NS6detail33device_block_merge_oddeven_kernelINS1_37wrapped_merge_sort_block_merge_configINS0_14default_configEsN2at4cuda3cub6detail10OpaqueTypeILi8EEEEEPsSC_PSA_SD_jNS1_19radix_merge_compareILb0ELb1EsNS0_19identity_decomposerEEEEEvT0_T1_T2_T3_T4_SL_T5_,comdat
	.protected	_ZN7rocprim17ROCPRIM_304000_NS6detail33device_block_merge_oddeven_kernelINS1_37wrapped_merge_sort_block_merge_configINS0_14default_configEsN2at4cuda3cub6detail10OpaqueTypeILi8EEEEEPsSC_PSA_SD_jNS1_19radix_merge_compareILb0ELb1EsNS0_19identity_decomposerEEEEEvT0_T1_T2_T3_T4_SL_T5_ ; -- Begin function _ZN7rocprim17ROCPRIM_304000_NS6detail33device_block_merge_oddeven_kernelINS1_37wrapped_merge_sort_block_merge_configINS0_14default_configEsN2at4cuda3cub6detail10OpaqueTypeILi8EEEEEPsSC_PSA_SD_jNS1_19radix_merge_compareILb0ELb1EsNS0_19identity_decomposerEEEEEvT0_T1_T2_T3_T4_SL_T5_
	.globl	_ZN7rocprim17ROCPRIM_304000_NS6detail33device_block_merge_oddeven_kernelINS1_37wrapped_merge_sort_block_merge_configINS0_14default_configEsN2at4cuda3cub6detail10OpaqueTypeILi8EEEEEPsSC_PSA_SD_jNS1_19radix_merge_compareILb0ELb1EsNS0_19identity_decomposerEEEEEvT0_T1_T2_T3_T4_SL_T5_
	.p2align	8
	.type	_ZN7rocprim17ROCPRIM_304000_NS6detail33device_block_merge_oddeven_kernelINS1_37wrapped_merge_sort_block_merge_configINS0_14default_configEsN2at4cuda3cub6detail10OpaqueTypeILi8EEEEEPsSC_PSA_SD_jNS1_19radix_merge_compareILb0ELb1EsNS0_19identity_decomposerEEEEEvT0_T1_T2_T3_T4_SL_T5_,@function
_ZN7rocprim17ROCPRIM_304000_NS6detail33device_block_merge_oddeven_kernelINS1_37wrapped_merge_sort_block_merge_configINS0_14default_configEsN2at4cuda3cub6detail10OpaqueTypeILi8EEEEEPsSC_PSA_SD_jNS1_19radix_merge_compareILb0ELb1EsNS0_19identity_decomposerEEEEEvT0_T1_T2_T3_T4_SL_T5_: ; @_ZN7rocprim17ROCPRIM_304000_NS6detail33device_block_merge_oddeven_kernelINS1_37wrapped_merge_sort_block_merge_configINS0_14default_configEsN2at4cuda3cub6detail10OpaqueTypeILi8EEEEEPsSC_PSA_SD_jNS1_19radix_merge_compareILb0ELb1EsNS0_19identity_decomposerEEEEEvT0_T1_T2_T3_T4_SL_T5_
; %bb.0:
	s_load_b128 s[16:19], s[0:1], 0x20
	s_waitcnt lgkmcnt(0)
	s_lshr_b32 s2, s16, 8
	s_delay_alu instid0(SALU_CYCLE_1) | instskip(SKIP_4) | instid1(SALU_CYCLE_1)
	s_cmp_lg_u32 s15, s2
	s_cselect_b32 s4, -1, 0
	s_cmp_eq_u32 s15, s2
	s_cselect_b32 s3, -1, 0
	s_lshl_b32 s12, s15, 8
	s_sub_i32 s2, s16, s12
	s_delay_alu instid0(SALU_CYCLE_1) | instskip(NEXT) | instid1(VALU_DEP_1)
	v_cmp_gt_u32_e64 s2, s2, v0
	s_or_b32 s4, s4, s2
	s_delay_alu instid0(SALU_CYCLE_1)
	s_and_saveexec_b32 s5, s4
	s_cbranch_execz .LBB70_26
; %bb.1:
	s_load_b256 s[4:11], s[0:1], 0x0
	s_mov_b32 s13, 0
	v_lshlrev_b32_e32 v1, 3, v0
	s_lshl_b64 s[0:1], s[12:13], 1
	v_lshlrev_b32_e32 v3, 1, v0
	v_add_nc_u32_e32 v5, s12, v0
	s_waitcnt lgkmcnt(0)
	s_add_u32 s0, s4, s0
	s_addc_u32 s1, s5, s1
	s_lshl_b64 s[20:21], s[12:13], 3
	s_delay_alu instid0(SALU_CYCLE_1) | instskip(SKIP_4) | instid1(SALU_CYCLE_1)
	s_add_u32 s8, s8, s20
	s_addc_u32 s9, s9, s21
	global_load_b64 v[1:2], v1, s[8:9]
	global_load_u16 v7, v3, s[0:1]
	s_lshr_b32 s0, s17, 8
	s_sub_i32 s1, 0, s0
	s_delay_alu instid0(SALU_CYCLE_1) | instskip(NEXT) | instid1(SALU_CYCLE_1)
	s_and_b32 s1, s15, s1
	s_and_b32 s0, s1, s0
	s_lshl_b32 s9, s1, 8
	s_sub_i32 s1, 0, s17
	s_cmp_eq_u32 s0, 0
	s_cselect_b32 s0, -1, 0
	s_delay_alu instid0(SALU_CYCLE_1) | instskip(SKIP_1) | instid1(SALU_CYCLE_1)
	s_and_b32 s8, s0, exec_lo
	s_cselect_b32 s1, s17, s1
	s_add_i32 s1, s1, s9
	s_delay_alu instid0(SALU_CYCLE_1)
	s_cmp_lt_u32 s1, s16
	s_cbranch_scc1 .LBB70_6
; %bb.2:
	s_and_b32 vcc_lo, exec_lo, s3
	s_cbranch_vccz .LBB70_7
; %bb.3:
	s_mov_b32 s8, 0
	s_mov_b32 s12, exec_lo
                                        ; implicit-def: $vgpr3_vgpr4
	v_cmpx_gt_u32_e64 s16, v5
	s_cbranch_execz .LBB70_5
; %bb.4:
	v_mov_b32_e32 v6, 0
	s_mov_b32 s13, exec_lo
	s_delay_alu instid0(VALU_DEP_1) | instskip(SKIP_1) | instid1(VALU_DEP_2)
	v_lshlrev_b64 v[3:4], 1, v[5:6]
	v_lshlrev_b64 v[8:9], 3, v[5:6]
	v_add_co_u32 v10, vcc_lo, s6, v3
	s_delay_alu instid0(VALU_DEP_3) | instskip(NEXT) | instid1(VALU_DEP_3)
	v_add_co_ci_u32_e32 v11, vcc_lo, s7, v4, vcc_lo
	v_add_co_u32 v3, vcc_lo, s10, v8
	s_delay_alu instid0(VALU_DEP_4)
	v_add_co_ci_u32_e32 v4, vcc_lo, s11, v9, vcc_lo
	s_waitcnt vmcnt(0)
	global_store_b16 v[10:11], v7, off
.LBB70_5:
	s_or_b32 exec_lo, exec_lo, s12
	s_delay_alu instid0(SALU_CYCLE_1)
	s_and_b32 vcc_lo, exec_lo, s8
	s_cbranch_vccnz .LBB70_8
	s_branch .LBB70_9
.LBB70_6:
                                        ; implicit-def: $vgpr3_vgpr4
	s_cbranch_execnz .LBB70_10
	s_branch .LBB70_24
.LBB70_7:
                                        ; implicit-def: $vgpr3_vgpr4
	s_cbranch_execz .LBB70_9
.LBB70_8:
	v_mov_b32_e32 v6, 0
	s_or_b32 s13, s13, exec_lo
	s_delay_alu instid0(VALU_DEP_1) | instskip(SKIP_1) | instid1(VALU_DEP_2)
	v_lshlrev_b64 v[3:4], 1, v[5:6]
	v_lshlrev_b64 v[8:9], 3, v[5:6]
	v_add_co_u32 v10, vcc_lo, s6, v3
	s_delay_alu instid0(VALU_DEP_3) | instskip(NEXT) | instid1(VALU_DEP_3)
	v_add_co_ci_u32_e32 v11, vcc_lo, s7, v4, vcc_lo
	v_add_co_u32 v3, vcc_lo, s10, v8
	s_delay_alu instid0(VALU_DEP_4)
	v_add_co_ci_u32_e32 v4, vcc_lo, s11, v9, vcc_lo
	s_waitcnt vmcnt(0)
	global_store_b16 v[10:11], v7, off
.LBB70_9:
	s_branch .LBB70_24
.LBB70_10:
	s_min_u32 s8, s1, s16
	s_and_b32 vcc_lo, exec_lo, s3
	s_add_i32 s12, s9, s8
	s_min_u32 s9, s9, s8
	v_subrev_nc_u32_e32 v0, s12, v5
	s_add_i32 s12, s8, s17
	s_delay_alu instid0(SALU_CYCLE_1) | instskip(NEXT) | instid1(VALU_DEP_1)
	s_min_u32 s3, s12, s16
	v_add_nc_u32_e32 v0, s9, v0
	s_cbranch_vccz .LBB70_18
; %bb.11:
                                        ; implicit-def: $vgpr3_vgpr4
	s_and_saveexec_b32 s9, s2
	s_cbranch_execz .LBB70_17
; %bb.12:
	v_mov_b32_e32 v3, s8
	s_cmp_ge_u32 s1, s3
	s_cbranch_scc1 .LBB70_16
; %bb.13:
	s_waitcnt vmcnt(0)
	v_dual_mov_b32 v5, s3 :: v_dual_and_b32 v4, s18, v7
	v_mov_b32_e32 v3, s8
	s_mov_b32 s2, 0
	.p2align	6
.LBB70_14:                              ; =>This Inner Loop Header: Depth=1
	s_delay_alu instid0(VALU_DEP_1) | instskip(NEXT) | instid1(VALU_DEP_1)
	v_add_nc_u32_e32 v6, v3, v5
	v_and_b32_e32 v8, -2, v6
	v_lshrrev_b32_e32 v6, 1, v6
	global_load_u16 v8, v8, s[4:5]
	s_waitcnt vmcnt(0)
	v_and_b32_e32 v8, s18, v8
	s_delay_alu instid0(VALU_DEP_1) | instskip(SKIP_3) | instid1(VALU_DEP_1)
	v_cmp_gt_i16_e32 vcc_lo, v4, v8
	v_cndmask_b32_e64 v9, 0, 1, vcc_lo
	v_cmp_le_i16_e32 vcc_lo, v8, v4
	v_cndmask_b32_e64 v8, 0, 1, vcc_lo
	v_cndmask_b32_e64 v8, v8, v9, s0
	v_add_nc_u32_e32 v9, 1, v6
	s_delay_alu instid0(VALU_DEP_2) | instskip(NEXT) | instid1(VALU_DEP_1)
	v_and_b32_e32 v8, 1, v8
	v_cmp_eq_u32_e32 vcc_lo, 1, v8
	s_delay_alu instid0(VALU_DEP_3) | instskip(SKIP_1) | instid1(VALU_DEP_1)
	v_cndmask_b32_e32 v3, v3, v9, vcc_lo
	v_cndmask_b32_e32 v5, v6, v5, vcc_lo
	v_cmp_ge_u32_e32 vcc_lo, v3, v5
	s_or_b32 s2, vcc_lo, s2
	s_delay_alu instid0(SALU_CYCLE_1)
	s_and_not1_b32 exec_lo, exec_lo, s2
	s_cbranch_execnz .LBB70_14
; %bb.15:
	s_or_b32 exec_lo, exec_lo, s2
.LBB70_16:
	s_delay_alu instid0(VALU_DEP_1) | instskip(SKIP_1) | instid1(VALU_DEP_1)
	v_dual_mov_b32 v4, 0 :: v_dual_add_nc_u32 v3, v3, v0
	s_or_b32 s13, s13, exec_lo
	v_lshlrev_b64 v[5:6], 1, v[3:4]
	v_lshlrev_b64 v[3:4], 3, v[3:4]
	s_delay_alu instid0(VALU_DEP_2) | instskip(NEXT) | instid1(VALU_DEP_3)
	v_add_co_u32 v5, vcc_lo, s6, v5
	v_add_co_ci_u32_e32 v6, vcc_lo, s7, v6, vcc_lo
	s_delay_alu instid0(VALU_DEP_3) | instskip(NEXT) | instid1(VALU_DEP_4)
	v_add_co_u32 v3, vcc_lo, s10, v3
	v_add_co_ci_u32_e32 v4, vcc_lo, s11, v4, vcc_lo
	s_waitcnt vmcnt(0)
	global_store_b16 v[5:6], v7, off
.LBB70_17:
	s_or_b32 exec_lo, exec_lo, s9
	s_branch .LBB70_24
.LBB70_18:
                                        ; implicit-def: $vgpr3_vgpr4
	s_cbranch_execz .LBB70_24
; %bb.19:
	v_mov_b32_e32 v3, s8
	s_cmp_ge_u32 s1, s3
	s_cbranch_scc1 .LBB70_23
; %bb.20:
	s_waitcnt vmcnt(0)
	v_dual_mov_b32 v5, s3 :: v_dual_and_b32 v4, s18, v7
	v_mov_b32_e32 v3, s8
	s_mov_b32 s1, 0
	.p2align	6
.LBB70_21:                              ; =>This Inner Loop Header: Depth=1
	s_delay_alu instid0(VALU_DEP_1) | instskip(NEXT) | instid1(VALU_DEP_1)
	v_add_nc_u32_e32 v6, v3, v5
	v_and_b32_e32 v8, -2, v6
	v_lshrrev_b32_e32 v6, 1, v6
	global_load_u16 v8, v8, s[4:5]
	s_waitcnt vmcnt(0)
	v_and_b32_e32 v8, s18, v8
	s_delay_alu instid0(VALU_DEP_1) | instskip(SKIP_3) | instid1(VALU_DEP_1)
	v_cmp_gt_i16_e32 vcc_lo, v4, v8
	v_cndmask_b32_e64 v9, 0, 1, vcc_lo
	v_cmp_le_i16_e32 vcc_lo, v8, v4
	v_cndmask_b32_e64 v8, 0, 1, vcc_lo
	v_cndmask_b32_e64 v8, v8, v9, s0
	v_add_nc_u32_e32 v9, 1, v6
	s_delay_alu instid0(VALU_DEP_2) | instskip(NEXT) | instid1(VALU_DEP_1)
	v_and_b32_e32 v8, 1, v8
	v_cmp_eq_u32_e32 vcc_lo, 1, v8
	s_delay_alu instid0(VALU_DEP_3) | instskip(SKIP_1) | instid1(VALU_DEP_1)
	v_cndmask_b32_e32 v3, v3, v9, vcc_lo
	v_cndmask_b32_e32 v5, v6, v5, vcc_lo
	v_cmp_ge_u32_e32 vcc_lo, v3, v5
	s_or_b32 s1, vcc_lo, s1
	s_delay_alu instid0(SALU_CYCLE_1)
	s_and_not1_b32 exec_lo, exec_lo, s1
	s_cbranch_execnz .LBB70_21
; %bb.22:
	s_or_b32 exec_lo, exec_lo, s1
.LBB70_23:
	s_delay_alu instid0(VALU_DEP_1) | instskip(SKIP_1) | instid1(VALU_DEP_1)
	v_dual_mov_b32 v4, 0 :: v_dual_add_nc_u32 v3, v3, v0
	s_mov_b32 s13, -1
	v_lshlrev_b64 v[5:6], 1, v[3:4]
	v_lshlrev_b64 v[3:4], 3, v[3:4]
	s_delay_alu instid0(VALU_DEP_2) | instskip(NEXT) | instid1(VALU_DEP_3)
	v_add_co_u32 v5, vcc_lo, s6, v5
	v_add_co_ci_u32_e32 v6, vcc_lo, s7, v6, vcc_lo
	s_delay_alu instid0(VALU_DEP_3) | instskip(NEXT) | instid1(VALU_DEP_4)
	v_add_co_u32 v3, vcc_lo, s10, v3
	v_add_co_ci_u32_e32 v4, vcc_lo, s11, v4, vcc_lo
	s_waitcnt vmcnt(0)
	global_store_b16 v[5:6], v7, off
.LBB70_24:
	s_and_b32 exec_lo, exec_lo, s13
	s_cbranch_execz .LBB70_26
; %bb.25:
	s_waitcnt vmcnt(1)
	global_store_b64 v[3:4], v[1:2], off
.LBB70_26:
	s_nop 0
	s_sendmsg sendmsg(MSG_DEALLOC_VGPRS)
	s_endpgm
	.section	.rodata,"a",@progbits
	.p2align	6, 0x0
	.amdhsa_kernel _ZN7rocprim17ROCPRIM_304000_NS6detail33device_block_merge_oddeven_kernelINS1_37wrapped_merge_sort_block_merge_configINS0_14default_configEsN2at4cuda3cub6detail10OpaqueTypeILi8EEEEEPsSC_PSA_SD_jNS1_19radix_merge_compareILb0ELb1EsNS0_19identity_decomposerEEEEEvT0_T1_T2_T3_T4_SL_T5_
		.amdhsa_group_segment_fixed_size 0
		.amdhsa_private_segment_fixed_size 0
		.amdhsa_kernarg_size 44
		.amdhsa_user_sgpr_count 15
		.amdhsa_user_sgpr_dispatch_ptr 0
		.amdhsa_user_sgpr_queue_ptr 0
		.amdhsa_user_sgpr_kernarg_segment_ptr 1
		.amdhsa_user_sgpr_dispatch_id 0
		.amdhsa_user_sgpr_private_segment_size 0
		.amdhsa_wavefront_size32 1
		.amdhsa_uses_dynamic_stack 0
		.amdhsa_enable_private_segment 0
		.amdhsa_system_sgpr_workgroup_id_x 1
		.amdhsa_system_sgpr_workgroup_id_y 0
		.amdhsa_system_sgpr_workgroup_id_z 0
		.amdhsa_system_sgpr_workgroup_info 0
		.amdhsa_system_vgpr_workitem_id 0
		.amdhsa_next_free_vgpr 12
		.amdhsa_next_free_sgpr 22
		.amdhsa_reserve_vcc 1
		.amdhsa_float_round_mode_32 0
		.amdhsa_float_round_mode_16_64 0
		.amdhsa_float_denorm_mode_32 3
		.amdhsa_float_denorm_mode_16_64 3
		.amdhsa_dx10_clamp 1
		.amdhsa_ieee_mode 1
		.amdhsa_fp16_overflow 0
		.amdhsa_workgroup_processor_mode 1
		.amdhsa_memory_ordered 1
		.amdhsa_forward_progress 0
		.amdhsa_shared_vgpr_count 0
		.amdhsa_exception_fp_ieee_invalid_op 0
		.amdhsa_exception_fp_denorm_src 0
		.amdhsa_exception_fp_ieee_div_zero 0
		.amdhsa_exception_fp_ieee_overflow 0
		.amdhsa_exception_fp_ieee_underflow 0
		.amdhsa_exception_fp_ieee_inexact 0
		.amdhsa_exception_int_div_zero 0
	.end_amdhsa_kernel
	.section	.text._ZN7rocprim17ROCPRIM_304000_NS6detail33device_block_merge_oddeven_kernelINS1_37wrapped_merge_sort_block_merge_configINS0_14default_configEsN2at4cuda3cub6detail10OpaqueTypeILi8EEEEEPsSC_PSA_SD_jNS1_19radix_merge_compareILb0ELb1EsNS0_19identity_decomposerEEEEEvT0_T1_T2_T3_T4_SL_T5_,"axG",@progbits,_ZN7rocprim17ROCPRIM_304000_NS6detail33device_block_merge_oddeven_kernelINS1_37wrapped_merge_sort_block_merge_configINS0_14default_configEsN2at4cuda3cub6detail10OpaqueTypeILi8EEEEEPsSC_PSA_SD_jNS1_19radix_merge_compareILb0ELb1EsNS0_19identity_decomposerEEEEEvT0_T1_T2_T3_T4_SL_T5_,comdat
.Lfunc_end70:
	.size	_ZN7rocprim17ROCPRIM_304000_NS6detail33device_block_merge_oddeven_kernelINS1_37wrapped_merge_sort_block_merge_configINS0_14default_configEsN2at4cuda3cub6detail10OpaqueTypeILi8EEEEEPsSC_PSA_SD_jNS1_19radix_merge_compareILb0ELb1EsNS0_19identity_decomposerEEEEEvT0_T1_T2_T3_T4_SL_T5_, .Lfunc_end70-_ZN7rocprim17ROCPRIM_304000_NS6detail33device_block_merge_oddeven_kernelINS1_37wrapped_merge_sort_block_merge_configINS0_14default_configEsN2at4cuda3cub6detail10OpaqueTypeILi8EEEEEPsSC_PSA_SD_jNS1_19radix_merge_compareILb0ELb1EsNS0_19identity_decomposerEEEEEvT0_T1_T2_T3_T4_SL_T5_
                                        ; -- End function
	.section	.AMDGPU.csdata,"",@progbits
; Kernel info:
; codeLenInByte = 964
; NumSgprs: 24
; NumVgprs: 12
; ScratchSize: 0
; MemoryBound: 0
; FloatMode: 240
; IeeeMode: 1
; LDSByteSize: 0 bytes/workgroup (compile time only)
; SGPRBlocks: 2
; VGPRBlocks: 1
; NumSGPRsForWavesPerEU: 24
; NumVGPRsForWavesPerEU: 12
; Occupancy: 16
; WaveLimiterHint : 0
; COMPUTE_PGM_RSRC2:SCRATCH_EN: 0
; COMPUTE_PGM_RSRC2:USER_SGPR: 15
; COMPUTE_PGM_RSRC2:TRAP_HANDLER: 0
; COMPUTE_PGM_RSRC2:TGID_X_EN: 1
; COMPUTE_PGM_RSRC2:TGID_Y_EN: 0
; COMPUTE_PGM_RSRC2:TGID_Z_EN: 0
; COMPUTE_PGM_RSRC2:TIDIG_COMP_CNT: 0
	.section	.text._ZN7rocprim17ROCPRIM_304000_NS6detail26onesweep_histograms_kernelINS1_34wrapped_radix_sort_onesweep_configINS0_14default_configEsN2at4cuda3cub6detail10OpaqueTypeILi8EEEEELb0EPKsmNS0_19identity_decomposerEEEvT1_PT2_SG_SG_T3_jj,"axG",@progbits,_ZN7rocprim17ROCPRIM_304000_NS6detail26onesweep_histograms_kernelINS1_34wrapped_radix_sort_onesweep_configINS0_14default_configEsN2at4cuda3cub6detail10OpaqueTypeILi8EEEEELb0EPKsmNS0_19identity_decomposerEEEvT1_PT2_SG_SG_T3_jj,comdat
	.protected	_ZN7rocprim17ROCPRIM_304000_NS6detail26onesweep_histograms_kernelINS1_34wrapped_radix_sort_onesweep_configINS0_14default_configEsN2at4cuda3cub6detail10OpaqueTypeILi8EEEEELb0EPKsmNS0_19identity_decomposerEEEvT1_PT2_SG_SG_T3_jj ; -- Begin function _ZN7rocprim17ROCPRIM_304000_NS6detail26onesweep_histograms_kernelINS1_34wrapped_radix_sort_onesweep_configINS0_14default_configEsN2at4cuda3cub6detail10OpaqueTypeILi8EEEEELb0EPKsmNS0_19identity_decomposerEEEvT1_PT2_SG_SG_T3_jj
	.globl	_ZN7rocprim17ROCPRIM_304000_NS6detail26onesweep_histograms_kernelINS1_34wrapped_radix_sort_onesweep_configINS0_14default_configEsN2at4cuda3cub6detail10OpaqueTypeILi8EEEEELb0EPKsmNS0_19identity_decomposerEEEvT1_PT2_SG_SG_T3_jj
	.p2align	8
	.type	_ZN7rocprim17ROCPRIM_304000_NS6detail26onesweep_histograms_kernelINS1_34wrapped_radix_sort_onesweep_configINS0_14default_configEsN2at4cuda3cub6detail10OpaqueTypeILi8EEEEELb0EPKsmNS0_19identity_decomposerEEEvT1_PT2_SG_SG_T3_jj,@function
_ZN7rocprim17ROCPRIM_304000_NS6detail26onesweep_histograms_kernelINS1_34wrapped_radix_sort_onesweep_configINS0_14default_configEsN2at4cuda3cub6detail10OpaqueTypeILi8EEEEELb0EPKsmNS0_19identity_decomposerEEEvT1_PT2_SG_SG_T3_jj: ; @_ZN7rocprim17ROCPRIM_304000_NS6detail26onesweep_histograms_kernelINS1_34wrapped_radix_sort_onesweep_configINS0_14default_configEsN2at4cuda3cub6detail10OpaqueTypeILi8EEEEELb0EPKsmNS0_19identity_decomposerEEEvT1_PT2_SG_SG_T3_jj
; %bb.0:
	s_clause 0x1
	s_load_b256 s[4:11], s[0:1], 0x0
	s_load_b64 s[12:13], s[0:1], 0x24
	s_mov_b32 s2, s15
	s_mov_b32 s3, 0
	v_lshlrev_b32_e32 v5, 1, v0
	s_lshl_b64 s[0:1], s[2:3], 13
	s_waitcnt lgkmcnt(0)
	v_cmp_ge_u64_e64 s9, s[2:3], s[10:11]
	s_add_u32 s4, s4, s0
	s_addc_u32 s5, s5, s1
	s_mov_b32 s0, -1
	s_delay_alu instid0(VALU_DEP_1)
	s_and_b32 vcc_lo, exec_lo, s9
	s_cbranch_vccz .LBB71_34
; %bb.1:
	s_lshl_b32 s0, s10, 12
                                        ; implicit-def: $vgpr1_vgpr2
	s_delay_alu instid0(SALU_CYCLE_1) | instskip(SKIP_1) | instid1(VALU_DEP_1)
	s_sub_i32 s3, s8, s0
	v_add_co_u32 v3, s0, s4, v5
	v_add_co_ci_u32_e64 v4, null, s5, 0, s0
	v_cmp_gt_u32_e64 s2, s3, v0
	s_delay_alu instid0(VALU_DEP_1)
	s_and_saveexec_b32 s0, s2
	s_cbranch_execz .LBB71_3
; %bb.2:
	global_load_d16_b16 v1, v[3:4], off
.LBB71_3:
	s_or_b32 exec_lo, exec_lo, s0
	v_or_b32_e32 v6, 0x400, v0
	s_delay_alu instid0(VALU_DEP_1) | instskip(NEXT) | instid1(VALU_DEP_1)
	v_cmp_gt_u32_e64 s1, s3, v6
	s_and_saveexec_b32 s0, s1
	s_cbranch_execz .LBB71_5
; %bb.4:
	global_load_d16_hi_b16 v1, v[3:4], off offset:2048
.LBB71_5:
	s_or_b32 exec_lo, exec_lo, s0
	v_or_b32_e32 v6, 0x800, v0
	s_delay_alu instid0(VALU_DEP_1) | instskip(NEXT) | instid1(VALU_DEP_1)
	v_cmp_gt_u32_e64 s0, s3, v6
	s_and_saveexec_b32 s8, s0
	s_cbranch_execz .LBB71_7
; %bb.6:
	v_add_co_u32 v6, vcc_lo, 0x1000, v3
	v_add_co_ci_u32_e32 v7, vcc_lo, 0, v4, vcc_lo
	global_load_d16_b16 v2, v[6:7], off
.LBB71_7:
	s_or_b32 exec_lo, exec_lo, s8
	v_or_b32_e32 v6, 0xc00, v0
	s_delay_alu instid0(VALU_DEP_1)
	v_cmp_gt_u32_e32 vcc_lo, s3, v6
	s_and_saveexec_b32 s8, vcc_lo
	s_cbranch_execz .LBB71_9
; %bb.8:
	v_add_co_u32 v3, s3, 0x1000, v3
	s_delay_alu instid0(VALU_DEP_1)
	v_add_co_ci_u32_e64 v4, s3, 0, v4, s3
	global_load_d16_hi_b16 v2, v[3:4], off offset:2048
.LBB71_9:
	s_or_b32 exec_lo, exec_lo, s8
	v_or_b32_e32 v3, 0xfffffc00, v0
	v_lshlrev_b32_e32 v4, 2, v0
	v_mov_b32_e32 v6, 0
	s_mov_b32 s3, 0
.LBB71_10:                              ; =>This Inner Loop Header: Depth=1
	s_delay_alu instid0(VALU_DEP_3) | instskip(NEXT) | instid1(VALU_DEP_1)
	v_add_co_u32 v3, s8, 0x400, v3
	s_xor_b32 s8, s8, -1
	ds_store_b32 v4, v6
	v_add_nc_u32_e32 v4, 0x1000, v4
	s_and_b32 s8, exec_lo, s8
	s_delay_alu instid0(SALU_CYCLE_1) | instskip(NEXT) | instid1(SALU_CYCLE_1)
	s_or_b32 s3, s8, s3
	s_and_not1_b32 exec_lo, exec_lo, s3
	s_cbranch_execnz .LBB71_10
; %bb.11:
	s_or_b32 exec_lo, exec_lo, s3
	s_cmp_gt_u32 s13, s12
	s_waitcnt vmcnt(0) lgkmcnt(0)
	s_cselect_b32 s3, -1, 0
	s_cmp_le_u32 s13, s12
	s_barrier
	buffer_gl0_inv
	s_cbranch_scc1 .LBB71_28
; %bb.12:
	v_dual_mov_b32 v6, 1 :: v_dual_and_b32 v3, 3, v0
	v_xor_b32_e32 v4, 0xffff8000, v1
	s_sub_i32 s8, s13, s12
	s_mov_b32 s10, s12
	s_delay_alu instid0(VALU_DEP_2) | instskip(SKIP_1) | instid1(VALU_DEP_1)
	v_lshlrev_b32_e32 v3, 2, v3
	s_mov_b32 s9, s8
	v_dual_mov_b32 v7, v3 :: v_dual_and_b32 v4, 0xffff, v4
	s_branch .LBB71_14
	.p2align	6
.LBB71_13:                              ;   in Loop: Header=BB71_14 Depth=1
	s_or_b32 exec_lo, exec_lo, s11
	v_add_nc_u32_e32 v7, 0x1000, v7
	s_add_i32 s10, s10, 8
	s_add_i32 s9, s9, -8
	s_cmp_ge_u32 s10, s13
	s_cbranch_scc1 .LBB71_16
.LBB71_14:                              ; =>This Inner Loop Header: Depth=1
	s_and_saveexec_b32 s11, s2
	s_cbranch_execz .LBB71_13
; %bb.15:                               ;   in Loop: Header=BB71_14 Depth=1
	s_delay_alu instid0(VALU_DEP_1)
	v_lshrrev_b32_e32 v8, s10, v4
	s_min_u32 s14, s9, 8
	s_delay_alu instid0(VALU_DEP_1) | instid1(SALU_CYCLE_1)
	v_bfe_u32 v8, v8, 0, s14
	s_delay_alu instid0(VALU_DEP_1)
	v_lshl_add_u32 v8, v8, 4, v7
	ds_add_u32 v8, v6
	s_branch .LBB71_13
.LBB71_16:
	v_lshrrev_b32_e32 v1, 16, v1
	v_mov_b32_e32 v6, v3
	s_mov_b32 s2, s8
	s_mov_b32 s9, s12
	s_delay_alu instid0(VALU_DEP_2) | instskip(NEXT) | instid1(VALU_DEP_1)
	v_xor_b32_e32 v4, 0xffff8000, v1
	v_dual_mov_b32 v1, 1 :: v_dual_and_b32 v4, 0xffff, v4
	s_branch .LBB71_18
	.p2align	6
.LBB71_17:                              ;   in Loop: Header=BB71_18 Depth=1
	s_or_b32 exec_lo, exec_lo, s10
	v_add_nc_u32_e32 v6, 0x1000, v6
	s_add_i32 s9, s9, 8
	s_add_i32 s2, s2, -8
	s_cmp_lt_u32 s9, s13
	s_cbranch_scc0 .LBB71_20
.LBB71_18:                              ; =>This Inner Loop Header: Depth=1
	s_and_saveexec_b32 s10, s1
	s_cbranch_execz .LBB71_17
; %bb.19:                               ;   in Loop: Header=BB71_18 Depth=1
	s_delay_alu instid0(VALU_DEP_1)
	v_lshrrev_b32_e32 v7, s9, v4
	s_min_u32 s11, s2, 8
	s_delay_alu instid0(VALU_DEP_1) | instid1(SALU_CYCLE_1)
	v_bfe_u32 v7, v7, 0, s11
	s_delay_alu instid0(VALU_DEP_1)
	v_lshl_add_u32 v7, v7, 4, v6
	ds_add_u32 v7, v1
	s_branch .LBB71_17
.LBB71_20:
	v_xor_b32_e32 v4, 0xffff8000, v2
	v_dual_mov_b32 v1, 1 :: v_dual_mov_b32 v6, v3
	s_mov_b32 s1, s8
	s_mov_b32 s2, s12
	s_delay_alu instid0(VALU_DEP_2)
	v_and_b32_e32 v4, 0xffff, v4
	s_branch .LBB71_22
	.p2align	6
.LBB71_21:                              ;   in Loop: Header=BB71_22 Depth=1
	s_or_b32 exec_lo, exec_lo, s9
	v_add_nc_u32_e32 v6, 0x1000, v6
	s_add_i32 s2, s2, 8
	s_add_i32 s1, s1, -8
	s_cmp_lt_u32 s2, s13
	s_cbranch_scc0 .LBB71_24
.LBB71_22:                              ; =>This Inner Loop Header: Depth=1
	s_and_saveexec_b32 s9, s0
	s_cbranch_execz .LBB71_21
; %bb.23:                               ;   in Loop: Header=BB71_22 Depth=1
	s_delay_alu instid0(VALU_DEP_1)
	v_lshrrev_b32_e32 v7, s2, v4
	s_min_u32 s10, s1, 8
	s_delay_alu instid0(VALU_DEP_1) | instid1(SALU_CYCLE_1)
	v_bfe_u32 v7, v7, 0, s10
	s_delay_alu instid0(VALU_DEP_1)
	v_lshl_add_u32 v7, v7, 4, v6
	ds_add_u32 v7, v1
	s_branch .LBB71_21
.LBB71_24:
	v_lshrrev_b32_e32 v1, 16, v2
	s_mov_b32 s0, s12
	v_mov_b32_e32 v2, 1
	s_delay_alu instid0(VALU_DEP_2) | instskip(NEXT) | instid1(VALU_DEP_1)
	v_xor_b32_e32 v1, 0xffff8000, v1
	v_and_b32_e32 v1, 0xffff, v1
	s_branch .LBB71_26
	.p2align	6
.LBB71_25:                              ;   in Loop: Header=BB71_26 Depth=1
	s_or_b32 exec_lo, exec_lo, s1
	v_add_nc_u32_e32 v3, 0x1000, v3
	s_add_i32 s0, s0, 8
	s_add_i32 s8, s8, -8
	s_cmp_lt_u32 s0, s13
	s_cbranch_scc0 .LBB71_28
.LBB71_26:                              ; =>This Inner Loop Header: Depth=1
	s_and_saveexec_b32 s1, vcc_lo
	s_cbranch_execz .LBB71_25
; %bb.27:                               ;   in Loop: Header=BB71_26 Depth=1
	s_delay_alu instid0(VALU_DEP_1)
	v_lshrrev_b32_e32 v4, s0, v1
	s_min_u32 s2, s8, 8
	s_delay_alu instid0(VALU_DEP_1) | instid1(SALU_CYCLE_1)
	v_bfe_u32 v4, v4, 0, s2
	s_delay_alu instid0(VALU_DEP_1)
	v_lshl_add_u32 v4, v4, 4, v3
	ds_add_u32 v4, v2
	s_branch .LBB71_25
.LBB71_28:
	s_and_b32 vcc_lo, exec_lo, s3
	s_waitcnt lgkmcnt(0)
	s_barrier
	buffer_gl0_inv
	s_cbranch_vccz .LBB71_33
; %bb.29:
	v_cmp_gt_u32_e32 vcc_lo, 0x100, v0
	v_dual_mov_b32 v2, 0 :: v_dual_lshlrev_b32 v3, 4, v0
	v_mov_b32_e32 v1, v0
	s_mov_b32 s1, s12
	s_set_inst_prefetch_distance 0x1
	s_branch .LBB71_31
	.p2align	6
.LBB71_30:                              ;   in Loop: Header=BB71_31 Depth=1
	s_or_b32 exec_lo, exec_lo, s2
	v_add_nc_u32_e32 v1, 0x100, v1
	v_add_nc_u32_e32 v3, 0x1000, v3
	s_add_i32 s1, s1, 8
	s_delay_alu instid0(SALU_CYCLE_1)
	s_cmp_lt_u32 s1, s13
	s_cbranch_scc0 .LBB71_33
.LBB71_31:                              ; =>This Inner Loop Header: Depth=1
	s_and_saveexec_b32 s2, vcc_lo
	s_cbranch_execz .LBB71_30
; %bb.32:                               ;   in Loop: Header=BB71_31 Depth=1
	ds_load_2addr_b32 v[6:7], v3 offset1:1
	ds_load_2addr_b32 v[8:9], v3 offset0:2 offset1:3
	v_lshlrev_b64 v[10:11], 3, v[1:2]
	s_waitcnt lgkmcnt(1)
	v_add_nc_u32_e32 v4, v7, v6
	s_delay_alu instid0(VALU_DEP_2) | instskip(NEXT) | instid1(VALU_DEP_1)
	v_add_co_u32 v6, s0, s6, v10
	v_add_co_ci_u32_e64 v7, s0, s7, v11, s0
	s_waitcnt lgkmcnt(0)
	s_delay_alu instid0(VALU_DEP_3)
	v_add3_u32 v8, v4, v8, v9
	v_mov_b32_e32 v9, v2
	global_atomic_add_u64 v[6:7], v[8:9], off
	s_branch .LBB71_30
.LBB71_33:
	s_set_inst_prefetch_distance 0x2
	s_mov_b32 s0, 0
.LBB71_34:
	s_delay_alu instid0(SALU_CYCLE_1)
	s_and_b32 vcc_lo, exec_lo, s0
	s_cbranch_vccz .LBB71_58
; %bb.35:
	v_add_co_u32 v1, s0, s4, v5
	s_delay_alu instid0(VALU_DEP_1) | instskip(SKIP_1) | instid1(VALU_DEP_2)
	v_add_co_ci_u32_e64 v2, null, s5, 0, s0
	s_cmp_eq_u32 s12, 0
	v_add_co_u32 v1, vcc_lo, 0x1000, v1
	s_delay_alu instid0(VALU_DEP_2)
	v_add_co_ci_u32_e32 v2, vcc_lo, 0, v2, vcc_lo
	s_cselect_b32 s0, -1, 0
	s_cmp_eq_u32 s13, 16
	s_clause 0x3
	global_load_u16 v7, v5, s[4:5] offset:2048
	global_load_u16 v6, v[1:2], off
	global_load_u16 v5, v5, s[4:5]
	global_load_u16 v4, v[1:2], off offset:2048
	s_cselect_b32 s1, -1, 0
	v_or_b32_e32 v8, 0xfffffc00, v0
	v_lshlrev_b32_e32 v3, 2, v0
	s_and_b32 s1, s0, s1
	s_mov_b32 s0, 0
	s_and_b32 vcc_lo, exec_lo, s1
	s_mov_b32 s1, -1
	s_cbranch_vccnz .LBB71_53
; %bb.36:
	v_or_b32_e32 v1, 0xfffffc00, v0
	v_dual_mov_b32 v9, 0 :: v_dual_lshlrev_b32 v2, 2, v0
.LBB71_37:                              ; =>This Inner Loop Header: Depth=1
	s_delay_alu instid0(VALU_DEP_2) | instskip(NEXT) | instid1(VALU_DEP_1)
	v_add_co_u32 v1, s1, 0x400, v1
	s_xor_b32 s1, s1, -1
	ds_store_b32 v2, v9
	v_add_nc_u32_e32 v2, 0x1000, v2
	s_and_b32 s1, exec_lo, s1
	s_delay_alu instid0(SALU_CYCLE_1) | instskip(NEXT) | instid1(SALU_CYCLE_1)
	s_or_b32 s0, s1, s0
	s_and_not1_b32 exec_lo, exec_lo, s0
	s_cbranch_execnz .LBB71_37
; %bb.38:
	s_or_b32 exec_lo, exec_lo, s0
	s_cmp_gt_u32 s13, s12
	s_waitcnt vmcnt(0) lgkmcnt(0)
	s_waitcnt_vscnt null, 0x0
	s_cselect_b32 s0, -1, 0
	s_cmp_le_u32 s13, s12
	s_barrier
	buffer_gl0_inv
	s_cbranch_scc1 .LBB71_47
; %bb.39:
	v_and_b32_e32 v1, 3, v0
	v_xor_b32_e32 v2, 0xffff8000, v5
	s_sub_i32 s1, s13, s12
	s_mov_b32 s3, s12
	s_mov_b32 s2, s1
	v_lshlrev_b32_e32 v1, 2, v1
	v_dual_mov_b32 v9, 1 :: v_dual_and_b32 v2, 0xffff, v2
	s_delay_alu instid0(VALU_DEP_2)
	v_mov_b32_e32 v10, v1
.LBB71_40:                              ; =>This Inner Loop Header: Depth=1
	s_delay_alu instid0(VALU_DEP_2)
	v_lshrrev_b32_e32 v11, s3, v2
	s_min_u32 s4, s2, 8
	s_add_i32 s3, s3, 8
	s_add_i32 s2, s2, -8
	s_cmp_ge_u32 s3, s13
	v_bfe_u32 v11, v11, 0, s4
	s_delay_alu instid0(VALU_DEP_1)
	v_lshl_add_u32 v11, v11, 4, v10
	v_add_nc_u32_e32 v10, 0x1000, v10
	ds_add_u32 v11, v9
	s_cbranch_scc0 .LBB71_40
; %bb.41:
	v_xor_b32_e32 v9, 0xffff8000, v7
	v_mov_b32_e32 v2, 1
	v_mov_b32_e32 v10, v1
	s_mov_b32 s2, s1
	s_mov_b32 s3, s12
	v_and_b32_e32 v9, 0xffff, v9
.LBB71_42:                              ; =>This Inner Loop Header: Depth=1
	s_delay_alu instid0(VALU_DEP_1)
	v_lshrrev_b32_e32 v11, s3, v9
	s_min_u32 s4, s2, 8
	s_add_i32 s3, s3, 8
	s_add_i32 s2, s2, -8
	s_cmp_lt_u32 s3, s13
	v_bfe_u32 v11, v11, 0, s4
	s_delay_alu instid0(VALU_DEP_1)
	v_lshl_add_u32 v11, v11, 4, v10
	v_add_nc_u32_e32 v10, 0x1000, v10
	ds_add_u32 v11, v2
	s_cbranch_scc1 .LBB71_42
; %bb.43:
	v_xor_b32_e32 v9, 0xffff8000, v6
	v_mov_b32_e32 v2, 1
	v_mov_b32_e32 v10, v1
	s_mov_b32 s2, s1
	s_mov_b32 s3, s12
	v_and_b32_e32 v9, 0xffff, v9
.LBB71_44:                              ; =>This Inner Loop Header: Depth=1
	s_delay_alu instid0(VALU_DEP_1)
	v_lshrrev_b32_e32 v11, s3, v9
	s_min_u32 s4, s2, 8
	s_add_i32 s3, s3, 8
	s_add_i32 s2, s2, -8
	s_cmp_lt_u32 s3, s13
	v_bfe_u32 v11, v11, 0, s4
	s_delay_alu instid0(VALU_DEP_1)
	v_lshl_add_u32 v11, v11, 4, v10
	v_add_nc_u32_e32 v10, 0x1000, v10
	ds_add_u32 v11, v2
	s_cbranch_scc1 .LBB71_44
; %bb.45:
	v_xor_b32_e32 v2, 0xffff8000, v4
	s_mov_b32 s2, s12
	s_delay_alu instid0(VALU_DEP_1)
	v_dual_mov_b32 v9, 1 :: v_dual_and_b32 v2, 0xffff, v2
.LBB71_46:                              ; =>This Inner Loop Header: Depth=1
	s_delay_alu instid0(VALU_DEP_1)
	v_lshrrev_b32_e32 v10, s2, v2
	s_min_u32 s3, s1, 8
	s_add_i32 s2, s2, 8
	s_add_i32 s1, s1, -8
	s_cmp_lt_u32 s2, s13
	v_bfe_u32 v10, v10, 0, s3
	s_delay_alu instid0(VALU_DEP_1)
	v_lshl_add_u32 v10, v10, 4, v1
	v_add_nc_u32_e32 v1, 0x1000, v1
	ds_add_u32 v10, v9
	s_cbranch_scc1 .LBB71_46
.LBB71_47:
	s_and_b32 vcc_lo, exec_lo, s0
	s_waitcnt lgkmcnt(0)
	s_barrier
	buffer_gl0_inv
	s_cbranch_vccz .LBB71_52
; %bb.48:
	v_cmp_gt_u32_e32 vcc_lo, 0x100, v0
	v_dual_mov_b32 v2, 0 :: v_dual_lshlrev_b32 v9, 4, v0
	v_mov_b32_e32 v1, v0
	s_set_inst_prefetch_distance 0x1
	s_branch .LBB71_50
	.p2align	6
.LBB71_49:                              ;   in Loop: Header=BB71_50 Depth=1
	s_or_b32 exec_lo, exec_lo, s1
	v_add_nc_u32_e32 v1, 0x100, v1
	v_add_nc_u32_e32 v9, 0x1000, v9
	s_add_i32 s12, s12, 8
	s_delay_alu instid0(SALU_CYCLE_1)
	s_cmp_ge_u32 s12, s13
	s_cbranch_scc1 .LBB71_52
.LBB71_50:                              ; =>This Inner Loop Header: Depth=1
	s_and_saveexec_b32 s1, vcc_lo
	s_cbranch_execz .LBB71_49
; %bb.51:                               ;   in Loop: Header=BB71_50 Depth=1
	ds_load_2addr_b32 v[10:11], v9 offset1:1
	ds_load_2addr_b32 v[12:13], v9 offset0:2 offset1:3
	v_lshlrev_b64 v[14:15], 3, v[1:2]
	s_waitcnt lgkmcnt(1)
	v_add_nc_u32_e32 v16, v11, v10
	s_delay_alu instid0(VALU_DEP_2) | instskip(NEXT) | instid1(VALU_DEP_1)
	v_add_co_u32 v10, s0, s6, v14
	v_add_co_ci_u32_e64 v11, s0, s7, v15, s0
	s_waitcnt lgkmcnt(0)
	s_delay_alu instid0(VALU_DEP_3)
	v_add3_u32 v12, v16, v12, v13
	v_mov_b32_e32 v13, v2
	global_atomic_add_u64 v[10:11], v[12:13], off
	s_branch .LBB71_49
.LBB71_52:
	s_set_inst_prefetch_distance 0x2
	s_mov_b32 s1, 0
.LBB71_53:
	s_delay_alu instid0(SALU_CYCLE_1)
	s_and_b32 vcc_lo, exec_lo, s1
	s_cbranch_vccz .LBB71_58
; %bb.54:
	v_dual_mov_b32 v1, 0 :: v_dual_mov_b32 v2, v3
	s_mov_b32 s0, 0
.LBB71_55:                              ; =>This Inner Loop Header: Depth=1
	v_add_co_u32 v8, s1, 0x400, v8
	s_delay_alu instid0(VALU_DEP_1) | instskip(SKIP_3) | instid1(SALU_CYCLE_1)
	s_xor_b32 s1, s1, -1
	ds_store_b32 v2, v1
	v_add_nc_u32_e32 v2, 0x1000, v2
	s_and_b32 s1, exec_lo, s1
	s_or_b32 s0, s1, s0
	s_delay_alu instid0(SALU_CYCLE_1)
	s_and_not1_b32 exec_lo, exec_lo, s0
	s_cbranch_execnz .LBB71_55
; %bb.56:
	s_or_b32 exec_lo, exec_lo, s0
	s_waitcnt vmcnt(1)
	v_xor_b32_e32 v1, 0xffff8000, v5
	v_xor_b32_e32 v2, 0xffff8000, v7
	;; [unrolled: 1-line block ×3, first 2 shown]
	v_and_b32_e32 v6, 3, v0
	s_waitcnt vmcnt(0)
	v_xor_b32_e32 v4, 0xffff8000, v4
	v_and_b32_e32 v1, 0xffff, v1
	v_dual_mov_b32 v9, 1 :: v_dual_and_b32 v2, 0xffff, v2
	v_and_b32_e32 v5, 0xffff, v5
	s_delay_alu instid0(VALU_DEP_4) | instskip(NEXT) | instid1(VALU_DEP_4)
	v_and_b32_e32 v4, 0xffff, v4
	v_lshlrev_b32_e32 v7, 2, v1
	v_lshrrev_b32_e32 v1, 6, v1
	v_lshlrev_b32_e32 v8, 2, v2
	v_lshrrev_b32_e32 v2, 6, v2
	v_lshlrev_b32_e32 v10, 2, v5
	v_and_or_b32 v7, 0x3fc, v7, v6
	v_and_or_b32 v1, 0x3fc, v1, v6
	;; [unrolled: 1-line block ×3, first 2 shown]
	v_lshrrev_b32_e32 v5, 6, v5
	s_waitcnt lgkmcnt(0)
	s_waitcnt_vscnt null, 0x0
	v_lshlrev_b32_e32 v7, 2, v7
	v_lshlrev_b32_e32 v1, 2, v1
	;; [unrolled: 1-line block ×3, first 2 shown]
	s_barrier
	buffer_gl0_inv
	ds_add_u32 v7, v9
	ds_add_u32 v1, v9 offset:4096
	ds_add_u32 v8, v9
	v_lshlrev_b32_e32 v1, 2, v4
	v_lshrrev_b32_e32 v4, 6, v4
	v_and_or_b32 v2, 0x3fc, v2, v6
	v_and_or_b32 v7, 0x3fc, v10, v6
	;; [unrolled: 1-line block ×5, first 2 shown]
	v_lshlrev_b32_e32 v2, 2, v2
	v_lshlrev_b32_e32 v6, 2, v7
	;; [unrolled: 1-line block ×5, first 2 shown]
	ds_add_u32 v2, v9 offset:4096
	ds_add_u32 v6, v9
	ds_add_u32 v5, v9 offset:4096
	ds_add_u32 v1, v9
	ds_add_u32 v4, v9 offset:4096
	s_waitcnt lgkmcnt(0)
	s_barrier
	buffer_gl0_inv
	s_mov_b32 s0, exec_lo
	v_cmpx_gt_u32_e32 0x100, v0
	s_cbranch_execz .LBB71_58
; %bb.57:
	v_lshlrev_b32_e32 v5, 2, v3
	v_lshlrev_b32_e32 v6, 3, v0
	ds_load_2addr_b32 v[1:2], v5 offset1:1
	ds_load_2addr_b32 v[3:4], v5 offset0:2 offset1:3
	s_waitcnt lgkmcnt(1)
	v_dual_mov_b32 v1, 0 :: v_dual_add_nc_u32 v2, v2, v1
	s_waitcnt lgkmcnt(0)
	s_delay_alu instid0(VALU_DEP_1)
	v_add3_u32 v0, v2, v3, v4
	v_add_nc_u32_e32 v2, 0x1000, v5
	global_atomic_add_u64 v6, v[0:1], s[6:7]
	v_add_nc_u32_e32 v0, 0x1008, v5
	ds_load_2addr_b32 v[2:3], v2 offset1:1
	ds_load_2addr_b32 v[4:5], v0 offset1:1
	s_waitcnt lgkmcnt(1)
	v_add_nc_u32_e32 v0, v3, v2
	s_waitcnt lgkmcnt(0)
	s_delay_alu instid0(VALU_DEP_1)
	v_add3_u32 v0, v0, v4, v5
	global_atomic_add_u64 v6, v[0:1], s[6:7] offset:2048
.LBB71_58:
	s_nop 0
	s_sendmsg sendmsg(MSG_DEALLOC_VGPRS)
	s_endpgm
	.section	.rodata,"a",@progbits
	.p2align	6, 0x0
	.amdhsa_kernel _ZN7rocprim17ROCPRIM_304000_NS6detail26onesweep_histograms_kernelINS1_34wrapped_radix_sort_onesweep_configINS0_14default_configEsN2at4cuda3cub6detail10OpaqueTypeILi8EEEEELb0EPKsmNS0_19identity_decomposerEEEvT1_PT2_SG_SG_T3_jj
		.amdhsa_group_segment_fixed_size 8192
		.amdhsa_private_segment_fixed_size 0
		.amdhsa_kernarg_size 44
		.amdhsa_user_sgpr_count 15
		.amdhsa_user_sgpr_dispatch_ptr 0
		.amdhsa_user_sgpr_queue_ptr 0
		.amdhsa_user_sgpr_kernarg_segment_ptr 1
		.amdhsa_user_sgpr_dispatch_id 0
		.amdhsa_user_sgpr_private_segment_size 0
		.amdhsa_wavefront_size32 1
		.amdhsa_uses_dynamic_stack 0
		.amdhsa_enable_private_segment 0
		.amdhsa_system_sgpr_workgroup_id_x 1
		.amdhsa_system_sgpr_workgroup_id_y 0
		.amdhsa_system_sgpr_workgroup_id_z 0
		.amdhsa_system_sgpr_workgroup_info 0
		.amdhsa_system_vgpr_workitem_id 0
		.amdhsa_next_free_vgpr 17
		.amdhsa_next_free_sgpr 16
		.amdhsa_reserve_vcc 1
		.amdhsa_float_round_mode_32 0
		.amdhsa_float_round_mode_16_64 0
		.amdhsa_float_denorm_mode_32 3
		.amdhsa_float_denorm_mode_16_64 3
		.amdhsa_dx10_clamp 1
		.amdhsa_ieee_mode 1
		.amdhsa_fp16_overflow 0
		.amdhsa_workgroup_processor_mode 1
		.amdhsa_memory_ordered 1
		.amdhsa_forward_progress 0
		.amdhsa_shared_vgpr_count 0
		.amdhsa_exception_fp_ieee_invalid_op 0
		.amdhsa_exception_fp_denorm_src 0
		.amdhsa_exception_fp_ieee_div_zero 0
		.amdhsa_exception_fp_ieee_overflow 0
		.amdhsa_exception_fp_ieee_underflow 0
		.amdhsa_exception_fp_ieee_inexact 0
		.amdhsa_exception_int_div_zero 0
	.end_amdhsa_kernel
	.section	.text._ZN7rocprim17ROCPRIM_304000_NS6detail26onesweep_histograms_kernelINS1_34wrapped_radix_sort_onesweep_configINS0_14default_configEsN2at4cuda3cub6detail10OpaqueTypeILi8EEEEELb0EPKsmNS0_19identity_decomposerEEEvT1_PT2_SG_SG_T3_jj,"axG",@progbits,_ZN7rocprim17ROCPRIM_304000_NS6detail26onesweep_histograms_kernelINS1_34wrapped_radix_sort_onesweep_configINS0_14default_configEsN2at4cuda3cub6detail10OpaqueTypeILi8EEEEELb0EPKsmNS0_19identity_decomposerEEEvT1_PT2_SG_SG_T3_jj,comdat
.Lfunc_end71:
	.size	_ZN7rocprim17ROCPRIM_304000_NS6detail26onesweep_histograms_kernelINS1_34wrapped_radix_sort_onesweep_configINS0_14default_configEsN2at4cuda3cub6detail10OpaqueTypeILi8EEEEELb0EPKsmNS0_19identity_decomposerEEEvT1_PT2_SG_SG_T3_jj, .Lfunc_end71-_ZN7rocprim17ROCPRIM_304000_NS6detail26onesweep_histograms_kernelINS1_34wrapped_radix_sort_onesweep_configINS0_14default_configEsN2at4cuda3cub6detail10OpaqueTypeILi8EEEEELb0EPKsmNS0_19identity_decomposerEEEvT1_PT2_SG_SG_T3_jj
                                        ; -- End function
	.section	.AMDGPU.csdata,"",@progbits
; Kernel info:
; codeLenInByte = 2512
; NumSgprs: 18
; NumVgprs: 17
; ScratchSize: 0
; MemoryBound: 0
; FloatMode: 240
; IeeeMode: 1
; LDSByteSize: 8192 bytes/workgroup (compile time only)
; SGPRBlocks: 2
; VGPRBlocks: 2
; NumSGPRsForWavesPerEU: 18
; NumVGPRsForWavesPerEU: 17
; Occupancy: 16
; WaveLimiterHint : 1
; COMPUTE_PGM_RSRC2:SCRATCH_EN: 0
; COMPUTE_PGM_RSRC2:USER_SGPR: 15
; COMPUTE_PGM_RSRC2:TRAP_HANDLER: 0
; COMPUTE_PGM_RSRC2:TGID_X_EN: 1
; COMPUTE_PGM_RSRC2:TGID_Y_EN: 0
; COMPUTE_PGM_RSRC2:TGID_Z_EN: 0
; COMPUTE_PGM_RSRC2:TIDIG_COMP_CNT: 0
	.section	.text._ZN7rocprim17ROCPRIM_304000_NS6detail25onesweep_iteration_kernelINS1_34wrapped_radix_sort_onesweep_configINS0_14default_configEsN2at4cuda3cub6detail10OpaqueTypeILi8EEEEELb0EPKsPsPKSA_PSA_mNS0_19identity_decomposerEEEvT1_T2_T3_T4_jPT5_SO_PNS1_23onesweep_lookback_stateET6_jjj,"axG",@progbits,_ZN7rocprim17ROCPRIM_304000_NS6detail25onesweep_iteration_kernelINS1_34wrapped_radix_sort_onesweep_configINS0_14default_configEsN2at4cuda3cub6detail10OpaqueTypeILi8EEEEELb0EPKsPsPKSA_PSA_mNS0_19identity_decomposerEEEvT1_T2_T3_T4_jPT5_SO_PNS1_23onesweep_lookback_stateET6_jjj,comdat
	.protected	_ZN7rocprim17ROCPRIM_304000_NS6detail25onesweep_iteration_kernelINS1_34wrapped_radix_sort_onesweep_configINS0_14default_configEsN2at4cuda3cub6detail10OpaqueTypeILi8EEEEELb0EPKsPsPKSA_PSA_mNS0_19identity_decomposerEEEvT1_T2_T3_T4_jPT5_SO_PNS1_23onesweep_lookback_stateET6_jjj ; -- Begin function _ZN7rocprim17ROCPRIM_304000_NS6detail25onesweep_iteration_kernelINS1_34wrapped_radix_sort_onesweep_configINS0_14default_configEsN2at4cuda3cub6detail10OpaqueTypeILi8EEEEELb0EPKsPsPKSA_PSA_mNS0_19identity_decomposerEEEvT1_T2_T3_T4_jPT5_SO_PNS1_23onesweep_lookback_stateET6_jjj
	.globl	_ZN7rocprim17ROCPRIM_304000_NS6detail25onesweep_iteration_kernelINS1_34wrapped_radix_sort_onesweep_configINS0_14default_configEsN2at4cuda3cub6detail10OpaqueTypeILi8EEEEELb0EPKsPsPKSA_PSA_mNS0_19identity_decomposerEEEvT1_T2_T3_T4_jPT5_SO_PNS1_23onesweep_lookback_stateET6_jjj
	.p2align	8
	.type	_ZN7rocprim17ROCPRIM_304000_NS6detail25onesweep_iteration_kernelINS1_34wrapped_radix_sort_onesweep_configINS0_14default_configEsN2at4cuda3cub6detail10OpaqueTypeILi8EEEEELb0EPKsPsPKSA_PSA_mNS0_19identity_decomposerEEEvT1_T2_T3_T4_jPT5_SO_PNS1_23onesweep_lookback_stateET6_jjj,@function
_ZN7rocprim17ROCPRIM_304000_NS6detail25onesweep_iteration_kernelINS1_34wrapped_radix_sort_onesweep_configINS0_14default_configEsN2at4cuda3cub6detail10OpaqueTypeILi8EEEEELb0EPKsPsPKSA_PSA_mNS0_19identity_decomposerEEEvT1_T2_T3_T4_jPT5_SO_PNS1_23onesweep_lookback_stateET6_jjj: ; @_ZN7rocprim17ROCPRIM_304000_NS6detail25onesweep_iteration_kernelINS1_34wrapped_radix_sort_onesweep_configINS0_14default_configEsN2at4cuda3cub6detail10OpaqueTypeILi8EEEEELb0EPKsPsPKSA_PSA_mNS0_19identity_decomposerEEEvT1_T2_T3_T4_jPT5_SO_PNS1_23onesweep_lookback_stateET6_jjj
; %bb.0:
	s_clause 0x3
	s_load_b128 s[28:31], s[0:1], 0x44
	s_load_b256 s[16:23], s[0:1], 0x0
	s_load_b128 s[24:27], s[0:1], 0x28
	s_load_b64 s[12:13], s[0:1], 0x38
	v_and_b32_e32 v1, 0x3ff, v0
	v_mbcnt_lo_u32_b32 v12, -1, 0
	s_waitcnt lgkmcnt(0)
	s_cmp_ge_u32 s15, s30
	s_cbranch_scc0 .LBB72_66
; %bb.1:
	s_load_b32 s6, s[0:1], 0x20
	s_mov_b32 s4, 0x7fff7fff
	s_lshl_b32 s7, s30, 12
	s_mov_b32 s5, s4
	v_lshlrev_b32_e32 v11, 2, v1
	s_lshl_b32 s30, s15, 12
	s_mov_b32 s31, 0
	v_lshlrev_b32_e32 v2, 1, v12
	s_lshl_b64 s[2:3], s[30:31], 1
	v_and_b32_e32 v10, 0xf80, v11
	s_delay_alu instid0(VALU_DEP_1)
	v_lshlrev_b32_e32 v3, 1, v10
	s_waitcnt lgkmcnt(0)
	s_sub_i32 s34, s6, s7
	s_add_u32 s2, s16, s2
	s_addc_u32 s3, s17, s3
	v_add_co_u32 v2, s2, s2, v2
	s_delay_alu instid0(VALU_DEP_1) | instskip(NEXT) | instid1(VALU_DEP_2)
	v_add_co_ci_u32_e64 v5, null, s3, 0, s2
	v_add_co_u32 v4, s2, v2, v3
	v_dual_mov_b32 v2, s4 :: v_dual_mov_b32 v3, s5
	v_or_b32_e32 v6, v12, v10
	s_delay_alu instid0(VALU_DEP_4) | instskip(NEXT) | instid1(VALU_DEP_2)
	v_add_co_ci_u32_e64 v5, s2, 0, v5, s2
	v_cmp_gt_u32_e32 vcc_lo, s34, v6
	s_and_saveexec_b32 s2, vcc_lo
	s_cbranch_execz .LBB72_3
; %bb.2:
	v_mov_b32_e32 v2, 0x7fff0000
	v_mov_b32_e32 v3, 0x7fff7fff
	global_load_d16_b16 v2, v[4:5], off
.LBB72_3:
	s_or_b32 exec_lo, exec_lo, s2
	v_add_nc_u32_e32 v7, 32, v6
	s_delay_alu instid0(VALU_DEP_1) | instskip(NEXT) | instid1(VALU_DEP_1)
	v_cmp_gt_u32_e64 s2, s34, v7
	s_and_saveexec_b32 s3, s2
	s_cbranch_execz .LBB72_5
; %bb.4:
	global_load_d16_hi_b16 v2, v[4:5], off offset:64
.LBB72_5:
	s_or_b32 exec_lo, exec_lo, s3
	v_add_nc_u32_e32 v7, 64, v6
	s_delay_alu instid0(VALU_DEP_1) | instskip(NEXT) | instid1(VALU_DEP_1)
	v_cmp_gt_u32_e64 s3, s34, v7
	s_and_saveexec_b32 s4, s3
	s_cbranch_execz .LBB72_7
; %bb.6:
	global_load_d16_b16 v3, v[4:5], off offset:128
.LBB72_7:
	s_or_b32 exec_lo, exec_lo, s4
	v_add_nc_u32_e32 v6, 0x60, v6
	s_delay_alu instid0(VALU_DEP_1) | instskip(NEXT) | instid1(VALU_DEP_1)
	v_cmp_gt_u32_e64 s4, s34, v6
	s_and_saveexec_b32 s5, s4
	s_cbranch_execz .LBB72_9
; %bb.8:
	global_load_d16_hi_b16 v3, v[4:5], off offset:192
.LBB72_9:
	s_or_b32 exec_lo, exec_lo, s5
	s_clause 0x1
	s_load_b32 s5, s[0:1], 0x5c
	s_load_b32 s14, s[0:1], 0x50
	s_waitcnt vmcnt(0)
	v_xor_b32_e32 v13, 0xffff8000, v2
	s_add_u32 s6, s0, 0x50
	s_addc_u32 s7, s1, 0
	s_delay_alu instid0(VALU_DEP_1) | instskip(NEXT) | instid1(VALU_DEP_1)
	v_and_b32_e32 v4, 0xffff, v13
	v_lshrrev_b32_e32 v4, s28, v4
	s_waitcnt lgkmcnt(0)
	s_lshr_b32 s8, s5, 16
	s_cmp_lt_u32 s15, s14
	s_cselect_b32 s5, 12, 18
	s_delay_alu instid0(SALU_CYCLE_1) | instskip(SKIP_2) | instid1(SALU_CYCLE_1)
	s_add_u32 s6, s6, s5
	s_addc_u32 s7, s7, 0
	s_lshl_b32 s5, -1, s29
	s_not_b32 s33, s5
	s_delay_alu instid0(SALU_CYCLE_1) | instskip(SKIP_2) | instid1(VALU_DEP_3)
	v_and_b32_e32 v8, s33, v4
	v_mov_b32_e32 v6, 0
	v_bfe_u32 v4, v0, 10, 10
	v_and_b32_e32 v5, 1, v8
	global_load_u16 v7, v6, s[6:7]
	v_lshlrev_b32_e32 v9, 30, v8
	v_lshlrev_b32_e32 v14, 29, v8
	;; [unrolled: 1-line block ×3, first 2 shown]
	v_add_co_u32 v5, s5, v5, -1
	s_delay_alu instid0(VALU_DEP_1)
	v_cndmask_b32_e64 v16, 0, 1, s5
	v_not_b32_e32 v20, v9
	v_cmp_gt_i32_e64 s6, 0, v9
	v_not_b32_e32 v9, v14
	v_lshlrev_b32_e32 v17, 27, v8
	v_cmp_ne_u32_e64 s5, 0, v16
	v_ashrrev_i32_e32 v20, 31, v20
	v_lshlrev_b32_e32 v18, 26, v8
	v_ashrrev_i32_e32 v9, 31, v9
	v_lshlrev_b32_e32 v19, 25, v8
	v_xor_b32_e32 v5, s5, v5
	v_cmp_gt_i32_e64 s5, 0, v14
	v_not_b32_e32 v14, v15
	v_xor_b32_e32 v20, s6, v20
	v_cmp_gt_i32_e64 s6, 0, v15
	v_and_b32_e32 v5, exec_lo, v5
	v_not_b32_e32 v15, v17
	v_ashrrev_i32_e32 v14, 31, v14
	v_xor_b32_e32 v9, s5, v9
	v_cmp_gt_i32_e64 s5, 0, v17
	v_and_b32_e32 v5, v5, v20
	v_not_b32_e32 v17, v18
	v_ashrrev_i32_e32 v15, 31, v15
	v_xor_b32_e32 v14, s6, v14
	v_lshlrev_b32_e32 v16, 24, v8
	v_and_b32_e32 v5, v5, v9
	v_cmp_gt_i32_e64 s6, 0, v18
	v_not_b32_e32 v9, v19
	v_ashrrev_i32_e32 v17, 31, v17
	v_xor_b32_e32 v15, s5, v15
	v_and_b32_e32 v5, v5, v14
	v_cmp_gt_i32_e64 s5, 0, v19
	v_not_b32_e32 v14, v16
	v_ashrrev_i32_e32 v9, 31, v9
	v_xor_b32_e32 v17, s6, v17
	v_and_b32_e32 v5, v5, v15
	v_bfe_u32 v15, v0, 20, 10
	v_cmp_gt_i32_e64 s6, 0, v16
	v_ashrrev_i32_e32 v14, 31, v14
	v_xor_b32_e32 v9, s5, v9
	v_and_b32_e32 v5, v5, v17
	v_mad_u32_u24 v15, v15, s8, v4
	v_mul_u32_u24_e32 v16, 9, v1
	v_xor_b32_e32 v14, s6, v14
	s_delay_alu instid0(VALU_DEP_4) | instskip(NEXT) | instid1(VALU_DEP_3)
	v_and_b32_e32 v9, v5, v9
	v_lshlrev_b32_e32 v16, 2, v16
	ds_store_2addr_b32 v16, v6, v6 offset0:32 offset1:33
	ds_store_2addr_b32 v16, v6, v6 offset0:34 offset1:35
	;; [unrolled: 1-line block ×4, first 2 shown]
	ds_store_b32 v16, v6 offset:160
	v_mul_u32_u24_e32 v6, 33, v8
	s_waitcnt vmcnt(0) lgkmcnt(0)
	s_barrier
	buffer_gl0_inv
	; wave barrier
	v_mad_u64_u32 v[4:5], null, v15, v7, v[1:2]
	v_and_b32_e32 v5, v9, v14
	s_delay_alu instid0(VALU_DEP_1) | instskip(NEXT) | instid1(VALU_DEP_3)
	v_mbcnt_lo_u32_b32 v14, v5, 0
	v_lshrrev_b32_e32 v4, 5, v4
	v_cmp_ne_u32_e64 s6, 0, v5
	s_delay_alu instid0(VALU_DEP_3) | instskip(NEXT) | instid1(VALU_DEP_3)
	v_cmp_eq_u32_e64 s5, 0, v14
	v_add_lshl_u32 v17, v4, v6, 2
	s_delay_alu instid0(VALU_DEP_2) | instskip(NEXT) | instid1(SALU_CYCLE_1)
	s_and_b32 s6, s6, s5
	s_and_saveexec_b32 s5, s6
	s_cbranch_execz .LBB72_11
; %bb.10:
	v_bcnt_u32_b32 v5, v5, 0
	ds_store_b32 v17, v5 offset:128
.LBB72_11:
	s_or_b32 exec_lo, exec_lo, s5
	v_lshrrev_b32_e32 v2, 16, v2
	; wave barrier
	s_delay_alu instid0(VALU_DEP_1) | instskip(NEXT) | instid1(VALU_DEP_1)
	v_xor_b32_e32 v15, 0xffff8000, v2
	v_and_b32_e32 v2, 0xffff, v15
	s_delay_alu instid0(VALU_DEP_1) | instskip(NEXT) | instid1(VALU_DEP_1)
	v_lshrrev_b32_e32 v2, s28, v2
	v_and_b32_e32 v2, s33, v2
	s_delay_alu instid0(VALU_DEP_1)
	v_and_b32_e32 v5, 1, v2
	v_lshlrev_b32_e32 v6, 30, v2
	v_lshlrev_b32_e32 v7, 29, v2
	;; [unrolled: 1-line block ×4, first 2 shown]
	v_add_co_u32 v5, s5, v5, -1
	s_delay_alu instid0(VALU_DEP_1)
	v_cndmask_b32_e64 v9, 0, 1, s5
	v_not_b32_e32 v21, v6
	v_cmp_gt_i32_e64 s6, 0, v6
	v_not_b32_e32 v6, v7
	v_lshlrev_b32_e32 v19, 26, v2
	v_cmp_ne_u32_e64 s5, 0, v9
	v_ashrrev_i32_e32 v21, 31, v21
	v_lshlrev_b32_e32 v20, 25, v2
	v_ashrrev_i32_e32 v6, 31, v6
	v_lshlrev_b32_e32 v9, 24, v2
	v_xor_b32_e32 v5, s5, v5
	v_cmp_gt_i32_e64 s5, 0, v7
	v_not_b32_e32 v7, v8
	v_xor_b32_e32 v21, s6, v21
	v_cmp_gt_i32_e64 s6, 0, v8
	v_and_b32_e32 v5, exec_lo, v5
	v_not_b32_e32 v8, v18
	v_ashrrev_i32_e32 v7, 31, v7
	v_xor_b32_e32 v6, s5, v6
	v_cmp_gt_i32_e64 s5, 0, v18
	v_and_b32_e32 v5, v5, v21
	v_not_b32_e32 v18, v19
	v_ashrrev_i32_e32 v8, 31, v8
	v_xor_b32_e32 v7, s6, v7
	v_cmp_gt_i32_e64 s6, 0, v19
	v_and_b32_e32 v5, v5, v6
	;; [unrolled: 5-line block ×3, first 2 shown]
	v_not_b32_e32 v7, v9
	v_ashrrev_i32_e32 v6, 31, v6
	v_xor_b32_e32 v18, s6, v18
	v_mul_u32_u24_e32 v2, 33, v2
	v_and_b32_e32 v5, v5, v8
	v_cmp_gt_i32_e64 s6, 0, v9
	v_ashrrev_i32_e32 v7, 31, v7
	v_xor_b32_e32 v6, s5, v6
	v_add_lshl_u32 v21, v4, v2, 2
	v_and_b32_e32 v5, v5, v18
	s_delay_alu instid0(VALU_DEP_4) | instskip(SKIP_2) | instid1(VALU_DEP_1)
	v_xor_b32_e32 v2, s6, v7
	ds_load_b32 v18, v21 offset:128
	v_and_b32_e32 v5, v5, v6
	; wave barrier
	v_and_b32_e32 v2, v5, v2
	s_delay_alu instid0(VALU_DEP_1) | instskip(SKIP_1) | instid1(VALU_DEP_2)
	v_mbcnt_lo_u32_b32 v19, v2, 0
	v_cmp_ne_u32_e64 s6, 0, v2
	v_cmp_eq_u32_e64 s5, 0, v19
	s_delay_alu instid0(VALU_DEP_1) | instskip(NEXT) | instid1(SALU_CYCLE_1)
	s_and_b32 s6, s6, s5
	s_and_saveexec_b32 s5, s6
	s_cbranch_execz .LBB72_13
; %bb.12:
	s_waitcnt lgkmcnt(0)
	v_bcnt_u32_b32 v2, v2, v18
	ds_store_b32 v21, v2 offset:128
.LBB72_13:
	s_or_b32 exec_lo, exec_lo, s5
	v_xor_b32_e32 v20, 0xffff8000, v3
	; wave barrier
	s_delay_alu instid0(VALU_DEP_1) | instskip(NEXT) | instid1(VALU_DEP_1)
	v_and_b32_e32 v2, 0xffff, v20
	v_lshrrev_b32_e32 v2, s28, v2
	s_delay_alu instid0(VALU_DEP_1) | instskip(NEXT) | instid1(VALU_DEP_1)
	v_and_b32_e32 v2, s33, v2
	v_and_b32_e32 v5, 1, v2
	v_lshlrev_b32_e32 v6, 30, v2
	v_lshlrev_b32_e32 v7, 29, v2
	;; [unrolled: 1-line block ×4, first 2 shown]
	v_add_co_u32 v5, s5, v5, -1
	s_delay_alu instid0(VALU_DEP_1)
	v_cndmask_b32_e64 v9, 0, 1, s5
	v_not_b32_e32 v25, v6
	v_cmp_gt_i32_e64 s6, 0, v6
	v_not_b32_e32 v6, v7
	v_lshlrev_b32_e32 v23, 26, v2
	v_cmp_ne_u32_e64 s5, 0, v9
	v_ashrrev_i32_e32 v25, 31, v25
	v_lshlrev_b32_e32 v24, 25, v2
	v_ashrrev_i32_e32 v6, 31, v6
	v_lshlrev_b32_e32 v9, 24, v2
	v_xor_b32_e32 v5, s5, v5
	v_cmp_gt_i32_e64 s5, 0, v7
	v_not_b32_e32 v7, v8
	v_xor_b32_e32 v25, s6, v25
	v_cmp_gt_i32_e64 s6, 0, v8
	v_and_b32_e32 v5, exec_lo, v5
	v_not_b32_e32 v8, v22
	v_ashrrev_i32_e32 v7, 31, v7
	v_xor_b32_e32 v6, s5, v6
	v_cmp_gt_i32_e64 s5, 0, v22
	v_and_b32_e32 v5, v5, v25
	v_not_b32_e32 v22, v23
	v_ashrrev_i32_e32 v8, 31, v8
	v_xor_b32_e32 v7, s6, v7
	v_cmp_gt_i32_e64 s6, 0, v23
	v_and_b32_e32 v5, v5, v6
	;; [unrolled: 5-line block ×3, first 2 shown]
	v_not_b32_e32 v7, v9
	v_ashrrev_i32_e32 v6, 31, v6
	v_xor_b32_e32 v22, s6, v22
	v_mul_u32_u24_e32 v2, 33, v2
	v_and_b32_e32 v5, v5, v8
	v_cmp_gt_i32_e64 s6, 0, v9
	v_ashrrev_i32_e32 v7, 31, v7
	v_xor_b32_e32 v6, s5, v6
	v_add_lshl_u32 v25, v4, v2, 2
	v_and_b32_e32 v5, v5, v22
	s_delay_alu instid0(VALU_DEP_4) | instskip(SKIP_2) | instid1(VALU_DEP_1)
	v_xor_b32_e32 v2, s6, v7
	ds_load_b32 v22, v25 offset:128
	v_and_b32_e32 v5, v5, v6
	; wave barrier
	v_and_b32_e32 v2, v5, v2
	s_delay_alu instid0(VALU_DEP_1) | instskip(SKIP_1) | instid1(VALU_DEP_2)
	v_mbcnt_lo_u32_b32 v23, v2, 0
	v_cmp_ne_u32_e64 s6, 0, v2
	v_cmp_eq_u32_e64 s5, 0, v23
	s_delay_alu instid0(VALU_DEP_1) | instskip(NEXT) | instid1(SALU_CYCLE_1)
	s_and_b32 s6, s6, s5
	s_and_saveexec_b32 s5, s6
	s_cbranch_execz .LBB72_15
; %bb.14:
	s_waitcnt lgkmcnt(0)
	v_bcnt_u32_b32 v2, v2, v22
	ds_store_b32 v25, v2 offset:128
.LBB72_15:
	s_or_b32 exec_lo, exec_lo, s5
	v_lshrrev_b32_e32 v2, 16, v3
	; wave barrier
	v_add_nc_u32_e32 v29, 0x80, v16
	s_delay_alu instid0(VALU_DEP_2) | instskip(NEXT) | instid1(VALU_DEP_1)
	v_xor_b32_e32 v24, 0xffff8000, v2
	v_and_b32_e32 v2, 0xffff, v24
	s_delay_alu instid0(VALU_DEP_1) | instskip(NEXT) | instid1(VALU_DEP_1)
	v_lshrrev_b32_e32 v2, s28, v2
	v_and_b32_e32 v2, s33, v2
	s_delay_alu instid0(VALU_DEP_1)
	v_and_b32_e32 v3, 1, v2
	v_lshlrev_b32_e32 v5, 30, v2
	v_lshlrev_b32_e32 v6, 29, v2
	;; [unrolled: 1-line block ×4, first 2 shown]
	v_add_co_u32 v3, s5, v3, -1
	s_delay_alu instid0(VALU_DEP_1)
	v_cndmask_b32_e64 v8, 0, 1, s5
	v_not_b32_e32 v28, v5
	v_cmp_gt_i32_e64 s6, 0, v5
	v_not_b32_e32 v5, v6
	v_lshlrev_b32_e32 v26, 26, v2
	v_cmp_ne_u32_e64 s5, 0, v8
	v_ashrrev_i32_e32 v28, 31, v28
	v_lshlrev_b32_e32 v27, 25, v2
	v_ashrrev_i32_e32 v5, 31, v5
	v_lshlrev_b32_e32 v8, 24, v2
	v_xor_b32_e32 v3, s5, v3
	v_cmp_gt_i32_e64 s5, 0, v6
	v_not_b32_e32 v6, v7
	v_xor_b32_e32 v28, s6, v28
	v_cmp_gt_i32_e64 s6, 0, v7
	v_and_b32_e32 v3, exec_lo, v3
	v_not_b32_e32 v7, v9
	v_ashrrev_i32_e32 v6, 31, v6
	v_xor_b32_e32 v5, s5, v5
	v_cmp_gt_i32_e64 s5, 0, v9
	v_and_b32_e32 v3, v3, v28
	v_not_b32_e32 v9, v26
	v_ashrrev_i32_e32 v7, 31, v7
	v_xor_b32_e32 v6, s6, v6
	v_cmp_gt_i32_e64 s6, 0, v26
	v_and_b32_e32 v3, v3, v5
	;; [unrolled: 5-line block ×3, first 2 shown]
	v_not_b32_e32 v6, v8
	v_ashrrev_i32_e32 v5, 31, v5
	v_xor_b32_e32 v9, s6, v9
	v_mul_u32_u24_e32 v2, 33, v2
	v_and_b32_e32 v3, v3, v7
	v_cmp_gt_i32_e64 s6, 0, v8
	v_ashrrev_i32_e32 v6, 31, v6
	v_xor_b32_e32 v5, s5, v5
	v_add_lshl_u32 v28, v4, v2, 2
	v_and_b32_e32 v3, v3, v9
	s_delay_alu instid0(VALU_DEP_4) | instskip(SKIP_2) | instid1(VALU_DEP_1)
	v_xor_b32_e32 v2, s6, v6
	ds_load_b32 v26, v28 offset:128
	v_and_b32_e32 v3, v3, v5
	; wave barrier
	v_and_b32_e32 v2, v3, v2
	s_delay_alu instid0(VALU_DEP_1) | instskip(SKIP_1) | instid1(VALU_DEP_2)
	v_mbcnt_lo_u32_b32 v27, v2, 0
	v_cmp_ne_u32_e64 s6, 0, v2
	v_cmp_eq_u32_e64 s5, 0, v27
	s_delay_alu instid0(VALU_DEP_1) | instskip(NEXT) | instid1(SALU_CYCLE_1)
	s_and_b32 s6, s6, s5
	s_and_saveexec_b32 s5, s6
	s_cbranch_execz .LBB72_17
; %bb.16:
	s_waitcnt lgkmcnt(0)
	v_bcnt_u32_b32 v2, v2, v26
	ds_store_b32 v28, v2 offset:128
.LBB72_17:
	s_or_b32 exec_lo, exec_lo, s5
	; wave barrier
	s_waitcnt lgkmcnt(0)
	s_barrier
	buffer_gl0_inv
	ds_load_2addr_b32 v[8:9], v16 offset0:32 offset1:33
	ds_load_2addr_b32 v[6:7], v29 offset0:2 offset1:3
	;; [unrolled: 1-line block ×4, first 2 shown]
	ds_load_b32 v30, v29 offset:32
	v_and_b32_e32 v33, 16, v12
	v_and_b32_e32 v34, 31, v1
	s_mov_b32 s11, exec_lo
	s_delay_alu instid0(VALU_DEP_2) | instskip(SKIP_3) | instid1(VALU_DEP_1)
	v_cmp_eq_u32_e64 s9, 0, v33
	s_waitcnt lgkmcnt(3)
	v_add3_u32 v31, v9, v8, v6
	s_waitcnt lgkmcnt(2)
	v_add3_u32 v31, v31, v7, v4
	s_waitcnt lgkmcnt(1)
	s_delay_alu instid0(VALU_DEP_1) | instskip(SKIP_1) | instid1(VALU_DEP_1)
	v_add3_u32 v31, v31, v5, v2
	s_waitcnt lgkmcnt(0)
	v_add3_u32 v30, v31, v3, v30
	v_and_b32_e32 v31, 15, v12
	s_delay_alu instid0(VALU_DEP_2) | instskip(NEXT) | instid1(VALU_DEP_2)
	v_mov_b32_dpp v32, v30 row_shr:1 row_mask:0xf bank_mask:0xf
	v_cmp_eq_u32_e64 s5, 0, v31
	v_cmp_lt_u32_e64 s6, 1, v31
	v_cmp_lt_u32_e64 s7, 3, v31
	;; [unrolled: 1-line block ×3, first 2 shown]
	s_delay_alu instid0(VALU_DEP_4) | instskip(NEXT) | instid1(VALU_DEP_1)
	v_cndmask_b32_e64 v32, v32, 0, s5
	v_add_nc_u32_e32 v30, v32, v30
	s_delay_alu instid0(VALU_DEP_1) | instskip(NEXT) | instid1(VALU_DEP_1)
	v_mov_b32_dpp v32, v30 row_shr:2 row_mask:0xf bank_mask:0xf
	v_cndmask_b32_e64 v32, 0, v32, s6
	s_delay_alu instid0(VALU_DEP_1) | instskip(NEXT) | instid1(VALU_DEP_1)
	v_add_nc_u32_e32 v30, v30, v32
	v_mov_b32_dpp v32, v30 row_shr:4 row_mask:0xf bank_mask:0xf
	s_delay_alu instid0(VALU_DEP_1) | instskip(NEXT) | instid1(VALU_DEP_1)
	v_cndmask_b32_e64 v32, 0, v32, s7
	v_add_nc_u32_e32 v30, v30, v32
	s_delay_alu instid0(VALU_DEP_1) | instskip(NEXT) | instid1(VALU_DEP_1)
	v_mov_b32_dpp v32, v30 row_shr:8 row_mask:0xf bank_mask:0xf
	v_cndmask_b32_e64 v31, 0, v32, s8
	v_bfe_i32 v32, v12, 4, 1
	s_delay_alu instid0(VALU_DEP_2) | instskip(SKIP_4) | instid1(VALU_DEP_2)
	v_add_nc_u32_e32 v30, v30, v31
	ds_swizzle_b32 v31, v30 offset:swizzle(BROADCAST,32,15)
	s_waitcnt lgkmcnt(0)
	v_and_b32_e32 v32, v32, v31
	v_lshrrev_b32_e32 v31, 5, v1
	v_add_nc_u32_e32 v30, v30, v32
	v_cmpx_eq_u32_e32 31, v34
	s_cbranch_execz .LBB72_19
; %bb.18:
	s_delay_alu instid0(VALU_DEP_3)
	v_lshlrev_b32_e32 v32, 2, v31
	ds_store_b32 v32, v30
.LBB72_19:
	s_or_b32 exec_lo, exec_lo, s11
	v_cmp_lt_u32_e64 s10, 31, v1
	s_mov_b32 s35, exec_lo
	s_waitcnt lgkmcnt(0)
	s_barrier
	buffer_gl0_inv
	v_cmpx_gt_u32_e32 32, v1
	s_cbranch_execz .LBB72_21
; %bb.20:
	ds_load_b32 v32, v11
	s_waitcnt lgkmcnt(0)
	v_mov_b32_dpp v33, v32 row_shr:1 row_mask:0xf bank_mask:0xf
	s_delay_alu instid0(VALU_DEP_1) | instskip(NEXT) | instid1(VALU_DEP_1)
	v_cndmask_b32_e64 v33, v33, 0, s5
	v_add_nc_u32_e32 v32, v33, v32
	s_delay_alu instid0(VALU_DEP_1) | instskip(NEXT) | instid1(VALU_DEP_1)
	v_mov_b32_dpp v33, v32 row_shr:2 row_mask:0xf bank_mask:0xf
	v_cndmask_b32_e64 v33, 0, v33, s6
	s_delay_alu instid0(VALU_DEP_1) | instskip(NEXT) | instid1(VALU_DEP_1)
	v_add_nc_u32_e32 v32, v32, v33
	v_mov_b32_dpp v33, v32 row_shr:4 row_mask:0xf bank_mask:0xf
	s_delay_alu instid0(VALU_DEP_1) | instskip(NEXT) | instid1(VALU_DEP_1)
	v_cndmask_b32_e64 v33, 0, v33, s7
	v_add_nc_u32_e32 v32, v32, v33
	s_delay_alu instid0(VALU_DEP_1) | instskip(NEXT) | instid1(VALU_DEP_1)
	v_mov_b32_dpp v33, v32 row_shr:8 row_mask:0xf bank_mask:0xf
	v_cndmask_b32_e64 v33, 0, v33, s8
	s_delay_alu instid0(VALU_DEP_1) | instskip(SKIP_3) | instid1(VALU_DEP_1)
	v_add_nc_u32_e32 v32, v32, v33
	ds_swizzle_b32 v33, v32 offset:swizzle(BROADCAST,32,15)
	s_waitcnt lgkmcnt(0)
	v_cndmask_b32_e64 v33, v33, 0, s9
	v_add_nc_u32_e32 v32, v32, v33
	ds_store_b32 v11, v32
.LBB72_21:
	s_or_b32 exec_lo, exec_lo, s35
	v_mov_b32_e32 v11, 0
	s_waitcnt lgkmcnt(0)
	s_barrier
	buffer_gl0_inv
	s_and_saveexec_b32 s5, s10
	s_cbranch_execz .LBB72_23
; %bb.22:
	v_lshl_add_u32 v11, v31, 2, -4
	ds_load_b32 v11, v11
.LBB72_23:
	s_or_b32 exec_lo, exec_lo, s5
	v_add_nc_u32_e32 v31, -1, v12
	s_waitcnt lgkmcnt(0)
	v_add_nc_u32_e32 v30, v11, v30
	s_delay_alu instid0(VALU_DEP_2) | instskip(NEXT) | instid1(VALU_DEP_1)
	v_cmp_gt_i32_e64 s5, 0, v31
	v_cndmask_b32_e64 v31, v31, v12, s5
	v_cmp_eq_u32_e64 s5, 0, v12
	s_delay_alu instid0(VALU_DEP_2) | instskip(SKIP_4) | instid1(VALU_DEP_1)
	v_lshlrev_b32_e32 v31, 2, v31
	ds_bpermute_b32 v30, v31, v30
	s_waitcnt lgkmcnt(0)
	v_cndmask_b32_e64 v11, v30, v11, s5
	v_cmp_ne_u32_e64 s5, 0, v1
	v_cndmask_b32_e64 v11, 0, v11, s5
	v_cmp_gt_u32_e64 s5, 0x100, v1
	s_delay_alu instid0(VALU_DEP_2) | instskip(NEXT) | instid1(VALU_DEP_1)
	v_add_nc_u32_e32 v8, v11, v8
	v_add_nc_u32_e32 v9, v8, v9
	s_delay_alu instid0(VALU_DEP_1) | instskip(NEXT) | instid1(VALU_DEP_1)
	v_add_nc_u32_e32 v6, v9, v6
	v_add_nc_u32_e32 v7, v6, v7
	s_delay_alu instid0(VALU_DEP_1) | instskip(NEXT) | instid1(VALU_DEP_1)
	;; [unrolled: 3-line block ×3, first 2 shown]
	v_add_nc_u32_e32 v2, v5, v2
	v_add_nc_u32_e32 v3, v2, v3
	ds_store_2addr_b32 v16, v11, v8 offset0:32 offset1:33
	ds_store_2addr_b32 v29, v9, v6 offset0:2 offset1:3
	;; [unrolled: 1-line block ×4, first 2 shown]
	ds_store_b32 v29, v3 offset:32
	s_waitcnt lgkmcnt(0)
	s_barrier
	buffer_gl0_inv
	ds_load_b32 v2, v17 offset:128
	ds_load_b32 v3, v21 offset:128
	;; [unrolled: 1-line block ×4, first 2 shown]
                                        ; implicit-def: $vgpr16
                                        ; implicit-def: $vgpr17
	s_and_saveexec_b32 s7, s5
	s_cbranch_execz .LBB72_27
; %bb.24:
	v_mul_u32_u24_e32 v6, 33, v1
	s_mov_b32 s8, exec_lo
	s_delay_alu instid0(VALU_DEP_1)
	v_dual_mov_b32 v6, 0x1000 :: v_dual_lshlrev_b32 v7, 2, v6
	ds_load_b32 v16, v7 offset:128
	v_cmpx_ne_u32_e32 0xff, v1
	s_cbranch_execz .LBB72_26
; %bb.25:
	ds_load_b32 v6, v7 offset:260
.LBB72_26:
	s_or_b32 exec_lo, exec_lo, s8
	s_waitcnt lgkmcnt(0)
	v_sub_nc_u32_e32 v17, v6, v16
.LBB72_27:
	s_or_b32 exec_lo, exec_lo, s7
	s_waitcnt lgkmcnt(3)
	v_add_nc_u32_e32 v21, v2, v14
	s_waitcnt lgkmcnt(2)
	v_add3_u32 v19, v19, v18, v3
	s_waitcnt lgkmcnt(1)
	v_add3_u32 v18, v23, v22, v4
	;; [unrolled: 2-line block ×3, first 2 shown]
	v_lshlrev_b32_e32 v2, 1, v21
	v_lshlrev_b32_e32 v3, 1, v19
	;; [unrolled: 1-line block ×3, first 2 shown]
	s_delay_alu instid0(VALU_DEP_4)
	v_lshlrev_b32_e32 v5, 1, v14
	s_barrier
	buffer_gl0_inv
	ds_store_b16 v2, v13 offset:2048
	ds_store_b16 v3, v15 offset:2048
	;; [unrolled: 1-line block ×4, first 2 shown]
	s_waitcnt lgkmcnt(0)
	s_barrier
	buffer_gl0_inv
	s_and_saveexec_b32 s7, s5
	s_cbranch_execz .LBB72_37
; %bb.28:
	v_lshl_or_b32 v4, s15, 8, v1
	v_dual_mov_b32 v5, 0 :: v_dual_mov_b32 v8, 0
	s_mov_b32 s8, 0
	s_mov_b32 s9, s15
	s_delay_alu instid0(VALU_DEP_1) | instskip(SKIP_1) | instid1(VALU_DEP_2)
	v_lshlrev_b64 v[2:3], 2, v[4:5]
	v_or_b32_e32 v4, 2.0, v17
	v_add_co_u32 v2, s6, s12, v2
	s_delay_alu instid0(VALU_DEP_1)
	v_add_co_ci_u32_e64 v3, s6, s13, v3, s6
                                        ; implicit-def: $sgpr6
	global_store_b32 v[2:3], v4, off
	s_branch .LBB72_30
	.p2align	6
.LBB72_29:                              ;   in Loop: Header=BB72_30 Depth=1
	s_or_b32 exec_lo, exec_lo, s10
	v_and_b32_e32 v6, 0x3fffffff, v9
	v_cmp_eq_u32_e64 s6, 0x80000000, v4
	s_delay_alu instid0(VALU_DEP_2) | instskip(NEXT) | instid1(VALU_DEP_2)
	v_add_nc_u32_e32 v8, v6, v8
	s_and_b32 s10, exec_lo, s6
	s_delay_alu instid0(SALU_CYCLE_1) | instskip(NEXT) | instid1(SALU_CYCLE_1)
	s_or_b32 s8, s10, s8
	s_and_not1_b32 exec_lo, exec_lo, s8
	s_cbranch_execz .LBB72_36
.LBB72_30:                              ; =>This Loop Header: Depth=1
                                        ;     Child Loop BB72_33 Depth 2
	s_or_b32 s6, s6, exec_lo
	s_cmp_eq_u32 s9, 0
	s_cbranch_scc1 .LBB72_35
; %bb.31:                               ;   in Loop: Header=BB72_30 Depth=1
	s_add_i32 s9, s9, -1
	s_mov_b32 s10, exec_lo
	v_lshl_or_b32 v4, s9, 8, v1
	s_delay_alu instid0(VALU_DEP_1) | instskip(NEXT) | instid1(VALU_DEP_1)
	v_lshlrev_b64 v[6:7], 2, v[4:5]
	v_add_co_u32 v6, s6, s12, v6
	s_delay_alu instid0(VALU_DEP_1) | instskip(SKIP_3) | instid1(VALU_DEP_1)
	v_add_co_ci_u32_e64 v7, s6, s13, v7, s6
	global_load_b32 v9, v[6:7], off glc
	s_waitcnt vmcnt(0)
	v_and_b32_e32 v4, -2.0, v9
	v_cmpx_eq_u32_e32 0, v4
	s_cbranch_execz .LBB72_29
; %bb.32:                               ;   in Loop: Header=BB72_30 Depth=1
	s_mov_b32 s11, 0
.LBB72_33:                              ;   Parent Loop BB72_30 Depth=1
                                        ; =>  This Inner Loop Header: Depth=2
	global_load_b32 v9, v[6:7], off glc
	s_waitcnt vmcnt(0)
	v_and_b32_e32 v4, -2.0, v9
	s_delay_alu instid0(VALU_DEP_1) | instskip(NEXT) | instid1(VALU_DEP_1)
	v_cmp_ne_u32_e64 s6, 0, v4
	s_or_b32 s11, s6, s11
	s_delay_alu instid0(SALU_CYCLE_1)
	s_and_not1_b32 exec_lo, exec_lo, s11
	s_cbranch_execnz .LBB72_33
; %bb.34:                               ;   in Loop: Header=BB72_30 Depth=1
	s_or_b32 exec_lo, exec_lo, s11
	s_branch .LBB72_29
.LBB72_35:                              ;   in Loop: Header=BB72_30 Depth=1
                                        ; implicit-def: $sgpr9
	s_and_b32 s10, exec_lo, s6
	s_delay_alu instid0(SALU_CYCLE_1) | instskip(NEXT) | instid1(SALU_CYCLE_1)
	s_or_b32 s8, s10, s8
	s_and_not1_b32 exec_lo, exec_lo, s8
	s_cbranch_execnz .LBB72_30
.LBB72_36:
	s_or_b32 exec_lo, exec_lo, s8
	v_add_nc_u32_e32 v4, v8, v17
	v_lshlrev_b32_e32 v5, 3, v1
	s_delay_alu instid0(VALU_DEP_2) | instskip(SKIP_3) | instid1(VALU_DEP_1)
	v_or_b32_e32 v4, 0x80000000, v4
	global_store_b32 v[2:3], v4, off
	global_load_b64 v[2:3], v5, s[24:25]
	v_sub_co_u32 v4, s6, v8, v16
	v_sub_co_ci_u32_e64 v6, null, 0, 0, s6
	s_waitcnt vmcnt(0)
	s_delay_alu instid0(VALU_DEP_2) | instskip(NEXT) | instid1(VALU_DEP_1)
	v_add_co_u32 v2, s6, v4, v2
	v_add_co_ci_u32_e64 v3, s6, v6, v3, s6
	ds_store_b64 v5, v[2:3]
.LBB72_37:
	s_or_b32 exec_lo, exec_lo, s7
	v_cmp_gt_u32_e64 s6, s34, v1
	v_lshlrev_b32_e32 v22, 1, v1
	s_waitcnt lgkmcnt(0)
	s_waitcnt_vscnt null, 0x0
	s_barrier
	buffer_gl0_inv
	s_and_saveexec_b32 s8, s6
	s_cbranch_execz .LBB72_39
; %bb.38:
	ds_load_u16 v4, v22 offset:2048
	s_waitcnt lgkmcnt(0)
	v_and_b32_e32 v2, 0xffff, v4
	v_xor_b32_e32 v4, 0xffff8000, v4
	s_delay_alu instid0(VALU_DEP_2) | instskip(NEXT) | instid1(VALU_DEP_1)
	v_lshrrev_b32_e32 v2, s28, v2
	v_and_b32_e32 v2, s33, v2
	s_delay_alu instid0(VALU_DEP_1) | instskip(SKIP_3) | instid1(VALU_DEP_1)
	v_lshlrev_b32_e32 v2, 3, v2
	ds_load_b64 v[2:3], v2
	s_waitcnt lgkmcnt(0)
	v_lshlrev_b64 v[2:3], 1, v[2:3]
	v_add_co_u32 v2, s7, s18, v2
	s_delay_alu instid0(VALU_DEP_1) | instskip(NEXT) | instid1(VALU_DEP_2)
	v_add_co_ci_u32_e64 v3, s7, s19, v3, s7
	v_add_co_u32 v2, s7, v2, v22
	s_delay_alu instid0(VALU_DEP_1)
	v_add_co_ci_u32_e64 v3, s7, 0, v3, s7
	global_store_b16 v[2:3], v4, off
.LBB72_39:
	s_or_b32 exec_lo, exec_lo, s8
	v_or_b32_e32 v13, 0x400, v1
	s_delay_alu instid0(VALU_DEP_1) | instskip(NEXT) | instid1(VALU_DEP_1)
	v_cmp_gt_u32_e64 s7, s34, v13
	s_and_saveexec_b32 s9, s7
	s_cbranch_execz .LBB72_41
; %bb.40:
	ds_load_u16 v4, v22 offset:4096
	s_waitcnt lgkmcnt(0)
	v_and_b32_e32 v2, 0xffff, v4
	v_xor_b32_e32 v4, 0xffff8000, v4
	s_delay_alu instid0(VALU_DEP_2) | instskip(NEXT) | instid1(VALU_DEP_1)
	v_lshrrev_b32_e32 v2, s28, v2
	v_and_b32_e32 v2, s33, v2
	s_delay_alu instid0(VALU_DEP_1) | instskip(SKIP_3) | instid1(VALU_DEP_1)
	v_lshlrev_b32_e32 v2, 3, v2
	ds_load_b64 v[2:3], v2
	s_waitcnt lgkmcnt(0)
	v_lshlrev_b64 v[2:3], 1, v[2:3]
	v_add_co_u32 v2, s8, s18, v2
	s_delay_alu instid0(VALU_DEP_1) | instskip(NEXT) | instid1(VALU_DEP_2)
	v_add_co_ci_u32_e64 v3, s8, s19, v3, s8
	v_add_co_u32 v2, s8, v2, v22
	s_delay_alu instid0(VALU_DEP_1)
	v_add_co_ci_u32_e64 v3, s8, 0, v3, s8
	global_store_b16 v[2:3], v4, off offset:2048
.LBB72_41:
	s_or_b32 exec_lo, exec_lo, s9
	v_or_b32_e32 v15, 0x800, v1
	s_delay_alu instid0(VALU_DEP_1) | instskip(NEXT) | instid1(VALU_DEP_1)
	v_cmp_gt_u32_e64 s8, s34, v15
	s_and_saveexec_b32 s10, s8
	s_cbranch_execz .LBB72_43
; %bb.42:
	ds_load_u16 v4, v22 offset:6144
	v_lshlrev_b32_e32 v5, 1, v15
	s_waitcnt lgkmcnt(0)
	v_and_b32_e32 v2, 0xffff, v4
	v_xor_b32_e32 v4, 0xffff8000, v4
	s_delay_alu instid0(VALU_DEP_2) | instskip(NEXT) | instid1(VALU_DEP_1)
	v_lshrrev_b32_e32 v2, s28, v2
	v_and_b32_e32 v2, s33, v2
	s_delay_alu instid0(VALU_DEP_1) | instskip(SKIP_3) | instid1(VALU_DEP_1)
	v_lshlrev_b32_e32 v2, 3, v2
	ds_load_b64 v[2:3], v2
	s_waitcnt lgkmcnt(0)
	v_lshlrev_b64 v[2:3], 1, v[2:3]
	v_add_co_u32 v2, s9, s18, v2
	s_delay_alu instid0(VALU_DEP_1) | instskip(NEXT) | instid1(VALU_DEP_2)
	v_add_co_ci_u32_e64 v3, s9, s19, v3, s9
	v_add_co_u32 v2, s9, v2, v5
	s_delay_alu instid0(VALU_DEP_1)
	v_add_co_ci_u32_e64 v3, s9, 0, v3, s9
	global_store_b16 v[2:3], v4, off
.LBB72_43:
	s_or_b32 exec_lo, exec_lo, s10
	v_or_b32_e32 v20, 0xc00, v1
	s_delay_alu instid0(VALU_DEP_1) | instskip(NEXT) | instid1(VALU_DEP_1)
	v_cmp_gt_u32_e64 s9, s34, v20
	s_and_saveexec_b32 s11, s9
	s_cbranch_execz .LBB72_45
; %bb.44:
	ds_load_u16 v4, v22 offset:8192
	v_lshlrev_b32_e32 v5, 1, v20
	s_waitcnt lgkmcnt(0)
	v_and_b32_e32 v2, 0xffff, v4
	v_xor_b32_e32 v4, 0xffff8000, v4
	s_delay_alu instid0(VALU_DEP_2) | instskip(NEXT) | instid1(VALU_DEP_1)
	v_lshrrev_b32_e32 v2, s28, v2
	v_and_b32_e32 v2, s33, v2
	s_delay_alu instid0(VALU_DEP_1) | instskip(SKIP_3) | instid1(VALU_DEP_1)
	v_lshlrev_b32_e32 v2, 3, v2
	ds_load_b64 v[2:3], v2
	s_waitcnt lgkmcnt(0)
	v_lshlrev_b64 v[2:3], 1, v[2:3]
	v_add_co_u32 v2, s10, s18, v2
	s_delay_alu instid0(VALU_DEP_1) | instskip(NEXT) | instid1(VALU_DEP_2)
	v_add_co_ci_u32_e64 v3, s10, s19, v3, s10
	v_add_co_u32 v2, s10, v2, v5
	s_delay_alu instid0(VALU_DEP_1)
	v_add_co_ci_u32_e64 v3, s10, 0, v3, s10
	global_store_b16 v[2:3], v4, off
.LBB72_45:
	s_or_b32 exec_lo, exec_lo, s11
	v_lshlrev_b32_e32 v2, 3, v12
	s_lshl_b64 s[10:11], s[30:31], 3
	v_lshlrev_b32_e32 v3, 3, v10
	s_add_u32 s10, s20, s10
	s_addc_u32 s11, s21, s11
	v_add_co_u32 v2, s10, s10, v2
	s_delay_alu instid0(VALU_DEP_1) | instskip(NEXT) | instid1(VALU_DEP_2)
	v_add_co_ci_u32_e64 v4, null, s11, 0, s10
	v_add_co_u32 v10, s10, v2, v3
	s_delay_alu instid0(VALU_DEP_1) | instskip(SKIP_1) | instid1(SALU_CYCLE_1)
	v_add_co_ci_u32_e64 v11, s10, 0, v4, s10
                                        ; implicit-def: $vgpr2_vgpr3
	s_and_saveexec_b32 s10, vcc_lo
	s_xor_b32 s10, exec_lo, s10
	s_cbranch_execnz .LBB72_103
; %bb.46:
	s_or_b32 exec_lo, exec_lo, s10
                                        ; implicit-def: $vgpr4_vgpr5
	s_and_saveexec_b32 s10, s2
	s_cbranch_execnz .LBB72_104
.LBB72_47:
	s_or_b32 exec_lo, exec_lo, s10
                                        ; implicit-def: $vgpr6_vgpr7
	s_and_saveexec_b32 s2, s3
	s_cbranch_execnz .LBB72_105
.LBB72_48:
	s_or_b32 exec_lo, exec_lo, s2
                                        ; implicit-def: $vgpr8_vgpr9
	s_and_saveexec_b32 s2, s4
	s_cbranch_execz .LBB72_50
.LBB72_49:
	global_load_b64 v[8:9], v[10:11], off offset:768
.LBB72_50:
	s_or_b32 exec_lo, exec_lo, s2
	v_dual_mov_b32 v11, 0 :: v_dual_mov_b32 v24, 0
	s_and_saveexec_b32 s2, s6
	s_cbranch_execz .LBB72_52
; %bb.51:
	ds_load_u16 v10, v22 offset:2048
	s_waitcnt lgkmcnt(0)
	v_lshrrev_b32_e32 v10, s28, v10
	s_delay_alu instid0(VALU_DEP_1)
	v_and_b32_e32 v24, s33, v10
.LBB72_52:
	s_or_b32 exec_lo, exec_lo, s2
	s_and_saveexec_b32 s2, s7
	s_cbranch_execz .LBB72_54
; %bb.53:
	ds_load_u16 v10, v22 offset:4096
	s_waitcnt lgkmcnt(0)
	v_lshrrev_b32_e32 v10, s28, v10
	s_delay_alu instid0(VALU_DEP_1)
	v_and_b32_e32 v11, s33, v10
.LBB72_54:
	s_or_b32 exec_lo, exec_lo, s2
	v_dual_mov_b32 v10, 0 :: v_dual_mov_b32 v23, 0
	s_and_saveexec_b32 s2, s8
	s_cbranch_execz .LBB72_56
; %bb.55:
	ds_load_u16 v23, v22 offset:6144
	s_waitcnt lgkmcnt(0)
	v_lshrrev_b32_e32 v23, s28, v23
	s_delay_alu instid0(VALU_DEP_1)
	v_and_b32_e32 v23, s33, v23
.LBB72_56:
	s_or_b32 exec_lo, exec_lo, s2
	s_and_saveexec_b32 s2, s9
	s_cbranch_execz .LBB72_58
; %bb.57:
	ds_load_u16 v10, v22 offset:8192
	s_waitcnt lgkmcnt(0)
	v_lshrrev_b32_e32 v10, s28, v10
	s_delay_alu instid0(VALU_DEP_1)
	v_and_b32_e32 v10, s33, v10
.LBB72_58:
	s_or_b32 exec_lo, exec_lo, s2
	v_lshlrev_b32_e32 v21, 3, v21
	v_lshlrev_b32_e32 v19, 3, v19
	;; [unrolled: 1-line block ×3, first 2 shown]
	s_waitcnt vmcnt(0)
	s_waitcnt_vscnt null, 0x0
	s_barrier
	buffer_gl0_inv
	v_lshlrev_b32_e32 v14, 3, v14
	ds_store_b64 v21, v[2:3] offset:2048
	ds_store_b64 v19, v[4:5] offset:2048
	;; [unrolled: 1-line block ×3, first 2 shown]
	v_lshlrev_b32_e32 v2, 3, v1
	ds_store_b64 v14, v[8:9] offset:2048
	s_waitcnt lgkmcnt(0)
	s_barrier
	buffer_gl0_inv
	s_and_saveexec_b32 s2, s6
	s_cbranch_execnz .LBB72_106
; %bb.59:
	s_or_b32 exec_lo, exec_lo, s2
	s_and_saveexec_b32 s2, s7
	s_cbranch_execnz .LBB72_107
.LBB72_60:
	s_or_b32 exec_lo, exec_lo, s2
	s_and_saveexec_b32 s2, s8
	s_cbranch_execnz .LBB72_108
.LBB72_61:
	s_or_b32 exec_lo, exec_lo, s2
	s_and_saveexec_b32 s2, s9
	s_cbranch_execz .LBB72_63
.LBB72_62:
	v_lshlrev_b32_e32 v3, 3, v10
	ds_load_b64 v[3:4], v3
	ds_load_b64 v[5:6], v2 offset:26624
	s_waitcnt lgkmcnt(1)
	v_lshlrev_b64 v[2:3], 3, v[3:4]
	v_lshlrev_b32_e32 v4, 3, v20
	s_delay_alu instid0(VALU_DEP_2) | instskip(NEXT) | instid1(VALU_DEP_3)
	v_add_co_u32 v2, vcc_lo, s22, v2
	v_add_co_ci_u32_e32 v3, vcc_lo, s23, v3, vcc_lo
	s_delay_alu instid0(VALU_DEP_2) | instskip(NEXT) | instid1(VALU_DEP_2)
	v_add_co_u32 v2, vcc_lo, v2, v4
	v_add_co_ci_u32_e32 v3, vcc_lo, 0, v3, vcc_lo
	s_waitcnt lgkmcnt(0)
	global_store_b64 v[2:3], v[5:6], off
.LBB72_63:
	s_or_b32 exec_lo, exec_lo, s2
	s_add_i32 s14, s14, -1
	s_mov_b32 s2, 0
	s_cmp_eq_u32 s15, s14
	s_mov_b32 s8, 0
	s_cselect_b32 s3, -1, 0
                                        ; implicit-def: $vgpr5_vgpr6
	s_delay_alu instid0(SALU_CYCLE_1) | instskip(NEXT) | instid1(SALU_CYCLE_1)
	s_and_b32 s3, s5, s3
	s_and_saveexec_b32 s4, s3
	s_delay_alu instid0(SALU_CYCLE_1)
	s_xor_b32 s3, exec_lo, s4
; %bb.64:
	v_add_co_u32 v5, s4, v16, v17
	v_mov_b32_e32 v2, 0
	v_add_co_ci_u32_e64 v6, null, 0, 0, s4
	s_mov_b32 s8, exec_lo
; %bb.65:
	s_or_b32 exec_lo, exec_lo, s3
	s_delay_alu instid0(SALU_CYCLE_1)
	s_and_b32 vcc_lo, exec_lo, s2
	s_cbranch_vccnz .LBB72_67
	s_branch .LBB72_100
.LBB72_66:
	s_mov_b32 s8, 0
                                        ; implicit-def: $vgpr5_vgpr6
	s_cbranch_execz .LBB72_100
.LBB72_67:
	v_lshlrev_b32_e32 v13, 2, v1
	s_lshl_b32 s6, s15, 12
	s_mov_b32 s7, 0
	v_dual_mov_b32 v9, 0 :: v_dual_lshlrev_b32 v2, 1, v12
	s_delay_alu instid0(VALU_DEP_2) | instskip(SKIP_1) | instid1(SALU_CYCLE_1)
	v_and_b32_e32 v11, 0xf80, v13
	s_lshl_b64 s[2:3], s[6:7], 1
	s_add_u32 s2, s16, s2
	s_addc_u32 s3, s17, s3
	s_delay_alu instid0(VALU_DEP_1) | instskip(SKIP_1) | instid1(VALU_DEP_1)
	v_lshlrev_b32_e32 v3, 1, v11
	v_add_co_u32 v2, s2, s2, v2
	v_add_co_ci_u32_e64 v4, null, s3, 0, s2
	s_delay_alu instid0(VALU_DEP_2) | instskip(NEXT) | instid1(VALU_DEP_2)
	v_add_co_u32 v2, vcc_lo, v2, v3
	v_add_co_ci_u32_e32 v3, vcc_lo, 0, v4, vcc_lo
	global_load_u16 v6, v[2:3], off
	s_clause 0x1
	s_load_b32 s2, s[0:1], 0x5c
	s_load_b32 s9, s[0:1], 0x50
	s_add_u32 s0, s0, 0x50
	s_addc_u32 s1, s1, 0
	s_waitcnt lgkmcnt(0)
	s_lshr_b32 s2, s2, 16
	s_cmp_lt_u32 s15, s9
	s_cselect_b32 s3, 12, 18
	s_delay_alu instid0(SALU_CYCLE_1)
	s_add_u32 s0, s0, s3
	s_addc_u32 s1, s1, 0
	global_load_u16 v14, v9, s[0:1]
	s_clause 0x2
	global_load_u16 v5, v[2:3], off offset:64
	global_load_u16 v4, v[2:3], off offset:128
	;; [unrolled: 1-line block ×3, first 2 shown]
	s_lshl_b32 s0, -1, s29
	s_delay_alu instid0(SALU_CYCLE_1) | instskip(SKIP_2) | instid1(VALU_DEP_1)
	s_not_b32 s10, s0
	s_waitcnt vmcnt(4)
	v_xor_b32_e32 v10, 0xffff8000, v6
	v_and_b32_e32 v3, 0xffff, v10
	s_delay_alu instid0(VALU_DEP_1) | instskip(NEXT) | instid1(VALU_DEP_1)
	v_lshrrev_b32_e32 v3, s28, v3
	v_and_b32_e32 v16, s10, v3
	v_bfe_u32 v3, v0, 10, 10
	v_bfe_u32 v0, v0, 20, 10
	s_delay_alu instid0(VALU_DEP_3)
	v_and_b32_e32 v6, 1, v16
	v_lshlrev_b32_e32 v7, 30, v16
	v_lshlrev_b32_e32 v8, 29, v16
	v_lshlrev_b32_e32 v15, 28, v16
	v_lshlrev_b32_e32 v18, 27, v16
	v_add_co_u32 v6, s0, v6, -1
	s_delay_alu instid0(VALU_DEP_1)
	v_cndmask_b32_e64 v17, 0, 1, s0
	v_not_b32_e32 v21, v7
	v_cmp_gt_i32_e64 s0, 0, v7
	v_not_b32_e32 v7, v8
	v_lshlrev_b32_e32 v19, 26, v16
	v_cmp_ne_u32_e32 vcc_lo, 0, v17
	v_ashrrev_i32_e32 v21, 31, v21
	v_lshlrev_b32_e32 v20, 25, v16
	v_ashrrev_i32_e32 v7, 31, v7
	v_lshlrev_b32_e32 v17, 24, v16
	v_xor_b32_e32 v6, vcc_lo, v6
	v_cmp_gt_i32_e32 vcc_lo, 0, v8
	v_not_b32_e32 v8, v15
	v_xor_b32_e32 v21, s0, v21
	v_cmp_gt_i32_e64 s0, 0, v15
	v_and_b32_e32 v6, exec_lo, v6
	v_not_b32_e32 v15, v18
	v_ashrrev_i32_e32 v8, 31, v8
	v_xor_b32_e32 v7, vcc_lo, v7
	v_cmp_gt_i32_e32 vcc_lo, 0, v18
	v_and_b32_e32 v6, v6, v21
	v_not_b32_e32 v18, v19
	v_ashrrev_i32_e32 v15, 31, v15
	v_xor_b32_e32 v8, s0, v8
	v_cmp_gt_i32_e64 s0, 0, v19
	v_and_b32_e32 v6, v6, v7
	v_not_b32_e32 v7, v20
	v_ashrrev_i32_e32 v18, 31, v18
	v_xor_b32_e32 v15, vcc_lo, v15
	v_cmp_gt_i32_e32 vcc_lo, 0, v20
	v_and_b32_e32 v6, v6, v8
	v_not_b32_e32 v8, v17
	v_ashrrev_i32_e32 v7, 31, v7
	v_xor_b32_e32 v18, s0, v18
	v_cmp_gt_i32_e64 s0, 0, v17
	v_and_b32_e32 v6, v6, v15
	v_ashrrev_i32_e32 v8, 31, v8
	v_xor_b32_e32 v7, vcc_lo, v7
	v_mad_u32_u24 v0, v0, s2, v3
	v_mul_u32_u24_e32 v15, 9, v1
	v_and_b32_e32 v6, v6, v18
	v_xor_b32_e32 v3, s0, v8
	s_delay_alu instid0(VALU_DEP_3) | instskip(NEXT) | instid1(VALU_DEP_3)
	v_lshlrev_b32_e32 v15, 2, v15
	v_and_b32_e32 v6, v6, v7
	s_waitcnt vmcnt(0)
	v_mad_u64_u32 v[7:8], null, v0, v14, v[1:2]
	ds_store_2addr_b32 v15, v9, v9 offset0:32 offset1:33
	ds_store_2addr_b32 v15, v9, v9 offset0:34 offset1:35
	;; [unrolled: 1-line block ×4, first 2 shown]
	v_and_b32_e32 v6, v6, v3
	ds_store_b32 v15, v9 offset:160
	s_waitcnt lgkmcnt(0)
	s_waitcnt_vscnt null, 0x0
	s_barrier
	v_lshrrev_b32_e32 v3, 5, v7
	v_mbcnt_lo_u32_b32 v0, v6, 0
	v_mul_u32_u24_e32 v7, 33, v16
	v_cmp_ne_u32_e64 s0, 0, v6
	buffer_gl0_inv
	v_cmp_eq_u32_e32 vcc_lo, 0, v0
	v_add_lshl_u32 v16, v3, v7, 2
	; wave barrier
	s_and_b32 s1, s0, vcc_lo
	s_delay_alu instid0(SALU_CYCLE_1)
	s_and_saveexec_b32 s0, s1
	s_cbranch_execz .LBB72_69
; %bb.68:
	v_bcnt_u32_b32 v6, v6, 0
	ds_store_b32 v16, v6 offset:128
.LBB72_69:
	s_or_b32 exec_lo, exec_lo, s0
	v_xor_b32_e32 v14, 0xffff8000, v5
	; wave barrier
	s_delay_alu instid0(VALU_DEP_1) | instskip(NEXT) | instid1(VALU_DEP_1)
	v_and_b32_e32 v5, 0xffff, v14
	v_lshrrev_b32_e32 v5, s28, v5
	s_delay_alu instid0(VALU_DEP_1) | instskip(NEXT) | instid1(VALU_DEP_1)
	v_and_b32_e32 v5, s10, v5
	v_and_b32_e32 v6, 1, v5
	v_lshlrev_b32_e32 v7, 30, v5
	v_lshlrev_b32_e32 v8, 29, v5
	;; [unrolled: 1-line block ×4, first 2 shown]
	v_add_co_u32 v6, s0, v6, -1
	s_delay_alu instid0(VALU_DEP_1)
	v_cndmask_b32_e64 v17, 0, 1, s0
	v_not_b32_e32 v21, v7
	v_cmp_gt_i32_e64 s0, 0, v7
	v_not_b32_e32 v7, v8
	v_lshlrev_b32_e32 v19, 26, v5
	v_cmp_ne_u32_e32 vcc_lo, 0, v17
	v_ashrrev_i32_e32 v21, 31, v21
	v_lshlrev_b32_e32 v20, 25, v5
	v_ashrrev_i32_e32 v7, 31, v7
	v_lshlrev_b32_e32 v17, 24, v5
	v_xor_b32_e32 v6, vcc_lo, v6
	v_cmp_gt_i32_e32 vcc_lo, 0, v8
	v_not_b32_e32 v8, v9
	v_xor_b32_e32 v21, s0, v21
	v_cmp_gt_i32_e64 s0, 0, v9
	v_and_b32_e32 v6, exec_lo, v6
	v_not_b32_e32 v9, v18
	v_ashrrev_i32_e32 v8, 31, v8
	v_xor_b32_e32 v7, vcc_lo, v7
	v_cmp_gt_i32_e32 vcc_lo, 0, v18
	v_and_b32_e32 v6, v6, v21
	v_not_b32_e32 v18, v19
	v_ashrrev_i32_e32 v9, 31, v9
	v_xor_b32_e32 v8, s0, v8
	v_cmp_gt_i32_e64 s0, 0, v19
	v_and_b32_e32 v6, v6, v7
	v_not_b32_e32 v7, v20
	v_ashrrev_i32_e32 v18, 31, v18
	v_xor_b32_e32 v9, vcc_lo, v9
	v_cmp_gt_i32_e32 vcc_lo, 0, v20
	v_and_b32_e32 v6, v6, v8
	v_not_b32_e32 v8, v17
	v_ashrrev_i32_e32 v7, 31, v7
	v_xor_b32_e32 v18, s0, v18
	v_mul_u32_u24_e32 v5, 33, v5
	v_and_b32_e32 v6, v6, v9
	v_cmp_gt_i32_e64 s0, 0, v17
	v_ashrrev_i32_e32 v8, 31, v8
	v_xor_b32_e32 v7, vcc_lo, v7
	v_add_lshl_u32 v20, v3, v5, 2
	v_and_b32_e32 v6, v6, v18
	s_delay_alu instid0(VALU_DEP_4) | instskip(SKIP_2) | instid1(VALU_DEP_1)
	v_xor_b32_e32 v5, s0, v8
	ds_load_b32 v17, v20 offset:128
	v_and_b32_e32 v6, v6, v7
	; wave barrier
	v_and_b32_e32 v5, v6, v5
	s_delay_alu instid0(VALU_DEP_1) | instskip(SKIP_1) | instid1(VALU_DEP_2)
	v_mbcnt_lo_u32_b32 v18, v5, 0
	v_cmp_ne_u32_e64 s0, 0, v5
	v_cmp_eq_u32_e32 vcc_lo, 0, v18
	s_delay_alu instid0(VALU_DEP_2) | instskip(NEXT) | instid1(SALU_CYCLE_1)
	s_and_b32 s1, s0, vcc_lo
	s_and_saveexec_b32 s0, s1
	s_cbranch_execz .LBB72_71
; %bb.70:
	s_waitcnt lgkmcnt(0)
	v_bcnt_u32_b32 v5, v5, v17
	ds_store_b32 v20, v5 offset:128
.LBB72_71:
	s_or_b32 exec_lo, exec_lo, s0
	v_xor_b32_e32 v19, 0xffff8000, v4
	; wave barrier
	s_delay_alu instid0(VALU_DEP_1) | instskip(NEXT) | instid1(VALU_DEP_1)
	v_and_b32_e32 v4, 0xffff, v19
	v_lshrrev_b32_e32 v4, s28, v4
	s_delay_alu instid0(VALU_DEP_1) | instskip(NEXT) | instid1(VALU_DEP_1)
	v_and_b32_e32 v4, s10, v4
	v_and_b32_e32 v5, 1, v4
	v_lshlrev_b32_e32 v6, 30, v4
	v_lshlrev_b32_e32 v7, 29, v4
	v_lshlrev_b32_e32 v8, 28, v4
	v_lshlrev_b32_e32 v21, 27, v4
	v_add_co_u32 v5, s0, v5, -1
	s_delay_alu instid0(VALU_DEP_1)
	v_cndmask_b32_e64 v9, 0, 1, s0
	v_not_b32_e32 v24, v6
	v_cmp_gt_i32_e64 s0, 0, v6
	v_not_b32_e32 v6, v7
	v_lshlrev_b32_e32 v22, 26, v4
	v_cmp_ne_u32_e32 vcc_lo, 0, v9
	v_ashrrev_i32_e32 v24, 31, v24
	v_lshlrev_b32_e32 v23, 25, v4
	v_ashrrev_i32_e32 v6, 31, v6
	v_lshlrev_b32_e32 v9, 24, v4
	v_xor_b32_e32 v5, vcc_lo, v5
	v_cmp_gt_i32_e32 vcc_lo, 0, v7
	v_not_b32_e32 v7, v8
	v_xor_b32_e32 v24, s0, v24
	v_cmp_gt_i32_e64 s0, 0, v8
	v_and_b32_e32 v5, exec_lo, v5
	v_not_b32_e32 v8, v21
	v_ashrrev_i32_e32 v7, 31, v7
	v_xor_b32_e32 v6, vcc_lo, v6
	v_cmp_gt_i32_e32 vcc_lo, 0, v21
	v_and_b32_e32 v5, v5, v24
	v_not_b32_e32 v21, v22
	v_ashrrev_i32_e32 v8, 31, v8
	v_xor_b32_e32 v7, s0, v7
	v_cmp_gt_i32_e64 s0, 0, v22
	v_and_b32_e32 v5, v5, v6
	v_not_b32_e32 v6, v23
	v_ashrrev_i32_e32 v21, 31, v21
	v_xor_b32_e32 v8, vcc_lo, v8
	v_cmp_gt_i32_e32 vcc_lo, 0, v23
	v_and_b32_e32 v5, v5, v7
	v_not_b32_e32 v7, v9
	v_ashrrev_i32_e32 v6, 31, v6
	v_xor_b32_e32 v21, s0, v21
	v_mul_u32_u24_e32 v4, 33, v4
	v_and_b32_e32 v5, v5, v8
	v_cmp_gt_i32_e64 s0, 0, v9
	v_ashrrev_i32_e32 v7, 31, v7
	v_xor_b32_e32 v6, vcc_lo, v6
	v_add_lshl_u32 v24, v3, v4, 2
	v_and_b32_e32 v5, v5, v21
	s_delay_alu instid0(VALU_DEP_4) | instskip(SKIP_2) | instid1(VALU_DEP_1)
	v_xor_b32_e32 v4, s0, v7
	ds_load_b32 v21, v24 offset:128
	v_and_b32_e32 v5, v5, v6
	; wave barrier
	v_and_b32_e32 v4, v5, v4
	s_delay_alu instid0(VALU_DEP_1) | instskip(SKIP_1) | instid1(VALU_DEP_2)
	v_mbcnt_lo_u32_b32 v22, v4, 0
	v_cmp_ne_u32_e64 s0, 0, v4
	v_cmp_eq_u32_e32 vcc_lo, 0, v22
	s_delay_alu instid0(VALU_DEP_2) | instskip(NEXT) | instid1(SALU_CYCLE_1)
	s_and_b32 s1, s0, vcc_lo
	s_and_saveexec_b32 s0, s1
	s_cbranch_execz .LBB72_73
; %bb.72:
	s_waitcnt lgkmcnt(0)
	v_bcnt_u32_b32 v4, v4, v21
	ds_store_b32 v24, v4 offset:128
.LBB72_73:
	s_or_b32 exec_lo, exec_lo, s0
	v_xor_b32_e32 v23, 0xffff8000, v2
	; wave barrier
	v_add_nc_u32_e32 v28, 0x80, v15
	s_delay_alu instid0(VALU_DEP_2) | instskip(NEXT) | instid1(VALU_DEP_1)
	v_and_b32_e32 v2, 0xffff, v23
	v_lshrrev_b32_e32 v2, s28, v2
	s_delay_alu instid0(VALU_DEP_1) | instskip(NEXT) | instid1(VALU_DEP_1)
	v_and_b32_e32 v2, s10, v2
	v_and_b32_e32 v4, 1, v2
	v_lshlrev_b32_e32 v5, 30, v2
	v_lshlrev_b32_e32 v6, 29, v2
	;; [unrolled: 1-line block ×4, first 2 shown]
	v_add_co_u32 v4, s0, v4, -1
	s_delay_alu instid0(VALU_DEP_1)
	v_cndmask_b32_e64 v8, 0, 1, s0
	v_not_b32_e32 v27, v5
	v_cmp_gt_i32_e64 s0, 0, v5
	v_not_b32_e32 v5, v6
	v_lshlrev_b32_e32 v25, 26, v2
	v_cmp_ne_u32_e32 vcc_lo, 0, v8
	v_ashrrev_i32_e32 v27, 31, v27
	v_lshlrev_b32_e32 v26, 25, v2
	v_ashrrev_i32_e32 v5, 31, v5
	v_lshlrev_b32_e32 v8, 24, v2
	v_xor_b32_e32 v4, vcc_lo, v4
	v_cmp_gt_i32_e32 vcc_lo, 0, v6
	v_not_b32_e32 v6, v7
	v_xor_b32_e32 v27, s0, v27
	v_cmp_gt_i32_e64 s0, 0, v7
	v_and_b32_e32 v4, exec_lo, v4
	v_not_b32_e32 v7, v9
	v_ashrrev_i32_e32 v6, 31, v6
	v_xor_b32_e32 v5, vcc_lo, v5
	v_cmp_gt_i32_e32 vcc_lo, 0, v9
	v_and_b32_e32 v4, v4, v27
	v_not_b32_e32 v9, v25
	v_ashrrev_i32_e32 v7, 31, v7
	v_xor_b32_e32 v6, s0, v6
	v_cmp_gt_i32_e64 s0, 0, v25
	v_and_b32_e32 v4, v4, v5
	v_not_b32_e32 v5, v26
	v_ashrrev_i32_e32 v9, 31, v9
	v_xor_b32_e32 v7, vcc_lo, v7
	v_cmp_gt_i32_e32 vcc_lo, 0, v26
	v_and_b32_e32 v4, v4, v6
	v_not_b32_e32 v6, v8
	v_ashrrev_i32_e32 v5, 31, v5
	v_xor_b32_e32 v9, s0, v9
	v_mul_u32_u24_e32 v2, 33, v2
	v_and_b32_e32 v4, v4, v7
	v_cmp_gt_i32_e64 s0, 0, v8
	v_ashrrev_i32_e32 v6, 31, v6
	v_xor_b32_e32 v5, vcc_lo, v5
	v_add_lshl_u32 v27, v3, v2, 2
	v_and_b32_e32 v4, v4, v9
	s_delay_alu instid0(VALU_DEP_4) | instskip(SKIP_2) | instid1(VALU_DEP_1)
	v_xor_b32_e32 v2, s0, v6
	ds_load_b32 v25, v27 offset:128
	v_and_b32_e32 v3, v4, v5
	; wave barrier
	v_and_b32_e32 v2, v3, v2
	s_delay_alu instid0(VALU_DEP_1) | instskip(SKIP_1) | instid1(VALU_DEP_2)
	v_mbcnt_lo_u32_b32 v26, v2, 0
	v_cmp_ne_u32_e64 s0, 0, v2
	v_cmp_eq_u32_e32 vcc_lo, 0, v26
	s_delay_alu instid0(VALU_DEP_2) | instskip(NEXT) | instid1(SALU_CYCLE_1)
	s_and_b32 s1, s0, vcc_lo
	s_and_saveexec_b32 s0, s1
	s_cbranch_execz .LBB72_75
; %bb.74:
	s_waitcnt lgkmcnt(0)
	v_bcnt_u32_b32 v2, v2, v25
	ds_store_b32 v27, v2 offset:128
.LBB72_75:
	s_or_b32 exec_lo, exec_lo, s0
	; wave barrier
	s_waitcnt lgkmcnt(0)
	s_barrier
	buffer_gl0_inv
	ds_load_2addr_b32 v[8:9], v15 offset0:32 offset1:33
	ds_load_2addr_b32 v[6:7], v28 offset0:2 offset1:3
	ds_load_2addr_b32 v[4:5], v28 offset0:4 offset1:5
	ds_load_2addr_b32 v[2:3], v28 offset0:6 offset1:7
	ds_load_b32 v29, v28 offset:32
	v_and_b32_e32 v32, 16, v12
	v_and_b32_e32 v33, 31, v1
	s_mov_b32 s5, exec_lo
	s_delay_alu instid0(VALU_DEP_2) | instskip(SKIP_3) | instid1(VALU_DEP_1)
	v_cmp_eq_u32_e64 s3, 0, v32
	s_waitcnt lgkmcnt(3)
	v_add3_u32 v30, v9, v8, v6
	s_waitcnt lgkmcnt(2)
	v_add3_u32 v30, v30, v7, v4
	s_waitcnt lgkmcnt(1)
	s_delay_alu instid0(VALU_DEP_1) | instskip(SKIP_1) | instid1(VALU_DEP_1)
	v_add3_u32 v30, v30, v5, v2
	s_waitcnt lgkmcnt(0)
	v_add3_u32 v29, v30, v3, v29
	v_and_b32_e32 v30, 15, v12
	s_delay_alu instid0(VALU_DEP_2) | instskip(NEXT) | instid1(VALU_DEP_2)
	v_mov_b32_dpp v31, v29 row_shr:1 row_mask:0xf bank_mask:0xf
	v_cmp_eq_u32_e32 vcc_lo, 0, v30
	v_cmp_lt_u32_e64 s0, 1, v30
	v_cmp_lt_u32_e64 s1, 3, v30
	;; [unrolled: 1-line block ×3, first 2 shown]
	v_cndmask_b32_e64 v31, v31, 0, vcc_lo
	s_delay_alu instid0(VALU_DEP_1) | instskip(NEXT) | instid1(VALU_DEP_1)
	v_add_nc_u32_e32 v29, v31, v29
	v_mov_b32_dpp v31, v29 row_shr:2 row_mask:0xf bank_mask:0xf
	s_delay_alu instid0(VALU_DEP_1) | instskip(NEXT) | instid1(VALU_DEP_1)
	v_cndmask_b32_e64 v31, 0, v31, s0
	v_add_nc_u32_e32 v29, v29, v31
	s_delay_alu instid0(VALU_DEP_1) | instskip(NEXT) | instid1(VALU_DEP_1)
	v_mov_b32_dpp v31, v29 row_shr:4 row_mask:0xf bank_mask:0xf
	v_cndmask_b32_e64 v31, 0, v31, s1
	s_delay_alu instid0(VALU_DEP_1) | instskip(NEXT) | instid1(VALU_DEP_1)
	v_add_nc_u32_e32 v29, v29, v31
	v_mov_b32_dpp v31, v29 row_shr:8 row_mask:0xf bank_mask:0xf
	s_delay_alu instid0(VALU_DEP_1) | instskip(SKIP_1) | instid1(VALU_DEP_2)
	v_cndmask_b32_e64 v30, 0, v31, s2
	v_bfe_i32 v31, v12, 4, 1
	v_add_nc_u32_e32 v29, v29, v30
	ds_swizzle_b32 v30, v29 offset:swizzle(BROADCAST,32,15)
	s_waitcnt lgkmcnt(0)
	v_and_b32_e32 v31, v31, v30
	v_lshrrev_b32_e32 v30, 5, v1
	s_delay_alu instid0(VALU_DEP_2)
	v_add_nc_u32_e32 v29, v29, v31
	v_cmpx_eq_u32_e32 31, v33
	s_cbranch_execz .LBB72_77
; %bb.76:
	s_delay_alu instid0(VALU_DEP_3)
	v_lshlrev_b32_e32 v31, 2, v30
	ds_store_b32 v31, v29
.LBB72_77:
	s_or_b32 exec_lo, exec_lo, s5
	v_cmp_lt_u32_e64 s4, 31, v1
	s_mov_b32 s11, exec_lo
	s_waitcnt lgkmcnt(0)
	s_barrier
	buffer_gl0_inv
	v_cmpx_gt_u32_e32 32, v1
	s_cbranch_execz .LBB72_79
; %bb.78:
	ds_load_b32 v31, v13
	s_waitcnt lgkmcnt(0)
	v_mov_b32_dpp v32, v31 row_shr:1 row_mask:0xf bank_mask:0xf
	s_delay_alu instid0(VALU_DEP_1) | instskip(NEXT) | instid1(VALU_DEP_1)
	v_cndmask_b32_e64 v32, v32, 0, vcc_lo
	v_add_nc_u32_e32 v31, v32, v31
	s_delay_alu instid0(VALU_DEP_1) | instskip(NEXT) | instid1(VALU_DEP_1)
	v_mov_b32_dpp v32, v31 row_shr:2 row_mask:0xf bank_mask:0xf
	v_cndmask_b32_e64 v32, 0, v32, s0
	s_delay_alu instid0(VALU_DEP_1) | instskip(NEXT) | instid1(VALU_DEP_1)
	v_add_nc_u32_e32 v31, v31, v32
	v_mov_b32_dpp v32, v31 row_shr:4 row_mask:0xf bank_mask:0xf
	s_delay_alu instid0(VALU_DEP_1) | instskip(NEXT) | instid1(VALU_DEP_1)
	v_cndmask_b32_e64 v32, 0, v32, s1
	v_add_nc_u32_e32 v31, v31, v32
	s_delay_alu instid0(VALU_DEP_1) | instskip(NEXT) | instid1(VALU_DEP_1)
	v_mov_b32_dpp v32, v31 row_shr:8 row_mask:0xf bank_mask:0xf
	v_cndmask_b32_e64 v32, 0, v32, s2
	s_delay_alu instid0(VALU_DEP_1) | instskip(SKIP_3) | instid1(VALU_DEP_1)
	v_add_nc_u32_e32 v31, v31, v32
	ds_swizzle_b32 v32, v31 offset:swizzle(BROADCAST,32,15)
	s_waitcnt lgkmcnt(0)
	v_cndmask_b32_e64 v32, v32, 0, s3
	v_add_nc_u32_e32 v31, v31, v32
	ds_store_b32 v13, v31
.LBB72_79:
	s_or_b32 exec_lo, exec_lo, s11
	v_mov_b32_e32 v13, 0
	s_waitcnt lgkmcnt(0)
	s_barrier
	buffer_gl0_inv
	s_and_saveexec_b32 s0, s4
	s_cbranch_execz .LBB72_81
; %bb.80:
	v_lshl_add_u32 v13, v30, 2, -4
	ds_load_b32 v13, v13
.LBB72_81:
	s_or_b32 exec_lo, exec_lo, s0
	v_add_nc_u32_e32 v30, -1, v12
	v_cmp_lt_u32_e64 s0, 0xff, v1
	s_waitcnt lgkmcnt(0)
	v_add_nc_u32_e32 v29, v13, v29
	s_delay_alu instid0(VALU_DEP_3) | instskip(SKIP_2) | instid1(VALU_DEP_2)
	v_cmp_gt_i32_e32 vcc_lo, 0, v30
	v_cndmask_b32_e32 v30, v30, v12, vcc_lo
	v_cmp_eq_u32_e32 vcc_lo, 0, v12
	v_lshlrev_b32_e32 v30, 2, v30
	ds_bpermute_b32 v29, v30, v29
	s_waitcnt lgkmcnt(0)
	v_cndmask_b32_e32 v13, v29, v13, vcc_lo
	v_cmp_ne_u32_e32 vcc_lo, 0, v1
	s_delay_alu instid0(VALU_DEP_2) | instskip(SKIP_1) | instid1(VALU_DEP_2)
	v_cndmask_b32_e32 v13, 0, v13, vcc_lo
	v_cmp_gt_u32_e32 vcc_lo, 0x100, v1
	v_add_nc_u32_e32 v8, v13, v8
	s_delay_alu instid0(VALU_DEP_1) | instskip(NEXT) | instid1(VALU_DEP_1)
	v_add_nc_u32_e32 v9, v8, v9
	v_add_nc_u32_e32 v6, v9, v6
	s_delay_alu instid0(VALU_DEP_1) | instskip(NEXT) | instid1(VALU_DEP_1)
	v_add_nc_u32_e32 v7, v6, v7
	;; [unrolled: 3-line block ×3, first 2 shown]
	v_add_nc_u32_e32 v2, v5, v2
	s_delay_alu instid0(VALU_DEP_1)
	v_add_nc_u32_e32 v3, v2, v3
	ds_store_2addr_b32 v15, v13, v8 offset0:32 offset1:33
	ds_store_2addr_b32 v28, v9, v6 offset0:2 offset1:3
	;; [unrolled: 1-line block ×4, first 2 shown]
	ds_store_b32 v28, v3 offset:32
	s_waitcnt lgkmcnt(0)
	s_barrier
	buffer_gl0_inv
	ds_load_b32 v2, v16 offset:128
	ds_load_b32 v5, v20 offset:128
	;; [unrolled: 1-line block ×4, first 2 shown]
	v_mov_b32_e32 v3, 0
	v_mov_b32_e32 v4, 0
                                        ; implicit-def: $vgpr13
	s_and_saveexec_b32 s2, vcc_lo
	s_cbranch_execz .LBB72_85
; %bb.82:
	v_mul_u32_u24_e32 v3, 33, v1
	v_mov_b32_e32 v4, 0x1000
	s_mov_b32 s3, exec_lo
	s_delay_alu instid0(VALU_DEP_2)
	v_lshlrev_b32_e32 v8, 2, v3
	ds_load_b32 v3, v8 offset:128
	v_cmpx_ne_u32_e32 0xff, v1
	s_cbranch_execz .LBB72_84
; %bb.83:
	ds_load_b32 v4, v8 offset:260
.LBB72_84:
	s_or_b32 exec_lo, exec_lo, s3
	s_waitcnt lgkmcnt(0)
	v_sub_nc_u32_e32 v13, v4, v3
	v_mov_b32_e32 v4, 0
.LBB72_85:
	s_or_b32 exec_lo, exec_lo, s2
	s_waitcnt lgkmcnt(3)
	v_add_nc_u32_e32 v20, v2, v0
	s_waitcnt lgkmcnt(2)
	v_add3_u32 v16, v18, v17, v5
	s_waitcnt lgkmcnt(1)
	v_add3_u32 v15, v22, v21, v6
	;; [unrolled: 2-line block ×3, first 2 shown]
	v_lshlrev_b32_e32 v2, 1, v20
	v_lshlrev_b32_e32 v5, 1, v16
	;; [unrolled: 1-line block ×3, first 2 shown]
	s_delay_alu instid0(VALU_DEP_4)
	v_lshlrev_b32_e32 v7, 1, v0
	s_barrier
	buffer_gl0_inv
	ds_store_b16 v2, v10 offset:2048
	ds_store_b16 v5, v14 offset:2048
	;; [unrolled: 1-line block ×4, first 2 shown]
	s_waitcnt lgkmcnt(0)
	s_barrier
	buffer_gl0_inv
	s_and_saveexec_b32 s1, s0
	s_delay_alu instid0(SALU_CYCLE_1)
	s_xor_b32 s0, exec_lo, s1
; %bb.86:
	v_mov_b32_e32 v2, 0
; %bb.87:
	s_and_not1_saveexec_b32 s1, s0
	s_cbranch_execz .LBB72_97
; %bb.88:
	v_lshl_or_b32 v7, s15, 8, v1
	v_mov_b32_e32 v8, 0
	v_mov_b32_e32 v2, 0
	s_mov_b32 s2, 0
	s_mov_b32 s3, s15
	s_delay_alu instid0(VALU_DEP_2) | instskip(SKIP_1) | instid1(VALU_DEP_2)
	v_lshlrev_b64 v[5:6], 2, v[7:8]
	v_or_b32_e32 v7, 2.0, v13
	v_add_co_u32 v5, s0, s12, v5
	s_delay_alu instid0(VALU_DEP_1)
	v_add_co_ci_u32_e64 v6, s0, s13, v6, s0
                                        ; implicit-def: $sgpr0
	global_store_b32 v[5:6], v7, off
	s_branch .LBB72_91
	.p2align	6
.LBB72_89:                              ;   in Loop: Header=BB72_91 Depth=1
	s_or_b32 exec_lo, exec_lo, s5
.LBB72_90:                              ;   in Loop: Header=BB72_91 Depth=1
	s_delay_alu instid0(SALU_CYCLE_1) | instskip(SKIP_2) | instid1(VALU_DEP_2)
	s_or_b32 exec_lo, exec_lo, s4
	v_and_b32_e32 v9, 0x3fffffff, v14
	v_cmp_eq_u32_e64 s0, 0x80000000, v7
	v_add_nc_u32_e32 v2, v9, v2
	s_delay_alu instid0(VALU_DEP_2) | instskip(NEXT) | instid1(SALU_CYCLE_1)
	s_and_b32 s4, exec_lo, s0
	s_or_b32 s2, s4, s2
	s_delay_alu instid0(SALU_CYCLE_1)
	s_and_not1_b32 exec_lo, exec_lo, s2
	s_cbranch_execz .LBB72_96
.LBB72_91:                              ; =>This Loop Header: Depth=1
                                        ;     Child Loop BB72_94 Depth 2
	s_or_b32 s0, s0, exec_lo
	s_cmp_eq_u32 s3, 0
	s_cbranch_scc1 .LBB72_95
; %bb.92:                               ;   in Loop: Header=BB72_91 Depth=1
	s_add_i32 s3, s3, -1
	s_mov_b32 s4, exec_lo
	v_lshl_or_b32 v7, s3, 8, v1
	s_delay_alu instid0(VALU_DEP_1) | instskip(NEXT) | instid1(VALU_DEP_1)
	v_lshlrev_b64 v[9:10], 2, v[7:8]
	v_add_co_u32 v9, s0, s12, v9
	s_delay_alu instid0(VALU_DEP_1) | instskip(SKIP_3) | instid1(VALU_DEP_1)
	v_add_co_ci_u32_e64 v10, s0, s13, v10, s0
	global_load_b32 v14, v[9:10], off glc
	s_waitcnt vmcnt(0)
	v_and_b32_e32 v7, -2.0, v14
	v_cmpx_eq_u32_e32 0, v7
	s_cbranch_execz .LBB72_90
; %bb.93:                               ;   in Loop: Header=BB72_91 Depth=1
	s_mov_b32 s5, 0
.LBB72_94:                              ;   Parent Loop BB72_91 Depth=1
                                        ; =>  This Inner Loop Header: Depth=2
	global_load_b32 v14, v[9:10], off glc
	s_waitcnt vmcnt(0)
	v_and_b32_e32 v7, -2.0, v14
	s_delay_alu instid0(VALU_DEP_1) | instskip(NEXT) | instid1(VALU_DEP_1)
	v_cmp_ne_u32_e64 s0, 0, v7
	s_or_b32 s5, s0, s5
	s_delay_alu instid0(SALU_CYCLE_1)
	s_and_not1_b32 exec_lo, exec_lo, s5
	s_cbranch_execnz .LBB72_94
	s_branch .LBB72_89
.LBB72_95:                              ;   in Loop: Header=BB72_91 Depth=1
                                        ; implicit-def: $sgpr3
	s_and_b32 s4, exec_lo, s0
	s_delay_alu instid0(SALU_CYCLE_1) | instskip(NEXT) | instid1(SALU_CYCLE_1)
	s_or_b32 s2, s4, s2
	s_and_not1_b32 exec_lo, exec_lo, s2
	s_cbranch_execnz .LBB72_91
.LBB72_96:
	s_or_b32 exec_lo, exec_lo, s2
	v_add_nc_u32_e32 v7, v2, v13
	v_lshlrev_b32_e32 v8, 3, v1
	v_sub_co_u32 v2, s0, v2, v3
	s_delay_alu instid0(VALU_DEP_3)
	v_or_b32_e32 v7, 0x80000000, v7
	global_store_b32 v[5:6], v7, off
	global_load_b64 v[5:6], v8, s[24:25]
	v_sub_co_ci_u32_e64 v7, s0, 0, v4, s0
	s_waitcnt vmcnt(0)
	v_add_co_u32 v5, s0, v2, v5
	v_mov_b32_e32 v2, 0
	s_delay_alu instid0(VALU_DEP_3)
	v_add_co_ci_u32_e64 v6, s0, v7, v6, s0
	ds_store_b64 v8, v[5:6]
.LBB72_97:
	s_or_b32 exec_lo, exec_lo, s1
	v_lshlrev_b32_e32 v5, 3, v12
	s_lshl_b64 s[0:1], s[6:7], 3
	v_lshlrev_b32_e32 v6, 3, v11
	s_add_u32 s0, s20, s0
	s_addc_u32 s1, s21, s1
	v_add_co_u32 v5, s0, s0, v5
	s_delay_alu instid0(VALU_DEP_1) | instskip(SKIP_2) | instid1(VALU_DEP_2)
	v_add_co_ci_u32_e64 v7, null, s1, 0, s0
	s_waitcnt lgkmcnt(0)
	s_waitcnt_vscnt null, 0x0
	v_add_co_u32 v5, s0, v5, v6
	s_delay_alu instid0(VALU_DEP_1)
	v_add_co_ci_u32_e64 v6, s0, 0, v7, s0
	s_barrier
	buffer_gl0_inv
	v_lshlrev_b32_e32 v27, 1, v1
	s_clause 0x3
	global_load_b64 v[7:8], v[5:6], off
	global_load_b64 v[9:10], v[5:6], off offset:256
	global_load_b64 v[11:12], v[5:6], off offset:512
	;; [unrolled: 1-line block ×3, first 2 shown]
	v_lshlrev_b32_e32 v29, 1, v1
	v_lshlrev_b32_e32 v40, 3, v15
	;; [unrolled: 1-line block ×3, first 2 shown]
	ds_load_u16 v28, v27 offset:8192
	ds_load_u16 v19, v29 offset:2048
	ds_load_u16 v30, v27 offset:4096
	v_lshlrev_b32_e32 v39, 3, v16
	v_lshlrev_b64 v[25:26], 1, v[1:2]
	v_or_b32_e32 v35, 0x800, v1
	v_or_b32_e32 v36, 0xc00, v1
	v_lshlrev_b32_e32 v0, 3, v0
	s_add_i32 s9, s9, -1
	s_delay_alu instid0(VALU_DEP_3) | instskip(NEXT) | instid1(VALU_DEP_3)
	v_lshlrev_b32_e32 v41, 1, v35
	v_lshlrev_b32_e32 v42, 1, v36
	s_cmp_eq_u32 s15, s9
	s_cselect_b32 s1, -1, 0
	s_delay_alu instid0(SALU_CYCLE_1)
	s_and_b32 s1, vcc_lo, s1
	s_waitcnt lgkmcnt(2)
	v_and_b32_e32 v14, 0xffff, v28
	s_waitcnt lgkmcnt(1)
	v_xor_b32_e32 v43, 0xffff8000, v19
	s_waitcnt lgkmcnt(0)
	v_and_b32_e32 v21, 0xffff, v30
	v_xor_b32_e32 v30, 0xffff8000, v30
	v_xor_b32_e32 v28, 0xffff8000, v28
	v_lshrrev_b32_e32 v14, s28, v14
	s_delay_alu instid0(VALU_DEP_4) | instskip(NEXT) | instid1(VALU_DEP_2)
	v_lshrrev_b32_e32 v21, s28, v21
	v_and_b32_e32 v14, s10, v14
	s_delay_alu instid0(VALU_DEP_2) | instskip(NEXT) | instid1(VALU_DEP_2)
	v_and_b32_e32 v21, s10, v21
	v_lshlrev_b32_e32 v31, 3, v14
	ds_load_b64 v[17:18], v31
	ds_load_u16 v32, v27 offset:6144
	v_and_b32_e32 v14, 0xffff, v19
	v_lshlrev_b32_e32 v34, 3, v21
	s_delay_alu instid0(VALU_DEP_2) | instskip(NEXT) | instid1(VALU_DEP_1)
	v_lshrrev_b32_e32 v14, s28, v14
	v_and_b32_e32 v14, s10, v14
	s_delay_alu instid0(VALU_DEP_1)
	v_lshlrev_b32_e32 v33, 3, v14
	ds_load_b64 v[21:22], v33
	ds_load_b64 v[23:24], v34
	s_waitcnt lgkmcnt(2)
	v_and_b32_e32 v14, 0xffff, v32
	v_lshlrev_b64 v[16:17], 1, v[17:18]
	s_delay_alu instid0(VALU_DEP_2) | instskip(NEXT) | instid1(VALU_DEP_1)
	v_lshrrev_b32_e32 v14, s28, v14
	v_and_b32_e32 v14, s10, v14
	s_delay_alu instid0(VALU_DEP_1)
	v_lshlrev_b32_e32 v38, 3, v14
	s_waitcnt lgkmcnt(1)
	v_lshlrev_b64 v[19:20], 1, v[21:22]
	s_waitcnt lgkmcnt(0)
	v_lshlrev_b64 v[21:22], 1, v[23:24]
	ds_load_b64 v[14:15], v38
	v_xor_b32_e32 v23, 0xffff8000, v32
	v_add_co_u32 v18, s0, s18, v19
	s_delay_alu instid0(VALU_DEP_1) | instskip(SKIP_1) | instid1(VALU_DEP_1)
	v_add_co_ci_u32_e64 v19, s0, s19, v20, s0
	v_add_co_u32 v20, s0, s18, v21
	v_add_co_ci_u32_e64 v21, s0, s19, v22, s0
	v_add_co_u32 v22, s0, s18, v16
	s_delay_alu instid0(VALU_DEP_1) | instskip(SKIP_1) | instid1(VALU_DEP_1)
	v_add_co_ci_u32_e64 v24, s0, s19, v17, s0
	v_add_co_u32 v16, s0, v18, v25
	v_add_co_ci_u32_e64 v17, s0, v19, v26, s0
	s_waitcnt lgkmcnt(0)
	v_lshlrev_b64 v[14:15], 1, v[14:15]
	s_delay_alu instid0(VALU_DEP_1) | instskip(NEXT) | instid1(VALU_DEP_1)
	v_add_co_u32 v18, s0, s18, v14
	v_add_co_ci_u32_e64 v19, s0, s19, v15, s0
	v_add_co_u32 v14, s0, v20, v25
	s_delay_alu instid0(VALU_DEP_1) | instskip(NEXT) | instid1(VALU_DEP_4)
	v_add_co_ci_u32_e64 v15, s0, v21, v26, s0
	v_add_co_u32 v18, s0, v18, v41
	s_delay_alu instid0(VALU_DEP_1) | instskip(SKIP_1) | instid1(VALU_DEP_1)
	v_add_co_ci_u32_e64 v19, s0, 0, v19, s0
	v_add_co_u32 v20, s0, v22, v42
	v_add_co_ci_u32_e64 v21, s0, 0, v24, s0
	s_clause 0x3
	global_store_b16 v[16:17], v43, off
	global_store_b16 v[14:15], v30, off offset:2048
	global_store_b16 v[18:19], v23, off
	global_store_b16 v[20:21], v28, off
	s_waitcnt vmcnt(0)
	s_waitcnt_vscnt null, 0x0
	s_barrier
	buffer_gl0_inv
	v_mad_i32_i24 v20, v1, 6, v29
	v_lshlrev_b64 v[18:19], 3, v[1:2]
	v_lshl_or_b32 v24, v1, 3, 0x2000
	v_lshlrev_b32_e32 v25, 3, v35
	v_lshlrev_b32_e32 v26, 3, v36
	ds_store_b64 v37, v[7:8] offset:2048
	ds_store_b64 v39, v[9:10] offset:2048
	;; [unrolled: 1-line block ×4, first 2 shown]
	s_waitcnt lgkmcnt(0)
	s_barrier
	buffer_gl0_inv
	ds_load_b64 v[9:10], v33
	ds_load_b64 v[11:12], v34
	;; [unrolled: 1-line block ×4, first 2 shown]
	v_or_b32_e32 v0, 0x800, v27
	s_delay_alu instid0(VALU_DEP_1)
	v_mad_u32_u24 v0, v1, 6, v0
	ds_load_2addr_stride64_b64 v[5:8], v0 offset0:16 offset1:32
	ds_load_b64 v[20:21], v20 offset:2048
	ds_load_b64 v[22:23], v0 offset:24576
	s_waitcnt lgkmcnt(6)
	v_lshlrev_b64 v[9:10], 3, v[9:10]
	s_waitcnt lgkmcnt(5)
	v_lshlrev_b64 v[11:12], 3, v[11:12]
	;; [unrolled: 2-line block ×4, first 2 shown]
	v_add_co_u32 v0, s0, s22, v9
	s_delay_alu instid0(VALU_DEP_1) | instskip(SKIP_1) | instid1(VALU_DEP_1)
	v_add_co_ci_u32_e64 v10, s0, s23, v10, s0
	v_add_co_u32 v11, s0, s22, v11
	v_add_co_ci_u32_e64 v12, s0, s23, v12, s0
	v_add_co_u32 v14, s0, s22, v14
	s_delay_alu instid0(VALU_DEP_1) | instskip(SKIP_1) | instid1(VALU_DEP_1)
	v_add_co_ci_u32_e64 v15, s0, s23, v15, s0
	v_add_co_u32 v16, s0, s22, v16
	v_add_co_ci_u32_e64 v17, s0, s23, v17, s0
	;; [unrolled: 5-line block ×4, first 2 shown]
	s_waitcnt lgkmcnt(1)
	s_clause 0x2
	global_store_b64 v[9:10], v[20:21], off
	global_store_b64 v[11:12], v[5:6], off
	;; [unrolled: 1-line block ×3, first 2 shown]
	s_waitcnt lgkmcnt(0)
	global_store_b64 v[16:17], v[22:23], off
                                        ; implicit-def: $vgpr5_vgpr6
	s_and_saveexec_b32 s0, s1
; %bb.98:
	v_add_co_u32 v5, vcc_lo, v3, v13
	v_add_co_ci_u32_e32 v6, vcc_lo, 0, v4, vcc_lo
	s_or_b32 s8, s8, exec_lo
; %bb.99:
	s_or_b32 exec_lo, exec_lo, s0
.LBB72_100:
	s_and_saveexec_b32 s0, s8
	s_cbranch_execnz .LBB72_102
; %bb.101:
	s_nop 0
	s_sendmsg sendmsg(MSG_DEALLOC_VGPRS)
	s_endpgm
.LBB72_102:
	v_lshlrev_b32_e32 v0, 3, v1
	ds_load_b64 v[3:4], v0
	v_lshlrev_b64 v[0:1], 3, v[1:2]
	s_delay_alu instid0(VALU_DEP_1) | instskip(NEXT) | instid1(VALU_DEP_2)
	v_add_co_u32 v0, vcc_lo, s26, v0
	v_add_co_ci_u32_e32 v1, vcc_lo, s27, v1, vcc_lo
	s_waitcnt lgkmcnt(0)
	v_add_co_u32 v2, vcc_lo, v3, v5
	v_add_co_ci_u32_e32 v3, vcc_lo, v4, v6, vcc_lo
	global_store_b64 v[0:1], v[2:3], off
	s_nop 0
	s_sendmsg sendmsg(MSG_DEALLOC_VGPRS)
	s_endpgm
.LBB72_103:
	global_load_b64 v[2:3], v[10:11], off
	s_or_b32 exec_lo, exec_lo, s10
                                        ; implicit-def: $vgpr4_vgpr5
	s_and_saveexec_b32 s10, s2
	s_cbranch_execz .LBB72_47
.LBB72_104:
	global_load_b64 v[4:5], v[10:11], off offset:256
	s_or_b32 exec_lo, exec_lo, s10
                                        ; implicit-def: $vgpr6_vgpr7
	s_and_saveexec_b32 s2, s3
	s_cbranch_execz .LBB72_48
.LBB72_105:
	global_load_b64 v[6:7], v[10:11], off offset:512
	s_or_b32 exec_lo, exec_lo, s2
                                        ; implicit-def: $vgpr8_vgpr9
	s_and_saveexec_b32 s2, s4
	s_cbranch_execnz .LBB72_49
	s_branch .LBB72_50
.LBB72_106:
	v_lshlrev_b32_e32 v3, 3, v24
	ds_load_b64 v[3:4], v3
	ds_load_b64 v[5:6], v2 offset:2048
	s_waitcnt lgkmcnt(1)
	v_lshlrev_b64 v[3:4], 3, v[3:4]
	s_delay_alu instid0(VALU_DEP_1) | instskip(NEXT) | instid1(VALU_DEP_2)
	v_add_co_u32 v3, vcc_lo, s22, v3
	v_add_co_ci_u32_e32 v4, vcc_lo, s23, v4, vcc_lo
	s_delay_alu instid0(VALU_DEP_2) | instskip(NEXT) | instid1(VALU_DEP_2)
	v_add_co_u32 v3, vcc_lo, v3, v2
	v_add_co_ci_u32_e32 v4, vcc_lo, 0, v4, vcc_lo
	s_waitcnt lgkmcnt(0)
	global_store_b64 v[3:4], v[5:6], off
	s_or_b32 exec_lo, exec_lo, s2
	s_and_saveexec_b32 s2, s7
	s_cbranch_execz .LBB72_60
.LBB72_107:
	v_lshlrev_b32_e32 v3, 3, v11
	v_lshlrev_b32_e32 v7, 3, v13
	ds_load_b64 v[3:4], v3
	ds_load_b64 v[5:6], v2 offset:10240
	s_waitcnt lgkmcnt(1)
	v_lshlrev_b64 v[3:4], 3, v[3:4]
	s_delay_alu instid0(VALU_DEP_1) | instskip(NEXT) | instid1(VALU_DEP_2)
	v_add_co_u32 v3, vcc_lo, s22, v3
	v_add_co_ci_u32_e32 v4, vcc_lo, s23, v4, vcc_lo
	s_delay_alu instid0(VALU_DEP_2) | instskip(NEXT) | instid1(VALU_DEP_2)
	v_add_co_u32 v3, vcc_lo, v3, v7
	v_add_co_ci_u32_e32 v4, vcc_lo, 0, v4, vcc_lo
	s_waitcnt lgkmcnt(0)
	global_store_b64 v[3:4], v[5:6], off
	s_or_b32 exec_lo, exec_lo, s2
	s_and_saveexec_b32 s2, s8
	s_cbranch_execz .LBB72_61
.LBB72_108:
	v_lshlrev_b32_e32 v3, 3, v23
	v_lshlrev_b32_e32 v7, 3, v15
	ds_load_b64 v[3:4], v3
	ds_load_b64 v[5:6], v2 offset:18432
	s_waitcnt lgkmcnt(1)
	v_lshlrev_b64 v[3:4], 3, v[3:4]
	s_delay_alu instid0(VALU_DEP_1) | instskip(NEXT) | instid1(VALU_DEP_2)
	v_add_co_u32 v3, vcc_lo, s22, v3
	v_add_co_ci_u32_e32 v4, vcc_lo, s23, v4, vcc_lo
	s_delay_alu instid0(VALU_DEP_2) | instskip(NEXT) | instid1(VALU_DEP_2)
	v_add_co_u32 v3, vcc_lo, v3, v7
	v_add_co_ci_u32_e32 v4, vcc_lo, 0, v4, vcc_lo
	s_waitcnt lgkmcnt(0)
	global_store_b64 v[3:4], v[5:6], off
	s_or_b32 exec_lo, exec_lo, s2
	s_and_saveexec_b32 s2, s9
	s_cbranch_execnz .LBB72_62
	s_branch .LBB72_63
	.section	.rodata,"a",@progbits
	.p2align	6, 0x0
	.amdhsa_kernel _ZN7rocprim17ROCPRIM_304000_NS6detail25onesweep_iteration_kernelINS1_34wrapped_radix_sort_onesweep_configINS0_14default_configEsN2at4cuda3cub6detail10OpaqueTypeILi8EEEEELb0EPKsPsPKSA_PSA_mNS0_19identity_decomposerEEEvT1_T2_T3_T4_jPT5_SO_PNS1_23onesweep_lookback_stateET6_jjj
		.amdhsa_group_segment_fixed_size 36992
		.amdhsa_private_segment_fixed_size 0
		.amdhsa_kernarg_size 336
		.amdhsa_user_sgpr_count 15
		.amdhsa_user_sgpr_dispatch_ptr 0
		.amdhsa_user_sgpr_queue_ptr 0
		.amdhsa_user_sgpr_kernarg_segment_ptr 1
		.amdhsa_user_sgpr_dispatch_id 0
		.amdhsa_user_sgpr_private_segment_size 0
		.amdhsa_wavefront_size32 1
		.amdhsa_uses_dynamic_stack 0
		.amdhsa_enable_private_segment 0
		.amdhsa_system_sgpr_workgroup_id_x 1
		.amdhsa_system_sgpr_workgroup_id_y 0
		.amdhsa_system_sgpr_workgroup_id_z 0
		.amdhsa_system_sgpr_workgroup_info 0
		.amdhsa_system_vgpr_workitem_id 2
		.amdhsa_next_free_vgpr 44
		.amdhsa_next_free_sgpr 36
		.amdhsa_reserve_vcc 1
		.amdhsa_float_round_mode_32 0
		.amdhsa_float_round_mode_16_64 0
		.amdhsa_float_denorm_mode_32 3
		.amdhsa_float_denorm_mode_16_64 3
		.amdhsa_dx10_clamp 1
		.amdhsa_ieee_mode 1
		.amdhsa_fp16_overflow 0
		.amdhsa_workgroup_processor_mode 1
		.amdhsa_memory_ordered 1
		.amdhsa_forward_progress 0
		.amdhsa_shared_vgpr_count 0
		.amdhsa_exception_fp_ieee_invalid_op 0
		.amdhsa_exception_fp_denorm_src 0
		.amdhsa_exception_fp_ieee_div_zero 0
		.amdhsa_exception_fp_ieee_overflow 0
		.amdhsa_exception_fp_ieee_underflow 0
		.amdhsa_exception_fp_ieee_inexact 0
		.amdhsa_exception_int_div_zero 0
	.end_amdhsa_kernel
	.section	.text._ZN7rocprim17ROCPRIM_304000_NS6detail25onesweep_iteration_kernelINS1_34wrapped_radix_sort_onesweep_configINS0_14default_configEsN2at4cuda3cub6detail10OpaqueTypeILi8EEEEELb0EPKsPsPKSA_PSA_mNS0_19identity_decomposerEEEvT1_T2_T3_T4_jPT5_SO_PNS1_23onesweep_lookback_stateET6_jjj,"axG",@progbits,_ZN7rocprim17ROCPRIM_304000_NS6detail25onesweep_iteration_kernelINS1_34wrapped_radix_sort_onesweep_configINS0_14default_configEsN2at4cuda3cub6detail10OpaqueTypeILi8EEEEELb0EPKsPsPKSA_PSA_mNS0_19identity_decomposerEEEvT1_T2_T3_T4_jPT5_SO_PNS1_23onesweep_lookback_stateET6_jjj,comdat
.Lfunc_end72:
	.size	_ZN7rocprim17ROCPRIM_304000_NS6detail25onesweep_iteration_kernelINS1_34wrapped_radix_sort_onesweep_configINS0_14default_configEsN2at4cuda3cub6detail10OpaqueTypeILi8EEEEELb0EPKsPsPKSA_PSA_mNS0_19identity_decomposerEEEvT1_T2_T3_T4_jPT5_SO_PNS1_23onesweep_lookback_stateET6_jjj, .Lfunc_end72-_ZN7rocprim17ROCPRIM_304000_NS6detail25onesweep_iteration_kernelINS1_34wrapped_radix_sort_onesweep_configINS0_14default_configEsN2at4cuda3cub6detail10OpaqueTypeILi8EEEEELb0EPKsPsPKSA_PSA_mNS0_19identity_decomposerEEEvT1_T2_T3_T4_jPT5_SO_PNS1_23onesweep_lookback_stateET6_jjj
                                        ; -- End function
	.section	.AMDGPU.csdata,"",@progbits
; Kernel info:
; codeLenInByte = 9152
; NumSgprs: 38
; NumVgprs: 44
; ScratchSize: 0
; MemoryBound: 0
; FloatMode: 240
; IeeeMode: 1
; LDSByteSize: 36992 bytes/workgroup (compile time only)
; SGPRBlocks: 4
; VGPRBlocks: 5
; NumSGPRsForWavesPerEU: 38
; NumVGPRsForWavesPerEU: 44
; Occupancy: 16
; WaveLimiterHint : 1
; COMPUTE_PGM_RSRC2:SCRATCH_EN: 0
; COMPUTE_PGM_RSRC2:USER_SGPR: 15
; COMPUTE_PGM_RSRC2:TRAP_HANDLER: 0
; COMPUTE_PGM_RSRC2:TGID_X_EN: 1
; COMPUTE_PGM_RSRC2:TGID_Y_EN: 0
; COMPUTE_PGM_RSRC2:TGID_Z_EN: 0
; COMPUTE_PGM_RSRC2:TIDIG_COMP_CNT: 2
	.section	.text._ZN7rocprim17ROCPRIM_304000_NS6detail25onesweep_iteration_kernelINS1_34wrapped_radix_sort_onesweep_configINS0_14default_configEsN2at4cuda3cub6detail10OpaqueTypeILi8EEEEELb0EPsSC_PSA_SD_mNS0_19identity_decomposerEEEvT1_T2_T3_T4_jPT5_SK_PNS1_23onesweep_lookback_stateET6_jjj,"axG",@progbits,_ZN7rocprim17ROCPRIM_304000_NS6detail25onesweep_iteration_kernelINS1_34wrapped_radix_sort_onesweep_configINS0_14default_configEsN2at4cuda3cub6detail10OpaqueTypeILi8EEEEELb0EPsSC_PSA_SD_mNS0_19identity_decomposerEEEvT1_T2_T3_T4_jPT5_SK_PNS1_23onesweep_lookback_stateET6_jjj,comdat
	.protected	_ZN7rocprim17ROCPRIM_304000_NS6detail25onesweep_iteration_kernelINS1_34wrapped_radix_sort_onesweep_configINS0_14default_configEsN2at4cuda3cub6detail10OpaqueTypeILi8EEEEELb0EPsSC_PSA_SD_mNS0_19identity_decomposerEEEvT1_T2_T3_T4_jPT5_SK_PNS1_23onesweep_lookback_stateET6_jjj ; -- Begin function _ZN7rocprim17ROCPRIM_304000_NS6detail25onesweep_iteration_kernelINS1_34wrapped_radix_sort_onesweep_configINS0_14default_configEsN2at4cuda3cub6detail10OpaqueTypeILi8EEEEELb0EPsSC_PSA_SD_mNS0_19identity_decomposerEEEvT1_T2_T3_T4_jPT5_SK_PNS1_23onesweep_lookback_stateET6_jjj
	.globl	_ZN7rocprim17ROCPRIM_304000_NS6detail25onesweep_iteration_kernelINS1_34wrapped_radix_sort_onesweep_configINS0_14default_configEsN2at4cuda3cub6detail10OpaqueTypeILi8EEEEELb0EPsSC_PSA_SD_mNS0_19identity_decomposerEEEvT1_T2_T3_T4_jPT5_SK_PNS1_23onesweep_lookback_stateET6_jjj
	.p2align	8
	.type	_ZN7rocprim17ROCPRIM_304000_NS6detail25onesweep_iteration_kernelINS1_34wrapped_radix_sort_onesweep_configINS0_14default_configEsN2at4cuda3cub6detail10OpaqueTypeILi8EEEEELb0EPsSC_PSA_SD_mNS0_19identity_decomposerEEEvT1_T2_T3_T4_jPT5_SK_PNS1_23onesweep_lookback_stateET6_jjj,@function
_ZN7rocprim17ROCPRIM_304000_NS6detail25onesweep_iteration_kernelINS1_34wrapped_radix_sort_onesweep_configINS0_14default_configEsN2at4cuda3cub6detail10OpaqueTypeILi8EEEEELb0EPsSC_PSA_SD_mNS0_19identity_decomposerEEEvT1_T2_T3_T4_jPT5_SK_PNS1_23onesweep_lookback_stateET6_jjj: ; @_ZN7rocprim17ROCPRIM_304000_NS6detail25onesweep_iteration_kernelINS1_34wrapped_radix_sort_onesweep_configINS0_14default_configEsN2at4cuda3cub6detail10OpaqueTypeILi8EEEEELb0EPsSC_PSA_SD_mNS0_19identity_decomposerEEEvT1_T2_T3_T4_jPT5_SK_PNS1_23onesweep_lookback_stateET6_jjj
; %bb.0:
	s_clause 0x3
	s_load_b128 s[28:31], s[0:1], 0x44
	s_load_b256 s[16:23], s[0:1], 0x0
	s_load_b128 s[24:27], s[0:1], 0x28
	s_load_b64 s[12:13], s[0:1], 0x38
	v_and_b32_e32 v1, 0x3ff, v0
	v_mbcnt_lo_u32_b32 v12, -1, 0
	s_waitcnt lgkmcnt(0)
	s_cmp_ge_u32 s15, s30
	s_cbranch_scc0 .LBB73_66
; %bb.1:
	s_load_b32 s6, s[0:1], 0x20
	s_mov_b32 s4, 0x7fff7fff
	s_lshl_b32 s7, s30, 12
	s_mov_b32 s5, s4
	v_lshlrev_b32_e32 v11, 2, v1
	s_lshl_b32 s30, s15, 12
	s_mov_b32 s31, 0
	v_lshlrev_b32_e32 v2, 1, v12
	s_lshl_b64 s[2:3], s[30:31], 1
	v_and_b32_e32 v10, 0xf80, v11
	s_delay_alu instid0(VALU_DEP_1)
	v_lshlrev_b32_e32 v3, 1, v10
	s_waitcnt lgkmcnt(0)
	s_sub_i32 s34, s6, s7
	s_add_u32 s2, s16, s2
	s_addc_u32 s3, s17, s3
	v_add_co_u32 v2, s2, s2, v2
	s_delay_alu instid0(VALU_DEP_1) | instskip(NEXT) | instid1(VALU_DEP_2)
	v_add_co_ci_u32_e64 v5, null, s3, 0, s2
	v_add_co_u32 v4, s2, v2, v3
	v_dual_mov_b32 v2, s4 :: v_dual_mov_b32 v3, s5
	v_or_b32_e32 v6, v12, v10
	s_delay_alu instid0(VALU_DEP_4) | instskip(NEXT) | instid1(VALU_DEP_2)
	v_add_co_ci_u32_e64 v5, s2, 0, v5, s2
	v_cmp_gt_u32_e32 vcc_lo, s34, v6
	s_and_saveexec_b32 s2, vcc_lo
	s_cbranch_execz .LBB73_3
; %bb.2:
	v_mov_b32_e32 v2, 0x7fff0000
	v_mov_b32_e32 v3, 0x7fff7fff
	global_load_d16_b16 v2, v[4:5], off
.LBB73_3:
	s_or_b32 exec_lo, exec_lo, s2
	v_add_nc_u32_e32 v7, 32, v6
	s_delay_alu instid0(VALU_DEP_1) | instskip(NEXT) | instid1(VALU_DEP_1)
	v_cmp_gt_u32_e64 s2, s34, v7
	s_and_saveexec_b32 s3, s2
	s_cbranch_execz .LBB73_5
; %bb.4:
	global_load_d16_hi_b16 v2, v[4:5], off offset:64
.LBB73_5:
	s_or_b32 exec_lo, exec_lo, s3
	v_add_nc_u32_e32 v7, 64, v6
	s_delay_alu instid0(VALU_DEP_1) | instskip(NEXT) | instid1(VALU_DEP_1)
	v_cmp_gt_u32_e64 s3, s34, v7
	s_and_saveexec_b32 s4, s3
	s_cbranch_execz .LBB73_7
; %bb.6:
	global_load_d16_b16 v3, v[4:5], off offset:128
.LBB73_7:
	s_or_b32 exec_lo, exec_lo, s4
	v_add_nc_u32_e32 v6, 0x60, v6
	s_delay_alu instid0(VALU_DEP_1) | instskip(NEXT) | instid1(VALU_DEP_1)
	v_cmp_gt_u32_e64 s4, s34, v6
	s_and_saveexec_b32 s5, s4
	s_cbranch_execz .LBB73_9
; %bb.8:
	global_load_d16_hi_b16 v3, v[4:5], off offset:192
.LBB73_9:
	s_or_b32 exec_lo, exec_lo, s5
	s_clause 0x1
	s_load_b32 s5, s[0:1], 0x5c
	s_load_b32 s14, s[0:1], 0x50
	s_waitcnt vmcnt(0)
	v_xor_b32_e32 v13, 0xffff8000, v2
	s_add_u32 s6, s0, 0x50
	s_addc_u32 s7, s1, 0
	s_delay_alu instid0(VALU_DEP_1) | instskip(NEXT) | instid1(VALU_DEP_1)
	v_and_b32_e32 v4, 0xffff, v13
	v_lshrrev_b32_e32 v4, s28, v4
	s_waitcnt lgkmcnt(0)
	s_lshr_b32 s8, s5, 16
	s_cmp_lt_u32 s15, s14
	s_cselect_b32 s5, 12, 18
	s_delay_alu instid0(SALU_CYCLE_1) | instskip(SKIP_2) | instid1(SALU_CYCLE_1)
	s_add_u32 s6, s6, s5
	s_addc_u32 s7, s7, 0
	s_lshl_b32 s5, -1, s29
	s_not_b32 s33, s5
	s_delay_alu instid0(SALU_CYCLE_1) | instskip(SKIP_2) | instid1(VALU_DEP_3)
	v_and_b32_e32 v8, s33, v4
	v_mov_b32_e32 v6, 0
	v_bfe_u32 v4, v0, 10, 10
	v_and_b32_e32 v5, 1, v8
	global_load_u16 v7, v6, s[6:7]
	v_lshlrev_b32_e32 v9, 30, v8
	v_lshlrev_b32_e32 v14, 29, v8
	;; [unrolled: 1-line block ×3, first 2 shown]
	v_add_co_u32 v5, s5, v5, -1
	s_delay_alu instid0(VALU_DEP_1)
	v_cndmask_b32_e64 v16, 0, 1, s5
	v_not_b32_e32 v20, v9
	v_cmp_gt_i32_e64 s6, 0, v9
	v_not_b32_e32 v9, v14
	v_lshlrev_b32_e32 v17, 27, v8
	v_cmp_ne_u32_e64 s5, 0, v16
	v_ashrrev_i32_e32 v20, 31, v20
	v_lshlrev_b32_e32 v18, 26, v8
	v_ashrrev_i32_e32 v9, 31, v9
	v_lshlrev_b32_e32 v19, 25, v8
	v_xor_b32_e32 v5, s5, v5
	v_cmp_gt_i32_e64 s5, 0, v14
	v_not_b32_e32 v14, v15
	v_xor_b32_e32 v20, s6, v20
	v_cmp_gt_i32_e64 s6, 0, v15
	v_and_b32_e32 v5, exec_lo, v5
	v_not_b32_e32 v15, v17
	v_ashrrev_i32_e32 v14, 31, v14
	v_xor_b32_e32 v9, s5, v9
	v_cmp_gt_i32_e64 s5, 0, v17
	v_and_b32_e32 v5, v5, v20
	v_not_b32_e32 v17, v18
	v_ashrrev_i32_e32 v15, 31, v15
	v_xor_b32_e32 v14, s6, v14
	v_lshlrev_b32_e32 v16, 24, v8
	v_and_b32_e32 v5, v5, v9
	v_cmp_gt_i32_e64 s6, 0, v18
	v_not_b32_e32 v9, v19
	v_ashrrev_i32_e32 v17, 31, v17
	v_xor_b32_e32 v15, s5, v15
	v_and_b32_e32 v5, v5, v14
	v_cmp_gt_i32_e64 s5, 0, v19
	v_not_b32_e32 v14, v16
	v_ashrrev_i32_e32 v9, 31, v9
	v_xor_b32_e32 v17, s6, v17
	v_and_b32_e32 v5, v5, v15
	v_bfe_u32 v15, v0, 20, 10
	v_cmp_gt_i32_e64 s6, 0, v16
	v_ashrrev_i32_e32 v14, 31, v14
	v_xor_b32_e32 v9, s5, v9
	v_and_b32_e32 v5, v5, v17
	v_mad_u32_u24 v15, v15, s8, v4
	v_mul_u32_u24_e32 v16, 9, v1
	v_xor_b32_e32 v14, s6, v14
	s_delay_alu instid0(VALU_DEP_4) | instskip(NEXT) | instid1(VALU_DEP_3)
	v_and_b32_e32 v9, v5, v9
	v_lshlrev_b32_e32 v16, 2, v16
	ds_store_2addr_b32 v16, v6, v6 offset0:32 offset1:33
	ds_store_2addr_b32 v16, v6, v6 offset0:34 offset1:35
	;; [unrolled: 1-line block ×4, first 2 shown]
	ds_store_b32 v16, v6 offset:160
	v_mul_u32_u24_e32 v6, 33, v8
	s_waitcnt vmcnt(0) lgkmcnt(0)
	s_barrier
	buffer_gl0_inv
	; wave barrier
	v_mad_u64_u32 v[4:5], null, v15, v7, v[1:2]
	v_and_b32_e32 v5, v9, v14
	s_delay_alu instid0(VALU_DEP_1) | instskip(NEXT) | instid1(VALU_DEP_3)
	v_mbcnt_lo_u32_b32 v14, v5, 0
	v_lshrrev_b32_e32 v4, 5, v4
	v_cmp_ne_u32_e64 s6, 0, v5
	s_delay_alu instid0(VALU_DEP_3) | instskip(NEXT) | instid1(VALU_DEP_3)
	v_cmp_eq_u32_e64 s5, 0, v14
	v_add_lshl_u32 v17, v4, v6, 2
	s_delay_alu instid0(VALU_DEP_2) | instskip(NEXT) | instid1(SALU_CYCLE_1)
	s_and_b32 s6, s6, s5
	s_and_saveexec_b32 s5, s6
	s_cbranch_execz .LBB73_11
; %bb.10:
	v_bcnt_u32_b32 v5, v5, 0
	ds_store_b32 v17, v5 offset:128
.LBB73_11:
	s_or_b32 exec_lo, exec_lo, s5
	v_lshrrev_b32_e32 v2, 16, v2
	; wave barrier
	s_delay_alu instid0(VALU_DEP_1) | instskip(NEXT) | instid1(VALU_DEP_1)
	v_xor_b32_e32 v15, 0xffff8000, v2
	v_and_b32_e32 v2, 0xffff, v15
	s_delay_alu instid0(VALU_DEP_1) | instskip(NEXT) | instid1(VALU_DEP_1)
	v_lshrrev_b32_e32 v2, s28, v2
	v_and_b32_e32 v2, s33, v2
	s_delay_alu instid0(VALU_DEP_1)
	v_and_b32_e32 v5, 1, v2
	v_lshlrev_b32_e32 v6, 30, v2
	v_lshlrev_b32_e32 v7, 29, v2
	;; [unrolled: 1-line block ×4, first 2 shown]
	v_add_co_u32 v5, s5, v5, -1
	s_delay_alu instid0(VALU_DEP_1)
	v_cndmask_b32_e64 v9, 0, 1, s5
	v_not_b32_e32 v21, v6
	v_cmp_gt_i32_e64 s6, 0, v6
	v_not_b32_e32 v6, v7
	v_lshlrev_b32_e32 v19, 26, v2
	v_cmp_ne_u32_e64 s5, 0, v9
	v_ashrrev_i32_e32 v21, 31, v21
	v_lshlrev_b32_e32 v20, 25, v2
	v_ashrrev_i32_e32 v6, 31, v6
	v_lshlrev_b32_e32 v9, 24, v2
	v_xor_b32_e32 v5, s5, v5
	v_cmp_gt_i32_e64 s5, 0, v7
	v_not_b32_e32 v7, v8
	v_xor_b32_e32 v21, s6, v21
	v_cmp_gt_i32_e64 s6, 0, v8
	v_and_b32_e32 v5, exec_lo, v5
	v_not_b32_e32 v8, v18
	v_ashrrev_i32_e32 v7, 31, v7
	v_xor_b32_e32 v6, s5, v6
	v_cmp_gt_i32_e64 s5, 0, v18
	v_and_b32_e32 v5, v5, v21
	v_not_b32_e32 v18, v19
	v_ashrrev_i32_e32 v8, 31, v8
	v_xor_b32_e32 v7, s6, v7
	v_cmp_gt_i32_e64 s6, 0, v19
	v_and_b32_e32 v5, v5, v6
	;; [unrolled: 5-line block ×3, first 2 shown]
	v_not_b32_e32 v7, v9
	v_ashrrev_i32_e32 v6, 31, v6
	v_xor_b32_e32 v18, s6, v18
	v_mul_u32_u24_e32 v2, 33, v2
	v_and_b32_e32 v5, v5, v8
	v_cmp_gt_i32_e64 s6, 0, v9
	v_ashrrev_i32_e32 v7, 31, v7
	v_xor_b32_e32 v6, s5, v6
	v_add_lshl_u32 v21, v4, v2, 2
	v_and_b32_e32 v5, v5, v18
	s_delay_alu instid0(VALU_DEP_4) | instskip(SKIP_2) | instid1(VALU_DEP_1)
	v_xor_b32_e32 v2, s6, v7
	ds_load_b32 v18, v21 offset:128
	v_and_b32_e32 v5, v5, v6
	; wave barrier
	v_and_b32_e32 v2, v5, v2
	s_delay_alu instid0(VALU_DEP_1) | instskip(SKIP_1) | instid1(VALU_DEP_2)
	v_mbcnt_lo_u32_b32 v19, v2, 0
	v_cmp_ne_u32_e64 s6, 0, v2
	v_cmp_eq_u32_e64 s5, 0, v19
	s_delay_alu instid0(VALU_DEP_1) | instskip(NEXT) | instid1(SALU_CYCLE_1)
	s_and_b32 s6, s6, s5
	s_and_saveexec_b32 s5, s6
	s_cbranch_execz .LBB73_13
; %bb.12:
	s_waitcnt lgkmcnt(0)
	v_bcnt_u32_b32 v2, v2, v18
	ds_store_b32 v21, v2 offset:128
.LBB73_13:
	s_or_b32 exec_lo, exec_lo, s5
	v_xor_b32_e32 v20, 0xffff8000, v3
	; wave barrier
	s_delay_alu instid0(VALU_DEP_1) | instskip(NEXT) | instid1(VALU_DEP_1)
	v_and_b32_e32 v2, 0xffff, v20
	v_lshrrev_b32_e32 v2, s28, v2
	s_delay_alu instid0(VALU_DEP_1) | instskip(NEXT) | instid1(VALU_DEP_1)
	v_and_b32_e32 v2, s33, v2
	v_and_b32_e32 v5, 1, v2
	v_lshlrev_b32_e32 v6, 30, v2
	v_lshlrev_b32_e32 v7, 29, v2
	;; [unrolled: 1-line block ×4, first 2 shown]
	v_add_co_u32 v5, s5, v5, -1
	s_delay_alu instid0(VALU_DEP_1)
	v_cndmask_b32_e64 v9, 0, 1, s5
	v_not_b32_e32 v25, v6
	v_cmp_gt_i32_e64 s6, 0, v6
	v_not_b32_e32 v6, v7
	v_lshlrev_b32_e32 v23, 26, v2
	v_cmp_ne_u32_e64 s5, 0, v9
	v_ashrrev_i32_e32 v25, 31, v25
	v_lshlrev_b32_e32 v24, 25, v2
	v_ashrrev_i32_e32 v6, 31, v6
	v_lshlrev_b32_e32 v9, 24, v2
	v_xor_b32_e32 v5, s5, v5
	v_cmp_gt_i32_e64 s5, 0, v7
	v_not_b32_e32 v7, v8
	v_xor_b32_e32 v25, s6, v25
	v_cmp_gt_i32_e64 s6, 0, v8
	v_and_b32_e32 v5, exec_lo, v5
	v_not_b32_e32 v8, v22
	v_ashrrev_i32_e32 v7, 31, v7
	v_xor_b32_e32 v6, s5, v6
	v_cmp_gt_i32_e64 s5, 0, v22
	v_and_b32_e32 v5, v5, v25
	v_not_b32_e32 v22, v23
	v_ashrrev_i32_e32 v8, 31, v8
	v_xor_b32_e32 v7, s6, v7
	v_cmp_gt_i32_e64 s6, 0, v23
	v_and_b32_e32 v5, v5, v6
	;; [unrolled: 5-line block ×3, first 2 shown]
	v_not_b32_e32 v7, v9
	v_ashrrev_i32_e32 v6, 31, v6
	v_xor_b32_e32 v22, s6, v22
	v_mul_u32_u24_e32 v2, 33, v2
	v_and_b32_e32 v5, v5, v8
	v_cmp_gt_i32_e64 s6, 0, v9
	v_ashrrev_i32_e32 v7, 31, v7
	v_xor_b32_e32 v6, s5, v6
	v_add_lshl_u32 v25, v4, v2, 2
	v_and_b32_e32 v5, v5, v22
	s_delay_alu instid0(VALU_DEP_4) | instskip(SKIP_2) | instid1(VALU_DEP_1)
	v_xor_b32_e32 v2, s6, v7
	ds_load_b32 v22, v25 offset:128
	v_and_b32_e32 v5, v5, v6
	; wave barrier
	v_and_b32_e32 v2, v5, v2
	s_delay_alu instid0(VALU_DEP_1) | instskip(SKIP_1) | instid1(VALU_DEP_2)
	v_mbcnt_lo_u32_b32 v23, v2, 0
	v_cmp_ne_u32_e64 s6, 0, v2
	v_cmp_eq_u32_e64 s5, 0, v23
	s_delay_alu instid0(VALU_DEP_1) | instskip(NEXT) | instid1(SALU_CYCLE_1)
	s_and_b32 s6, s6, s5
	s_and_saveexec_b32 s5, s6
	s_cbranch_execz .LBB73_15
; %bb.14:
	s_waitcnt lgkmcnt(0)
	v_bcnt_u32_b32 v2, v2, v22
	ds_store_b32 v25, v2 offset:128
.LBB73_15:
	s_or_b32 exec_lo, exec_lo, s5
	v_lshrrev_b32_e32 v2, 16, v3
	; wave barrier
	v_add_nc_u32_e32 v29, 0x80, v16
	s_delay_alu instid0(VALU_DEP_2) | instskip(NEXT) | instid1(VALU_DEP_1)
	v_xor_b32_e32 v24, 0xffff8000, v2
	v_and_b32_e32 v2, 0xffff, v24
	s_delay_alu instid0(VALU_DEP_1) | instskip(NEXT) | instid1(VALU_DEP_1)
	v_lshrrev_b32_e32 v2, s28, v2
	v_and_b32_e32 v2, s33, v2
	s_delay_alu instid0(VALU_DEP_1)
	v_and_b32_e32 v3, 1, v2
	v_lshlrev_b32_e32 v5, 30, v2
	v_lshlrev_b32_e32 v6, 29, v2
	;; [unrolled: 1-line block ×4, first 2 shown]
	v_add_co_u32 v3, s5, v3, -1
	s_delay_alu instid0(VALU_DEP_1)
	v_cndmask_b32_e64 v8, 0, 1, s5
	v_not_b32_e32 v28, v5
	v_cmp_gt_i32_e64 s6, 0, v5
	v_not_b32_e32 v5, v6
	v_lshlrev_b32_e32 v26, 26, v2
	v_cmp_ne_u32_e64 s5, 0, v8
	v_ashrrev_i32_e32 v28, 31, v28
	v_lshlrev_b32_e32 v27, 25, v2
	v_ashrrev_i32_e32 v5, 31, v5
	v_lshlrev_b32_e32 v8, 24, v2
	v_xor_b32_e32 v3, s5, v3
	v_cmp_gt_i32_e64 s5, 0, v6
	v_not_b32_e32 v6, v7
	v_xor_b32_e32 v28, s6, v28
	v_cmp_gt_i32_e64 s6, 0, v7
	v_and_b32_e32 v3, exec_lo, v3
	v_not_b32_e32 v7, v9
	v_ashrrev_i32_e32 v6, 31, v6
	v_xor_b32_e32 v5, s5, v5
	v_cmp_gt_i32_e64 s5, 0, v9
	v_and_b32_e32 v3, v3, v28
	v_not_b32_e32 v9, v26
	v_ashrrev_i32_e32 v7, 31, v7
	v_xor_b32_e32 v6, s6, v6
	v_cmp_gt_i32_e64 s6, 0, v26
	v_and_b32_e32 v3, v3, v5
	;; [unrolled: 5-line block ×3, first 2 shown]
	v_not_b32_e32 v6, v8
	v_ashrrev_i32_e32 v5, 31, v5
	v_xor_b32_e32 v9, s6, v9
	v_mul_u32_u24_e32 v2, 33, v2
	v_and_b32_e32 v3, v3, v7
	v_cmp_gt_i32_e64 s6, 0, v8
	v_ashrrev_i32_e32 v6, 31, v6
	v_xor_b32_e32 v5, s5, v5
	v_add_lshl_u32 v28, v4, v2, 2
	v_and_b32_e32 v3, v3, v9
	s_delay_alu instid0(VALU_DEP_4) | instskip(SKIP_2) | instid1(VALU_DEP_1)
	v_xor_b32_e32 v2, s6, v6
	ds_load_b32 v26, v28 offset:128
	v_and_b32_e32 v3, v3, v5
	; wave barrier
	v_and_b32_e32 v2, v3, v2
	s_delay_alu instid0(VALU_DEP_1) | instskip(SKIP_1) | instid1(VALU_DEP_2)
	v_mbcnt_lo_u32_b32 v27, v2, 0
	v_cmp_ne_u32_e64 s6, 0, v2
	v_cmp_eq_u32_e64 s5, 0, v27
	s_delay_alu instid0(VALU_DEP_1) | instskip(NEXT) | instid1(SALU_CYCLE_1)
	s_and_b32 s6, s6, s5
	s_and_saveexec_b32 s5, s6
	s_cbranch_execz .LBB73_17
; %bb.16:
	s_waitcnt lgkmcnt(0)
	v_bcnt_u32_b32 v2, v2, v26
	ds_store_b32 v28, v2 offset:128
.LBB73_17:
	s_or_b32 exec_lo, exec_lo, s5
	; wave barrier
	s_waitcnt lgkmcnt(0)
	s_barrier
	buffer_gl0_inv
	ds_load_2addr_b32 v[8:9], v16 offset0:32 offset1:33
	ds_load_2addr_b32 v[6:7], v29 offset0:2 offset1:3
	;; [unrolled: 1-line block ×4, first 2 shown]
	ds_load_b32 v30, v29 offset:32
	v_and_b32_e32 v33, 16, v12
	v_and_b32_e32 v34, 31, v1
	s_mov_b32 s11, exec_lo
	s_delay_alu instid0(VALU_DEP_2) | instskip(SKIP_3) | instid1(VALU_DEP_1)
	v_cmp_eq_u32_e64 s9, 0, v33
	s_waitcnt lgkmcnt(3)
	v_add3_u32 v31, v9, v8, v6
	s_waitcnt lgkmcnt(2)
	v_add3_u32 v31, v31, v7, v4
	s_waitcnt lgkmcnt(1)
	s_delay_alu instid0(VALU_DEP_1) | instskip(SKIP_1) | instid1(VALU_DEP_1)
	v_add3_u32 v31, v31, v5, v2
	s_waitcnt lgkmcnt(0)
	v_add3_u32 v30, v31, v3, v30
	v_and_b32_e32 v31, 15, v12
	s_delay_alu instid0(VALU_DEP_2) | instskip(NEXT) | instid1(VALU_DEP_2)
	v_mov_b32_dpp v32, v30 row_shr:1 row_mask:0xf bank_mask:0xf
	v_cmp_eq_u32_e64 s5, 0, v31
	v_cmp_lt_u32_e64 s6, 1, v31
	v_cmp_lt_u32_e64 s7, 3, v31
	;; [unrolled: 1-line block ×3, first 2 shown]
	s_delay_alu instid0(VALU_DEP_4) | instskip(NEXT) | instid1(VALU_DEP_1)
	v_cndmask_b32_e64 v32, v32, 0, s5
	v_add_nc_u32_e32 v30, v32, v30
	s_delay_alu instid0(VALU_DEP_1) | instskip(NEXT) | instid1(VALU_DEP_1)
	v_mov_b32_dpp v32, v30 row_shr:2 row_mask:0xf bank_mask:0xf
	v_cndmask_b32_e64 v32, 0, v32, s6
	s_delay_alu instid0(VALU_DEP_1) | instskip(NEXT) | instid1(VALU_DEP_1)
	v_add_nc_u32_e32 v30, v30, v32
	v_mov_b32_dpp v32, v30 row_shr:4 row_mask:0xf bank_mask:0xf
	s_delay_alu instid0(VALU_DEP_1) | instskip(NEXT) | instid1(VALU_DEP_1)
	v_cndmask_b32_e64 v32, 0, v32, s7
	v_add_nc_u32_e32 v30, v30, v32
	s_delay_alu instid0(VALU_DEP_1) | instskip(NEXT) | instid1(VALU_DEP_1)
	v_mov_b32_dpp v32, v30 row_shr:8 row_mask:0xf bank_mask:0xf
	v_cndmask_b32_e64 v31, 0, v32, s8
	v_bfe_i32 v32, v12, 4, 1
	s_delay_alu instid0(VALU_DEP_2) | instskip(SKIP_4) | instid1(VALU_DEP_2)
	v_add_nc_u32_e32 v30, v30, v31
	ds_swizzle_b32 v31, v30 offset:swizzle(BROADCAST,32,15)
	s_waitcnt lgkmcnt(0)
	v_and_b32_e32 v32, v32, v31
	v_lshrrev_b32_e32 v31, 5, v1
	v_add_nc_u32_e32 v30, v30, v32
	v_cmpx_eq_u32_e32 31, v34
	s_cbranch_execz .LBB73_19
; %bb.18:
	s_delay_alu instid0(VALU_DEP_3)
	v_lshlrev_b32_e32 v32, 2, v31
	ds_store_b32 v32, v30
.LBB73_19:
	s_or_b32 exec_lo, exec_lo, s11
	v_cmp_lt_u32_e64 s10, 31, v1
	s_mov_b32 s35, exec_lo
	s_waitcnt lgkmcnt(0)
	s_barrier
	buffer_gl0_inv
	v_cmpx_gt_u32_e32 32, v1
	s_cbranch_execz .LBB73_21
; %bb.20:
	ds_load_b32 v32, v11
	s_waitcnt lgkmcnt(0)
	v_mov_b32_dpp v33, v32 row_shr:1 row_mask:0xf bank_mask:0xf
	s_delay_alu instid0(VALU_DEP_1) | instskip(NEXT) | instid1(VALU_DEP_1)
	v_cndmask_b32_e64 v33, v33, 0, s5
	v_add_nc_u32_e32 v32, v33, v32
	s_delay_alu instid0(VALU_DEP_1) | instskip(NEXT) | instid1(VALU_DEP_1)
	v_mov_b32_dpp v33, v32 row_shr:2 row_mask:0xf bank_mask:0xf
	v_cndmask_b32_e64 v33, 0, v33, s6
	s_delay_alu instid0(VALU_DEP_1) | instskip(NEXT) | instid1(VALU_DEP_1)
	v_add_nc_u32_e32 v32, v32, v33
	v_mov_b32_dpp v33, v32 row_shr:4 row_mask:0xf bank_mask:0xf
	s_delay_alu instid0(VALU_DEP_1) | instskip(NEXT) | instid1(VALU_DEP_1)
	v_cndmask_b32_e64 v33, 0, v33, s7
	v_add_nc_u32_e32 v32, v32, v33
	s_delay_alu instid0(VALU_DEP_1) | instskip(NEXT) | instid1(VALU_DEP_1)
	v_mov_b32_dpp v33, v32 row_shr:8 row_mask:0xf bank_mask:0xf
	v_cndmask_b32_e64 v33, 0, v33, s8
	s_delay_alu instid0(VALU_DEP_1) | instskip(SKIP_3) | instid1(VALU_DEP_1)
	v_add_nc_u32_e32 v32, v32, v33
	ds_swizzle_b32 v33, v32 offset:swizzle(BROADCAST,32,15)
	s_waitcnt lgkmcnt(0)
	v_cndmask_b32_e64 v33, v33, 0, s9
	v_add_nc_u32_e32 v32, v32, v33
	ds_store_b32 v11, v32
.LBB73_21:
	s_or_b32 exec_lo, exec_lo, s35
	v_mov_b32_e32 v11, 0
	s_waitcnt lgkmcnt(0)
	s_barrier
	buffer_gl0_inv
	s_and_saveexec_b32 s5, s10
	s_cbranch_execz .LBB73_23
; %bb.22:
	v_lshl_add_u32 v11, v31, 2, -4
	ds_load_b32 v11, v11
.LBB73_23:
	s_or_b32 exec_lo, exec_lo, s5
	v_add_nc_u32_e32 v31, -1, v12
	s_waitcnt lgkmcnt(0)
	v_add_nc_u32_e32 v30, v11, v30
	s_delay_alu instid0(VALU_DEP_2) | instskip(NEXT) | instid1(VALU_DEP_1)
	v_cmp_gt_i32_e64 s5, 0, v31
	v_cndmask_b32_e64 v31, v31, v12, s5
	v_cmp_eq_u32_e64 s5, 0, v12
	s_delay_alu instid0(VALU_DEP_2) | instskip(SKIP_4) | instid1(VALU_DEP_1)
	v_lshlrev_b32_e32 v31, 2, v31
	ds_bpermute_b32 v30, v31, v30
	s_waitcnt lgkmcnt(0)
	v_cndmask_b32_e64 v11, v30, v11, s5
	v_cmp_ne_u32_e64 s5, 0, v1
	v_cndmask_b32_e64 v11, 0, v11, s5
	v_cmp_gt_u32_e64 s5, 0x100, v1
	s_delay_alu instid0(VALU_DEP_2) | instskip(NEXT) | instid1(VALU_DEP_1)
	v_add_nc_u32_e32 v8, v11, v8
	v_add_nc_u32_e32 v9, v8, v9
	s_delay_alu instid0(VALU_DEP_1) | instskip(NEXT) | instid1(VALU_DEP_1)
	v_add_nc_u32_e32 v6, v9, v6
	v_add_nc_u32_e32 v7, v6, v7
	s_delay_alu instid0(VALU_DEP_1) | instskip(NEXT) | instid1(VALU_DEP_1)
	;; [unrolled: 3-line block ×3, first 2 shown]
	v_add_nc_u32_e32 v2, v5, v2
	v_add_nc_u32_e32 v3, v2, v3
	ds_store_2addr_b32 v16, v11, v8 offset0:32 offset1:33
	ds_store_2addr_b32 v29, v9, v6 offset0:2 offset1:3
	;; [unrolled: 1-line block ×4, first 2 shown]
	ds_store_b32 v29, v3 offset:32
	s_waitcnt lgkmcnt(0)
	s_barrier
	buffer_gl0_inv
	ds_load_b32 v2, v17 offset:128
	ds_load_b32 v3, v21 offset:128
	;; [unrolled: 1-line block ×4, first 2 shown]
                                        ; implicit-def: $vgpr16
                                        ; implicit-def: $vgpr17
	s_and_saveexec_b32 s7, s5
	s_cbranch_execz .LBB73_27
; %bb.24:
	v_mul_u32_u24_e32 v6, 33, v1
	s_mov_b32 s8, exec_lo
	s_delay_alu instid0(VALU_DEP_1)
	v_dual_mov_b32 v6, 0x1000 :: v_dual_lshlrev_b32 v7, 2, v6
	ds_load_b32 v16, v7 offset:128
	v_cmpx_ne_u32_e32 0xff, v1
	s_cbranch_execz .LBB73_26
; %bb.25:
	ds_load_b32 v6, v7 offset:260
.LBB73_26:
	s_or_b32 exec_lo, exec_lo, s8
	s_waitcnt lgkmcnt(0)
	v_sub_nc_u32_e32 v17, v6, v16
.LBB73_27:
	s_or_b32 exec_lo, exec_lo, s7
	s_waitcnt lgkmcnt(3)
	v_add_nc_u32_e32 v21, v2, v14
	s_waitcnt lgkmcnt(2)
	v_add3_u32 v19, v19, v18, v3
	s_waitcnt lgkmcnt(1)
	v_add3_u32 v18, v23, v22, v4
	;; [unrolled: 2-line block ×3, first 2 shown]
	v_lshlrev_b32_e32 v2, 1, v21
	v_lshlrev_b32_e32 v3, 1, v19
	;; [unrolled: 1-line block ×3, first 2 shown]
	s_delay_alu instid0(VALU_DEP_4)
	v_lshlrev_b32_e32 v5, 1, v14
	s_barrier
	buffer_gl0_inv
	ds_store_b16 v2, v13 offset:2048
	ds_store_b16 v3, v15 offset:2048
	;; [unrolled: 1-line block ×4, first 2 shown]
	s_waitcnt lgkmcnt(0)
	s_barrier
	buffer_gl0_inv
	s_and_saveexec_b32 s7, s5
	s_cbranch_execz .LBB73_37
; %bb.28:
	v_lshl_or_b32 v4, s15, 8, v1
	v_dual_mov_b32 v5, 0 :: v_dual_mov_b32 v8, 0
	s_mov_b32 s8, 0
	s_mov_b32 s9, s15
	s_delay_alu instid0(VALU_DEP_1) | instskip(SKIP_1) | instid1(VALU_DEP_2)
	v_lshlrev_b64 v[2:3], 2, v[4:5]
	v_or_b32_e32 v4, 2.0, v17
	v_add_co_u32 v2, s6, s12, v2
	s_delay_alu instid0(VALU_DEP_1)
	v_add_co_ci_u32_e64 v3, s6, s13, v3, s6
                                        ; implicit-def: $sgpr6
	global_store_b32 v[2:3], v4, off
	s_branch .LBB73_30
	.p2align	6
.LBB73_29:                              ;   in Loop: Header=BB73_30 Depth=1
	s_or_b32 exec_lo, exec_lo, s10
	v_and_b32_e32 v6, 0x3fffffff, v9
	v_cmp_eq_u32_e64 s6, 0x80000000, v4
	s_delay_alu instid0(VALU_DEP_2) | instskip(NEXT) | instid1(VALU_DEP_2)
	v_add_nc_u32_e32 v8, v6, v8
	s_and_b32 s10, exec_lo, s6
	s_delay_alu instid0(SALU_CYCLE_1) | instskip(NEXT) | instid1(SALU_CYCLE_1)
	s_or_b32 s8, s10, s8
	s_and_not1_b32 exec_lo, exec_lo, s8
	s_cbranch_execz .LBB73_36
.LBB73_30:                              ; =>This Loop Header: Depth=1
                                        ;     Child Loop BB73_33 Depth 2
	s_or_b32 s6, s6, exec_lo
	s_cmp_eq_u32 s9, 0
	s_cbranch_scc1 .LBB73_35
; %bb.31:                               ;   in Loop: Header=BB73_30 Depth=1
	s_add_i32 s9, s9, -1
	s_mov_b32 s10, exec_lo
	v_lshl_or_b32 v4, s9, 8, v1
	s_delay_alu instid0(VALU_DEP_1) | instskip(NEXT) | instid1(VALU_DEP_1)
	v_lshlrev_b64 v[6:7], 2, v[4:5]
	v_add_co_u32 v6, s6, s12, v6
	s_delay_alu instid0(VALU_DEP_1) | instskip(SKIP_3) | instid1(VALU_DEP_1)
	v_add_co_ci_u32_e64 v7, s6, s13, v7, s6
	global_load_b32 v9, v[6:7], off glc
	s_waitcnt vmcnt(0)
	v_and_b32_e32 v4, -2.0, v9
	v_cmpx_eq_u32_e32 0, v4
	s_cbranch_execz .LBB73_29
; %bb.32:                               ;   in Loop: Header=BB73_30 Depth=1
	s_mov_b32 s11, 0
.LBB73_33:                              ;   Parent Loop BB73_30 Depth=1
                                        ; =>  This Inner Loop Header: Depth=2
	global_load_b32 v9, v[6:7], off glc
	s_waitcnt vmcnt(0)
	v_and_b32_e32 v4, -2.0, v9
	s_delay_alu instid0(VALU_DEP_1) | instskip(NEXT) | instid1(VALU_DEP_1)
	v_cmp_ne_u32_e64 s6, 0, v4
	s_or_b32 s11, s6, s11
	s_delay_alu instid0(SALU_CYCLE_1)
	s_and_not1_b32 exec_lo, exec_lo, s11
	s_cbranch_execnz .LBB73_33
; %bb.34:                               ;   in Loop: Header=BB73_30 Depth=1
	s_or_b32 exec_lo, exec_lo, s11
	s_branch .LBB73_29
.LBB73_35:                              ;   in Loop: Header=BB73_30 Depth=1
                                        ; implicit-def: $sgpr9
	s_and_b32 s10, exec_lo, s6
	s_delay_alu instid0(SALU_CYCLE_1) | instskip(NEXT) | instid1(SALU_CYCLE_1)
	s_or_b32 s8, s10, s8
	s_and_not1_b32 exec_lo, exec_lo, s8
	s_cbranch_execnz .LBB73_30
.LBB73_36:
	s_or_b32 exec_lo, exec_lo, s8
	v_add_nc_u32_e32 v4, v8, v17
	v_lshlrev_b32_e32 v5, 3, v1
	s_delay_alu instid0(VALU_DEP_2) | instskip(SKIP_3) | instid1(VALU_DEP_1)
	v_or_b32_e32 v4, 0x80000000, v4
	global_store_b32 v[2:3], v4, off
	global_load_b64 v[2:3], v5, s[24:25]
	v_sub_co_u32 v4, s6, v8, v16
	v_sub_co_ci_u32_e64 v6, null, 0, 0, s6
	s_waitcnt vmcnt(0)
	s_delay_alu instid0(VALU_DEP_2) | instskip(NEXT) | instid1(VALU_DEP_1)
	v_add_co_u32 v2, s6, v4, v2
	v_add_co_ci_u32_e64 v3, s6, v6, v3, s6
	ds_store_b64 v5, v[2:3]
.LBB73_37:
	s_or_b32 exec_lo, exec_lo, s7
	v_cmp_gt_u32_e64 s6, s34, v1
	v_lshlrev_b32_e32 v22, 1, v1
	s_waitcnt lgkmcnt(0)
	s_waitcnt_vscnt null, 0x0
	s_barrier
	buffer_gl0_inv
	s_and_saveexec_b32 s8, s6
	s_cbranch_execz .LBB73_39
; %bb.38:
	ds_load_u16 v4, v22 offset:2048
	s_waitcnt lgkmcnt(0)
	v_and_b32_e32 v2, 0xffff, v4
	v_xor_b32_e32 v4, 0xffff8000, v4
	s_delay_alu instid0(VALU_DEP_2) | instskip(NEXT) | instid1(VALU_DEP_1)
	v_lshrrev_b32_e32 v2, s28, v2
	v_and_b32_e32 v2, s33, v2
	s_delay_alu instid0(VALU_DEP_1) | instskip(SKIP_3) | instid1(VALU_DEP_1)
	v_lshlrev_b32_e32 v2, 3, v2
	ds_load_b64 v[2:3], v2
	s_waitcnt lgkmcnt(0)
	v_lshlrev_b64 v[2:3], 1, v[2:3]
	v_add_co_u32 v2, s7, s18, v2
	s_delay_alu instid0(VALU_DEP_1) | instskip(NEXT) | instid1(VALU_DEP_2)
	v_add_co_ci_u32_e64 v3, s7, s19, v3, s7
	v_add_co_u32 v2, s7, v2, v22
	s_delay_alu instid0(VALU_DEP_1)
	v_add_co_ci_u32_e64 v3, s7, 0, v3, s7
	global_store_b16 v[2:3], v4, off
.LBB73_39:
	s_or_b32 exec_lo, exec_lo, s8
	v_or_b32_e32 v13, 0x400, v1
	s_delay_alu instid0(VALU_DEP_1) | instskip(NEXT) | instid1(VALU_DEP_1)
	v_cmp_gt_u32_e64 s7, s34, v13
	s_and_saveexec_b32 s9, s7
	s_cbranch_execz .LBB73_41
; %bb.40:
	ds_load_u16 v4, v22 offset:4096
	s_waitcnt lgkmcnt(0)
	v_and_b32_e32 v2, 0xffff, v4
	v_xor_b32_e32 v4, 0xffff8000, v4
	s_delay_alu instid0(VALU_DEP_2) | instskip(NEXT) | instid1(VALU_DEP_1)
	v_lshrrev_b32_e32 v2, s28, v2
	v_and_b32_e32 v2, s33, v2
	s_delay_alu instid0(VALU_DEP_1) | instskip(SKIP_3) | instid1(VALU_DEP_1)
	v_lshlrev_b32_e32 v2, 3, v2
	ds_load_b64 v[2:3], v2
	s_waitcnt lgkmcnt(0)
	v_lshlrev_b64 v[2:3], 1, v[2:3]
	v_add_co_u32 v2, s8, s18, v2
	s_delay_alu instid0(VALU_DEP_1) | instskip(NEXT) | instid1(VALU_DEP_2)
	v_add_co_ci_u32_e64 v3, s8, s19, v3, s8
	v_add_co_u32 v2, s8, v2, v22
	s_delay_alu instid0(VALU_DEP_1)
	v_add_co_ci_u32_e64 v3, s8, 0, v3, s8
	global_store_b16 v[2:3], v4, off offset:2048
.LBB73_41:
	s_or_b32 exec_lo, exec_lo, s9
	v_or_b32_e32 v15, 0x800, v1
	s_delay_alu instid0(VALU_DEP_1) | instskip(NEXT) | instid1(VALU_DEP_1)
	v_cmp_gt_u32_e64 s8, s34, v15
	s_and_saveexec_b32 s10, s8
	s_cbranch_execz .LBB73_43
; %bb.42:
	ds_load_u16 v4, v22 offset:6144
	v_lshlrev_b32_e32 v5, 1, v15
	s_waitcnt lgkmcnt(0)
	v_and_b32_e32 v2, 0xffff, v4
	v_xor_b32_e32 v4, 0xffff8000, v4
	s_delay_alu instid0(VALU_DEP_2) | instskip(NEXT) | instid1(VALU_DEP_1)
	v_lshrrev_b32_e32 v2, s28, v2
	v_and_b32_e32 v2, s33, v2
	s_delay_alu instid0(VALU_DEP_1) | instskip(SKIP_3) | instid1(VALU_DEP_1)
	v_lshlrev_b32_e32 v2, 3, v2
	ds_load_b64 v[2:3], v2
	s_waitcnt lgkmcnt(0)
	v_lshlrev_b64 v[2:3], 1, v[2:3]
	v_add_co_u32 v2, s9, s18, v2
	s_delay_alu instid0(VALU_DEP_1) | instskip(NEXT) | instid1(VALU_DEP_2)
	v_add_co_ci_u32_e64 v3, s9, s19, v3, s9
	v_add_co_u32 v2, s9, v2, v5
	s_delay_alu instid0(VALU_DEP_1)
	v_add_co_ci_u32_e64 v3, s9, 0, v3, s9
	global_store_b16 v[2:3], v4, off
.LBB73_43:
	s_or_b32 exec_lo, exec_lo, s10
	v_or_b32_e32 v20, 0xc00, v1
	s_delay_alu instid0(VALU_DEP_1) | instskip(NEXT) | instid1(VALU_DEP_1)
	v_cmp_gt_u32_e64 s9, s34, v20
	s_and_saveexec_b32 s11, s9
	s_cbranch_execz .LBB73_45
; %bb.44:
	ds_load_u16 v4, v22 offset:8192
	v_lshlrev_b32_e32 v5, 1, v20
	s_waitcnt lgkmcnt(0)
	v_and_b32_e32 v2, 0xffff, v4
	v_xor_b32_e32 v4, 0xffff8000, v4
	s_delay_alu instid0(VALU_DEP_2) | instskip(NEXT) | instid1(VALU_DEP_1)
	v_lshrrev_b32_e32 v2, s28, v2
	v_and_b32_e32 v2, s33, v2
	s_delay_alu instid0(VALU_DEP_1) | instskip(SKIP_3) | instid1(VALU_DEP_1)
	v_lshlrev_b32_e32 v2, 3, v2
	ds_load_b64 v[2:3], v2
	s_waitcnt lgkmcnt(0)
	v_lshlrev_b64 v[2:3], 1, v[2:3]
	v_add_co_u32 v2, s10, s18, v2
	s_delay_alu instid0(VALU_DEP_1) | instskip(NEXT) | instid1(VALU_DEP_2)
	v_add_co_ci_u32_e64 v3, s10, s19, v3, s10
	v_add_co_u32 v2, s10, v2, v5
	s_delay_alu instid0(VALU_DEP_1)
	v_add_co_ci_u32_e64 v3, s10, 0, v3, s10
	global_store_b16 v[2:3], v4, off
.LBB73_45:
	s_or_b32 exec_lo, exec_lo, s11
	v_lshlrev_b32_e32 v2, 3, v12
	s_lshl_b64 s[10:11], s[30:31], 3
	v_lshlrev_b32_e32 v3, 3, v10
	s_add_u32 s10, s20, s10
	s_addc_u32 s11, s21, s11
	v_add_co_u32 v2, s10, s10, v2
	s_delay_alu instid0(VALU_DEP_1) | instskip(NEXT) | instid1(VALU_DEP_2)
	v_add_co_ci_u32_e64 v4, null, s11, 0, s10
	v_add_co_u32 v10, s10, v2, v3
	s_delay_alu instid0(VALU_DEP_1) | instskip(SKIP_1) | instid1(SALU_CYCLE_1)
	v_add_co_ci_u32_e64 v11, s10, 0, v4, s10
                                        ; implicit-def: $vgpr2_vgpr3
	s_and_saveexec_b32 s10, vcc_lo
	s_xor_b32 s10, exec_lo, s10
	s_cbranch_execnz .LBB73_103
; %bb.46:
	s_or_b32 exec_lo, exec_lo, s10
                                        ; implicit-def: $vgpr4_vgpr5
	s_and_saveexec_b32 s10, s2
	s_cbranch_execnz .LBB73_104
.LBB73_47:
	s_or_b32 exec_lo, exec_lo, s10
                                        ; implicit-def: $vgpr6_vgpr7
	s_and_saveexec_b32 s2, s3
	s_cbranch_execnz .LBB73_105
.LBB73_48:
	s_or_b32 exec_lo, exec_lo, s2
                                        ; implicit-def: $vgpr8_vgpr9
	s_and_saveexec_b32 s2, s4
	s_cbranch_execz .LBB73_50
.LBB73_49:
	global_load_b64 v[8:9], v[10:11], off offset:768
.LBB73_50:
	s_or_b32 exec_lo, exec_lo, s2
	v_dual_mov_b32 v11, 0 :: v_dual_mov_b32 v24, 0
	s_and_saveexec_b32 s2, s6
	s_cbranch_execz .LBB73_52
; %bb.51:
	ds_load_u16 v10, v22 offset:2048
	s_waitcnt lgkmcnt(0)
	v_lshrrev_b32_e32 v10, s28, v10
	s_delay_alu instid0(VALU_DEP_1)
	v_and_b32_e32 v24, s33, v10
.LBB73_52:
	s_or_b32 exec_lo, exec_lo, s2
	s_and_saveexec_b32 s2, s7
	s_cbranch_execz .LBB73_54
; %bb.53:
	ds_load_u16 v10, v22 offset:4096
	s_waitcnt lgkmcnt(0)
	v_lshrrev_b32_e32 v10, s28, v10
	s_delay_alu instid0(VALU_DEP_1)
	v_and_b32_e32 v11, s33, v10
.LBB73_54:
	s_or_b32 exec_lo, exec_lo, s2
	v_dual_mov_b32 v10, 0 :: v_dual_mov_b32 v23, 0
	s_and_saveexec_b32 s2, s8
	s_cbranch_execz .LBB73_56
; %bb.55:
	ds_load_u16 v23, v22 offset:6144
	s_waitcnt lgkmcnt(0)
	v_lshrrev_b32_e32 v23, s28, v23
	s_delay_alu instid0(VALU_DEP_1)
	v_and_b32_e32 v23, s33, v23
.LBB73_56:
	s_or_b32 exec_lo, exec_lo, s2
	s_and_saveexec_b32 s2, s9
	s_cbranch_execz .LBB73_58
; %bb.57:
	ds_load_u16 v10, v22 offset:8192
	s_waitcnt lgkmcnt(0)
	v_lshrrev_b32_e32 v10, s28, v10
	s_delay_alu instid0(VALU_DEP_1)
	v_and_b32_e32 v10, s33, v10
.LBB73_58:
	s_or_b32 exec_lo, exec_lo, s2
	v_lshlrev_b32_e32 v21, 3, v21
	v_lshlrev_b32_e32 v19, 3, v19
	;; [unrolled: 1-line block ×3, first 2 shown]
	s_waitcnt vmcnt(0)
	s_waitcnt_vscnt null, 0x0
	s_barrier
	buffer_gl0_inv
	v_lshlrev_b32_e32 v14, 3, v14
	ds_store_b64 v21, v[2:3] offset:2048
	ds_store_b64 v19, v[4:5] offset:2048
	;; [unrolled: 1-line block ×3, first 2 shown]
	v_lshlrev_b32_e32 v2, 3, v1
	ds_store_b64 v14, v[8:9] offset:2048
	s_waitcnt lgkmcnt(0)
	s_barrier
	buffer_gl0_inv
	s_and_saveexec_b32 s2, s6
	s_cbranch_execnz .LBB73_106
; %bb.59:
	s_or_b32 exec_lo, exec_lo, s2
	s_and_saveexec_b32 s2, s7
	s_cbranch_execnz .LBB73_107
.LBB73_60:
	s_or_b32 exec_lo, exec_lo, s2
	s_and_saveexec_b32 s2, s8
	s_cbranch_execnz .LBB73_108
.LBB73_61:
	s_or_b32 exec_lo, exec_lo, s2
	s_and_saveexec_b32 s2, s9
	s_cbranch_execz .LBB73_63
.LBB73_62:
	v_lshlrev_b32_e32 v3, 3, v10
	ds_load_b64 v[3:4], v3
	ds_load_b64 v[5:6], v2 offset:26624
	s_waitcnt lgkmcnt(1)
	v_lshlrev_b64 v[2:3], 3, v[3:4]
	v_lshlrev_b32_e32 v4, 3, v20
	s_delay_alu instid0(VALU_DEP_2) | instskip(NEXT) | instid1(VALU_DEP_3)
	v_add_co_u32 v2, vcc_lo, s22, v2
	v_add_co_ci_u32_e32 v3, vcc_lo, s23, v3, vcc_lo
	s_delay_alu instid0(VALU_DEP_2) | instskip(NEXT) | instid1(VALU_DEP_2)
	v_add_co_u32 v2, vcc_lo, v2, v4
	v_add_co_ci_u32_e32 v3, vcc_lo, 0, v3, vcc_lo
	s_waitcnt lgkmcnt(0)
	global_store_b64 v[2:3], v[5:6], off
.LBB73_63:
	s_or_b32 exec_lo, exec_lo, s2
	s_add_i32 s14, s14, -1
	s_mov_b32 s2, 0
	s_cmp_eq_u32 s15, s14
	s_mov_b32 s8, 0
	s_cselect_b32 s3, -1, 0
                                        ; implicit-def: $vgpr5_vgpr6
	s_delay_alu instid0(SALU_CYCLE_1) | instskip(NEXT) | instid1(SALU_CYCLE_1)
	s_and_b32 s3, s5, s3
	s_and_saveexec_b32 s4, s3
	s_delay_alu instid0(SALU_CYCLE_1)
	s_xor_b32 s3, exec_lo, s4
; %bb.64:
	v_add_co_u32 v5, s4, v16, v17
	v_mov_b32_e32 v2, 0
	v_add_co_ci_u32_e64 v6, null, 0, 0, s4
	s_mov_b32 s8, exec_lo
; %bb.65:
	s_or_b32 exec_lo, exec_lo, s3
	s_delay_alu instid0(SALU_CYCLE_1)
	s_and_b32 vcc_lo, exec_lo, s2
	s_cbranch_vccnz .LBB73_67
	s_branch .LBB73_100
.LBB73_66:
	s_mov_b32 s8, 0
                                        ; implicit-def: $vgpr5_vgpr6
	s_cbranch_execz .LBB73_100
.LBB73_67:
	v_lshlrev_b32_e32 v13, 2, v1
	s_lshl_b32 s6, s15, 12
	s_mov_b32 s7, 0
	v_dual_mov_b32 v9, 0 :: v_dual_lshlrev_b32 v2, 1, v12
	s_delay_alu instid0(VALU_DEP_2) | instskip(SKIP_1) | instid1(SALU_CYCLE_1)
	v_and_b32_e32 v11, 0xf80, v13
	s_lshl_b64 s[2:3], s[6:7], 1
	s_add_u32 s2, s16, s2
	s_addc_u32 s3, s17, s3
	s_delay_alu instid0(VALU_DEP_1) | instskip(SKIP_1) | instid1(VALU_DEP_1)
	v_lshlrev_b32_e32 v3, 1, v11
	v_add_co_u32 v2, s2, s2, v2
	v_add_co_ci_u32_e64 v4, null, s3, 0, s2
	s_delay_alu instid0(VALU_DEP_2) | instskip(NEXT) | instid1(VALU_DEP_2)
	v_add_co_u32 v2, vcc_lo, v2, v3
	v_add_co_ci_u32_e32 v3, vcc_lo, 0, v4, vcc_lo
	global_load_u16 v6, v[2:3], off
	s_clause 0x1
	s_load_b32 s2, s[0:1], 0x5c
	s_load_b32 s9, s[0:1], 0x50
	s_add_u32 s0, s0, 0x50
	s_addc_u32 s1, s1, 0
	s_waitcnt lgkmcnt(0)
	s_lshr_b32 s2, s2, 16
	s_cmp_lt_u32 s15, s9
	s_cselect_b32 s3, 12, 18
	s_delay_alu instid0(SALU_CYCLE_1)
	s_add_u32 s0, s0, s3
	s_addc_u32 s1, s1, 0
	global_load_u16 v14, v9, s[0:1]
	s_clause 0x2
	global_load_u16 v5, v[2:3], off offset:64
	global_load_u16 v4, v[2:3], off offset:128
	;; [unrolled: 1-line block ×3, first 2 shown]
	s_lshl_b32 s0, -1, s29
	s_delay_alu instid0(SALU_CYCLE_1) | instskip(SKIP_2) | instid1(VALU_DEP_1)
	s_not_b32 s10, s0
	s_waitcnt vmcnt(4)
	v_xor_b32_e32 v10, 0xffff8000, v6
	v_and_b32_e32 v3, 0xffff, v10
	s_delay_alu instid0(VALU_DEP_1) | instskip(NEXT) | instid1(VALU_DEP_1)
	v_lshrrev_b32_e32 v3, s28, v3
	v_and_b32_e32 v16, s10, v3
	v_bfe_u32 v3, v0, 10, 10
	v_bfe_u32 v0, v0, 20, 10
	s_delay_alu instid0(VALU_DEP_3)
	v_and_b32_e32 v6, 1, v16
	v_lshlrev_b32_e32 v7, 30, v16
	v_lshlrev_b32_e32 v8, 29, v16
	;; [unrolled: 1-line block ×4, first 2 shown]
	v_add_co_u32 v6, s0, v6, -1
	s_delay_alu instid0(VALU_DEP_1)
	v_cndmask_b32_e64 v17, 0, 1, s0
	v_not_b32_e32 v21, v7
	v_cmp_gt_i32_e64 s0, 0, v7
	v_not_b32_e32 v7, v8
	v_lshlrev_b32_e32 v19, 26, v16
	v_cmp_ne_u32_e32 vcc_lo, 0, v17
	v_ashrrev_i32_e32 v21, 31, v21
	v_lshlrev_b32_e32 v20, 25, v16
	v_ashrrev_i32_e32 v7, 31, v7
	v_lshlrev_b32_e32 v17, 24, v16
	v_xor_b32_e32 v6, vcc_lo, v6
	v_cmp_gt_i32_e32 vcc_lo, 0, v8
	v_not_b32_e32 v8, v15
	v_xor_b32_e32 v21, s0, v21
	v_cmp_gt_i32_e64 s0, 0, v15
	v_and_b32_e32 v6, exec_lo, v6
	v_not_b32_e32 v15, v18
	v_ashrrev_i32_e32 v8, 31, v8
	v_xor_b32_e32 v7, vcc_lo, v7
	v_cmp_gt_i32_e32 vcc_lo, 0, v18
	v_and_b32_e32 v6, v6, v21
	v_not_b32_e32 v18, v19
	v_ashrrev_i32_e32 v15, 31, v15
	v_xor_b32_e32 v8, s0, v8
	v_cmp_gt_i32_e64 s0, 0, v19
	v_and_b32_e32 v6, v6, v7
	v_not_b32_e32 v7, v20
	v_ashrrev_i32_e32 v18, 31, v18
	v_xor_b32_e32 v15, vcc_lo, v15
	v_cmp_gt_i32_e32 vcc_lo, 0, v20
	v_and_b32_e32 v6, v6, v8
	v_not_b32_e32 v8, v17
	v_ashrrev_i32_e32 v7, 31, v7
	v_xor_b32_e32 v18, s0, v18
	v_cmp_gt_i32_e64 s0, 0, v17
	v_and_b32_e32 v6, v6, v15
	v_ashrrev_i32_e32 v8, 31, v8
	v_xor_b32_e32 v7, vcc_lo, v7
	v_mad_u32_u24 v0, v0, s2, v3
	v_mul_u32_u24_e32 v15, 9, v1
	v_and_b32_e32 v6, v6, v18
	v_xor_b32_e32 v3, s0, v8
	s_delay_alu instid0(VALU_DEP_3) | instskip(NEXT) | instid1(VALU_DEP_3)
	v_lshlrev_b32_e32 v15, 2, v15
	v_and_b32_e32 v6, v6, v7
	s_waitcnt vmcnt(0)
	v_mad_u64_u32 v[7:8], null, v0, v14, v[1:2]
	ds_store_2addr_b32 v15, v9, v9 offset0:32 offset1:33
	ds_store_2addr_b32 v15, v9, v9 offset0:34 offset1:35
	;; [unrolled: 1-line block ×4, first 2 shown]
	v_and_b32_e32 v6, v6, v3
	ds_store_b32 v15, v9 offset:160
	s_waitcnt lgkmcnt(0)
	s_waitcnt_vscnt null, 0x0
	s_barrier
	v_lshrrev_b32_e32 v3, 5, v7
	v_mbcnt_lo_u32_b32 v0, v6, 0
	v_mul_u32_u24_e32 v7, 33, v16
	v_cmp_ne_u32_e64 s0, 0, v6
	buffer_gl0_inv
	v_cmp_eq_u32_e32 vcc_lo, 0, v0
	v_add_lshl_u32 v16, v3, v7, 2
	; wave barrier
	s_and_b32 s1, s0, vcc_lo
	s_delay_alu instid0(SALU_CYCLE_1)
	s_and_saveexec_b32 s0, s1
	s_cbranch_execz .LBB73_69
; %bb.68:
	v_bcnt_u32_b32 v6, v6, 0
	ds_store_b32 v16, v6 offset:128
.LBB73_69:
	s_or_b32 exec_lo, exec_lo, s0
	v_xor_b32_e32 v14, 0xffff8000, v5
	; wave barrier
	s_delay_alu instid0(VALU_DEP_1) | instskip(NEXT) | instid1(VALU_DEP_1)
	v_and_b32_e32 v5, 0xffff, v14
	v_lshrrev_b32_e32 v5, s28, v5
	s_delay_alu instid0(VALU_DEP_1) | instskip(NEXT) | instid1(VALU_DEP_1)
	v_and_b32_e32 v5, s10, v5
	v_and_b32_e32 v6, 1, v5
	v_lshlrev_b32_e32 v7, 30, v5
	v_lshlrev_b32_e32 v8, 29, v5
	;; [unrolled: 1-line block ×4, first 2 shown]
	v_add_co_u32 v6, s0, v6, -1
	s_delay_alu instid0(VALU_DEP_1)
	v_cndmask_b32_e64 v17, 0, 1, s0
	v_not_b32_e32 v21, v7
	v_cmp_gt_i32_e64 s0, 0, v7
	v_not_b32_e32 v7, v8
	v_lshlrev_b32_e32 v19, 26, v5
	v_cmp_ne_u32_e32 vcc_lo, 0, v17
	v_ashrrev_i32_e32 v21, 31, v21
	v_lshlrev_b32_e32 v20, 25, v5
	v_ashrrev_i32_e32 v7, 31, v7
	v_lshlrev_b32_e32 v17, 24, v5
	v_xor_b32_e32 v6, vcc_lo, v6
	v_cmp_gt_i32_e32 vcc_lo, 0, v8
	v_not_b32_e32 v8, v9
	v_xor_b32_e32 v21, s0, v21
	v_cmp_gt_i32_e64 s0, 0, v9
	v_and_b32_e32 v6, exec_lo, v6
	v_not_b32_e32 v9, v18
	v_ashrrev_i32_e32 v8, 31, v8
	v_xor_b32_e32 v7, vcc_lo, v7
	v_cmp_gt_i32_e32 vcc_lo, 0, v18
	v_and_b32_e32 v6, v6, v21
	v_not_b32_e32 v18, v19
	v_ashrrev_i32_e32 v9, 31, v9
	v_xor_b32_e32 v8, s0, v8
	v_cmp_gt_i32_e64 s0, 0, v19
	v_and_b32_e32 v6, v6, v7
	v_not_b32_e32 v7, v20
	v_ashrrev_i32_e32 v18, 31, v18
	v_xor_b32_e32 v9, vcc_lo, v9
	v_cmp_gt_i32_e32 vcc_lo, 0, v20
	v_and_b32_e32 v6, v6, v8
	v_not_b32_e32 v8, v17
	v_ashrrev_i32_e32 v7, 31, v7
	v_xor_b32_e32 v18, s0, v18
	v_mul_u32_u24_e32 v5, 33, v5
	v_and_b32_e32 v6, v6, v9
	v_cmp_gt_i32_e64 s0, 0, v17
	v_ashrrev_i32_e32 v8, 31, v8
	v_xor_b32_e32 v7, vcc_lo, v7
	v_add_lshl_u32 v20, v3, v5, 2
	v_and_b32_e32 v6, v6, v18
	s_delay_alu instid0(VALU_DEP_4) | instskip(SKIP_2) | instid1(VALU_DEP_1)
	v_xor_b32_e32 v5, s0, v8
	ds_load_b32 v17, v20 offset:128
	v_and_b32_e32 v6, v6, v7
	; wave barrier
	v_and_b32_e32 v5, v6, v5
	s_delay_alu instid0(VALU_DEP_1) | instskip(SKIP_1) | instid1(VALU_DEP_2)
	v_mbcnt_lo_u32_b32 v18, v5, 0
	v_cmp_ne_u32_e64 s0, 0, v5
	v_cmp_eq_u32_e32 vcc_lo, 0, v18
	s_delay_alu instid0(VALU_DEP_2) | instskip(NEXT) | instid1(SALU_CYCLE_1)
	s_and_b32 s1, s0, vcc_lo
	s_and_saveexec_b32 s0, s1
	s_cbranch_execz .LBB73_71
; %bb.70:
	s_waitcnt lgkmcnt(0)
	v_bcnt_u32_b32 v5, v5, v17
	ds_store_b32 v20, v5 offset:128
.LBB73_71:
	s_or_b32 exec_lo, exec_lo, s0
	v_xor_b32_e32 v19, 0xffff8000, v4
	; wave barrier
	s_delay_alu instid0(VALU_DEP_1) | instskip(NEXT) | instid1(VALU_DEP_1)
	v_and_b32_e32 v4, 0xffff, v19
	v_lshrrev_b32_e32 v4, s28, v4
	s_delay_alu instid0(VALU_DEP_1) | instskip(NEXT) | instid1(VALU_DEP_1)
	v_and_b32_e32 v4, s10, v4
	v_and_b32_e32 v5, 1, v4
	v_lshlrev_b32_e32 v6, 30, v4
	v_lshlrev_b32_e32 v7, 29, v4
	;; [unrolled: 1-line block ×4, first 2 shown]
	v_add_co_u32 v5, s0, v5, -1
	s_delay_alu instid0(VALU_DEP_1)
	v_cndmask_b32_e64 v9, 0, 1, s0
	v_not_b32_e32 v24, v6
	v_cmp_gt_i32_e64 s0, 0, v6
	v_not_b32_e32 v6, v7
	v_lshlrev_b32_e32 v22, 26, v4
	v_cmp_ne_u32_e32 vcc_lo, 0, v9
	v_ashrrev_i32_e32 v24, 31, v24
	v_lshlrev_b32_e32 v23, 25, v4
	v_ashrrev_i32_e32 v6, 31, v6
	v_lshlrev_b32_e32 v9, 24, v4
	v_xor_b32_e32 v5, vcc_lo, v5
	v_cmp_gt_i32_e32 vcc_lo, 0, v7
	v_not_b32_e32 v7, v8
	v_xor_b32_e32 v24, s0, v24
	v_cmp_gt_i32_e64 s0, 0, v8
	v_and_b32_e32 v5, exec_lo, v5
	v_not_b32_e32 v8, v21
	v_ashrrev_i32_e32 v7, 31, v7
	v_xor_b32_e32 v6, vcc_lo, v6
	v_cmp_gt_i32_e32 vcc_lo, 0, v21
	v_and_b32_e32 v5, v5, v24
	v_not_b32_e32 v21, v22
	v_ashrrev_i32_e32 v8, 31, v8
	v_xor_b32_e32 v7, s0, v7
	v_cmp_gt_i32_e64 s0, 0, v22
	v_and_b32_e32 v5, v5, v6
	v_not_b32_e32 v6, v23
	v_ashrrev_i32_e32 v21, 31, v21
	v_xor_b32_e32 v8, vcc_lo, v8
	v_cmp_gt_i32_e32 vcc_lo, 0, v23
	v_and_b32_e32 v5, v5, v7
	v_not_b32_e32 v7, v9
	v_ashrrev_i32_e32 v6, 31, v6
	v_xor_b32_e32 v21, s0, v21
	v_mul_u32_u24_e32 v4, 33, v4
	v_and_b32_e32 v5, v5, v8
	v_cmp_gt_i32_e64 s0, 0, v9
	v_ashrrev_i32_e32 v7, 31, v7
	v_xor_b32_e32 v6, vcc_lo, v6
	v_add_lshl_u32 v24, v3, v4, 2
	v_and_b32_e32 v5, v5, v21
	s_delay_alu instid0(VALU_DEP_4) | instskip(SKIP_2) | instid1(VALU_DEP_1)
	v_xor_b32_e32 v4, s0, v7
	ds_load_b32 v21, v24 offset:128
	v_and_b32_e32 v5, v5, v6
	; wave barrier
	v_and_b32_e32 v4, v5, v4
	s_delay_alu instid0(VALU_DEP_1) | instskip(SKIP_1) | instid1(VALU_DEP_2)
	v_mbcnt_lo_u32_b32 v22, v4, 0
	v_cmp_ne_u32_e64 s0, 0, v4
	v_cmp_eq_u32_e32 vcc_lo, 0, v22
	s_delay_alu instid0(VALU_DEP_2) | instskip(NEXT) | instid1(SALU_CYCLE_1)
	s_and_b32 s1, s0, vcc_lo
	s_and_saveexec_b32 s0, s1
	s_cbranch_execz .LBB73_73
; %bb.72:
	s_waitcnt lgkmcnt(0)
	v_bcnt_u32_b32 v4, v4, v21
	ds_store_b32 v24, v4 offset:128
.LBB73_73:
	s_or_b32 exec_lo, exec_lo, s0
	v_xor_b32_e32 v23, 0xffff8000, v2
	; wave barrier
	v_add_nc_u32_e32 v28, 0x80, v15
	s_delay_alu instid0(VALU_DEP_2) | instskip(NEXT) | instid1(VALU_DEP_1)
	v_and_b32_e32 v2, 0xffff, v23
	v_lshrrev_b32_e32 v2, s28, v2
	s_delay_alu instid0(VALU_DEP_1) | instskip(NEXT) | instid1(VALU_DEP_1)
	v_and_b32_e32 v2, s10, v2
	v_and_b32_e32 v4, 1, v2
	v_lshlrev_b32_e32 v5, 30, v2
	v_lshlrev_b32_e32 v6, 29, v2
	;; [unrolled: 1-line block ×4, first 2 shown]
	v_add_co_u32 v4, s0, v4, -1
	s_delay_alu instid0(VALU_DEP_1)
	v_cndmask_b32_e64 v8, 0, 1, s0
	v_not_b32_e32 v27, v5
	v_cmp_gt_i32_e64 s0, 0, v5
	v_not_b32_e32 v5, v6
	v_lshlrev_b32_e32 v25, 26, v2
	v_cmp_ne_u32_e32 vcc_lo, 0, v8
	v_ashrrev_i32_e32 v27, 31, v27
	v_lshlrev_b32_e32 v26, 25, v2
	v_ashrrev_i32_e32 v5, 31, v5
	v_lshlrev_b32_e32 v8, 24, v2
	v_xor_b32_e32 v4, vcc_lo, v4
	v_cmp_gt_i32_e32 vcc_lo, 0, v6
	v_not_b32_e32 v6, v7
	v_xor_b32_e32 v27, s0, v27
	v_cmp_gt_i32_e64 s0, 0, v7
	v_and_b32_e32 v4, exec_lo, v4
	v_not_b32_e32 v7, v9
	v_ashrrev_i32_e32 v6, 31, v6
	v_xor_b32_e32 v5, vcc_lo, v5
	v_cmp_gt_i32_e32 vcc_lo, 0, v9
	v_and_b32_e32 v4, v4, v27
	v_not_b32_e32 v9, v25
	v_ashrrev_i32_e32 v7, 31, v7
	v_xor_b32_e32 v6, s0, v6
	v_cmp_gt_i32_e64 s0, 0, v25
	v_and_b32_e32 v4, v4, v5
	v_not_b32_e32 v5, v26
	v_ashrrev_i32_e32 v9, 31, v9
	v_xor_b32_e32 v7, vcc_lo, v7
	v_cmp_gt_i32_e32 vcc_lo, 0, v26
	v_and_b32_e32 v4, v4, v6
	v_not_b32_e32 v6, v8
	v_ashrrev_i32_e32 v5, 31, v5
	v_xor_b32_e32 v9, s0, v9
	v_mul_u32_u24_e32 v2, 33, v2
	v_and_b32_e32 v4, v4, v7
	v_cmp_gt_i32_e64 s0, 0, v8
	v_ashrrev_i32_e32 v6, 31, v6
	v_xor_b32_e32 v5, vcc_lo, v5
	v_add_lshl_u32 v27, v3, v2, 2
	v_and_b32_e32 v4, v4, v9
	s_delay_alu instid0(VALU_DEP_4) | instskip(SKIP_2) | instid1(VALU_DEP_1)
	v_xor_b32_e32 v2, s0, v6
	ds_load_b32 v25, v27 offset:128
	v_and_b32_e32 v3, v4, v5
	; wave barrier
	v_and_b32_e32 v2, v3, v2
	s_delay_alu instid0(VALU_DEP_1) | instskip(SKIP_1) | instid1(VALU_DEP_2)
	v_mbcnt_lo_u32_b32 v26, v2, 0
	v_cmp_ne_u32_e64 s0, 0, v2
	v_cmp_eq_u32_e32 vcc_lo, 0, v26
	s_delay_alu instid0(VALU_DEP_2) | instskip(NEXT) | instid1(SALU_CYCLE_1)
	s_and_b32 s1, s0, vcc_lo
	s_and_saveexec_b32 s0, s1
	s_cbranch_execz .LBB73_75
; %bb.74:
	s_waitcnt lgkmcnt(0)
	v_bcnt_u32_b32 v2, v2, v25
	ds_store_b32 v27, v2 offset:128
.LBB73_75:
	s_or_b32 exec_lo, exec_lo, s0
	; wave barrier
	s_waitcnt lgkmcnt(0)
	s_barrier
	buffer_gl0_inv
	ds_load_2addr_b32 v[8:9], v15 offset0:32 offset1:33
	ds_load_2addr_b32 v[6:7], v28 offset0:2 offset1:3
	;; [unrolled: 1-line block ×4, first 2 shown]
	ds_load_b32 v29, v28 offset:32
	v_and_b32_e32 v32, 16, v12
	v_and_b32_e32 v33, 31, v1
	s_mov_b32 s5, exec_lo
	s_delay_alu instid0(VALU_DEP_2) | instskip(SKIP_3) | instid1(VALU_DEP_1)
	v_cmp_eq_u32_e64 s3, 0, v32
	s_waitcnt lgkmcnt(3)
	v_add3_u32 v30, v9, v8, v6
	s_waitcnt lgkmcnt(2)
	v_add3_u32 v30, v30, v7, v4
	s_waitcnt lgkmcnt(1)
	s_delay_alu instid0(VALU_DEP_1) | instskip(SKIP_1) | instid1(VALU_DEP_1)
	v_add3_u32 v30, v30, v5, v2
	s_waitcnt lgkmcnt(0)
	v_add3_u32 v29, v30, v3, v29
	v_and_b32_e32 v30, 15, v12
	s_delay_alu instid0(VALU_DEP_2) | instskip(NEXT) | instid1(VALU_DEP_2)
	v_mov_b32_dpp v31, v29 row_shr:1 row_mask:0xf bank_mask:0xf
	v_cmp_eq_u32_e32 vcc_lo, 0, v30
	v_cmp_lt_u32_e64 s0, 1, v30
	v_cmp_lt_u32_e64 s1, 3, v30
	v_cmp_lt_u32_e64 s2, 7, v30
	v_cndmask_b32_e64 v31, v31, 0, vcc_lo
	s_delay_alu instid0(VALU_DEP_1) | instskip(NEXT) | instid1(VALU_DEP_1)
	v_add_nc_u32_e32 v29, v31, v29
	v_mov_b32_dpp v31, v29 row_shr:2 row_mask:0xf bank_mask:0xf
	s_delay_alu instid0(VALU_DEP_1) | instskip(NEXT) | instid1(VALU_DEP_1)
	v_cndmask_b32_e64 v31, 0, v31, s0
	v_add_nc_u32_e32 v29, v29, v31
	s_delay_alu instid0(VALU_DEP_1) | instskip(NEXT) | instid1(VALU_DEP_1)
	v_mov_b32_dpp v31, v29 row_shr:4 row_mask:0xf bank_mask:0xf
	v_cndmask_b32_e64 v31, 0, v31, s1
	s_delay_alu instid0(VALU_DEP_1) | instskip(NEXT) | instid1(VALU_DEP_1)
	v_add_nc_u32_e32 v29, v29, v31
	v_mov_b32_dpp v31, v29 row_shr:8 row_mask:0xf bank_mask:0xf
	s_delay_alu instid0(VALU_DEP_1) | instskip(SKIP_1) | instid1(VALU_DEP_2)
	v_cndmask_b32_e64 v30, 0, v31, s2
	v_bfe_i32 v31, v12, 4, 1
	v_add_nc_u32_e32 v29, v29, v30
	ds_swizzle_b32 v30, v29 offset:swizzle(BROADCAST,32,15)
	s_waitcnt lgkmcnt(0)
	v_and_b32_e32 v31, v31, v30
	v_lshrrev_b32_e32 v30, 5, v1
	s_delay_alu instid0(VALU_DEP_2)
	v_add_nc_u32_e32 v29, v29, v31
	v_cmpx_eq_u32_e32 31, v33
	s_cbranch_execz .LBB73_77
; %bb.76:
	s_delay_alu instid0(VALU_DEP_3)
	v_lshlrev_b32_e32 v31, 2, v30
	ds_store_b32 v31, v29
.LBB73_77:
	s_or_b32 exec_lo, exec_lo, s5
	v_cmp_lt_u32_e64 s4, 31, v1
	s_mov_b32 s11, exec_lo
	s_waitcnt lgkmcnt(0)
	s_barrier
	buffer_gl0_inv
	v_cmpx_gt_u32_e32 32, v1
	s_cbranch_execz .LBB73_79
; %bb.78:
	ds_load_b32 v31, v13
	s_waitcnt lgkmcnt(0)
	v_mov_b32_dpp v32, v31 row_shr:1 row_mask:0xf bank_mask:0xf
	s_delay_alu instid0(VALU_DEP_1) | instskip(NEXT) | instid1(VALU_DEP_1)
	v_cndmask_b32_e64 v32, v32, 0, vcc_lo
	v_add_nc_u32_e32 v31, v32, v31
	s_delay_alu instid0(VALU_DEP_1) | instskip(NEXT) | instid1(VALU_DEP_1)
	v_mov_b32_dpp v32, v31 row_shr:2 row_mask:0xf bank_mask:0xf
	v_cndmask_b32_e64 v32, 0, v32, s0
	s_delay_alu instid0(VALU_DEP_1) | instskip(NEXT) | instid1(VALU_DEP_1)
	v_add_nc_u32_e32 v31, v31, v32
	v_mov_b32_dpp v32, v31 row_shr:4 row_mask:0xf bank_mask:0xf
	s_delay_alu instid0(VALU_DEP_1) | instskip(NEXT) | instid1(VALU_DEP_1)
	v_cndmask_b32_e64 v32, 0, v32, s1
	v_add_nc_u32_e32 v31, v31, v32
	s_delay_alu instid0(VALU_DEP_1) | instskip(NEXT) | instid1(VALU_DEP_1)
	v_mov_b32_dpp v32, v31 row_shr:8 row_mask:0xf bank_mask:0xf
	v_cndmask_b32_e64 v32, 0, v32, s2
	s_delay_alu instid0(VALU_DEP_1) | instskip(SKIP_3) | instid1(VALU_DEP_1)
	v_add_nc_u32_e32 v31, v31, v32
	ds_swizzle_b32 v32, v31 offset:swizzle(BROADCAST,32,15)
	s_waitcnt lgkmcnt(0)
	v_cndmask_b32_e64 v32, v32, 0, s3
	v_add_nc_u32_e32 v31, v31, v32
	ds_store_b32 v13, v31
.LBB73_79:
	s_or_b32 exec_lo, exec_lo, s11
	v_mov_b32_e32 v13, 0
	s_waitcnt lgkmcnt(0)
	s_barrier
	buffer_gl0_inv
	s_and_saveexec_b32 s0, s4
	s_cbranch_execz .LBB73_81
; %bb.80:
	v_lshl_add_u32 v13, v30, 2, -4
	ds_load_b32 v13, v13
.LBB73_81:
	s_or_b32 exec_lo, exec_lo, s0
	v_add_nc_u32_e32 v30, -1, v12
	v_cmp_lt_u32_e64 s0, 0xff, v1
	s_waitcnt lgkmcnt(0)
	v_add_nc_u32_e32 v29, v13, v29
	s_delay_alu instid0(VALU_DEP_3) | instskip(SKIP_2) | instid1(VALU_DEP_2)
	v_cmp_gt_i32_e32 vcc_lo, 0, v30
	v_cndmask_b32_e32 v30, v30, v12, vcc_lo
	v_cmp_eq_u32_e32 vcc_lo, 0, v12
	v_lshlrev_b32_e32 v30, 2, v30
	ds_bpermute_b32 v29, v30, v29
	s_waitcnt lgkmcnt(0)
	v_cndmask_b32_e32 v13, v29, v13, vcc_lo
	v_cmp_ne_u32_e32 vcc_lo, 0, v1
	s_delay_alu instid0(VALU_DEP_2) | instskip(SKIP_1) | instid1(VALU_DEP_2)
	v_cndmask_b32_e32 v13, 0, v13, vcc_lo
	v_cmp_gt_u32_e32 vcc_lo, 0x100, v1
	v_add_nc_u32_e32 v8, v13, v8
	s_delay_alu instid0(VALU_DEP_1) | instskip(NEXT) | instid1(VALU_DEP_1)
	v_add_nc_u32_e32 v9, v8, v9
	v_add_nc_u32_e32 v6, v9, v6
	s_delay_alu instid0(VALU_DEP_1) | instskip(NEXT) | instid1(VALU_DEP_1)
	v_add_nc_u32_e32 v7, v6, v7
	;; [unrolled: 3-line block ×3, first 2 shown]
	v_add_nc_u32_e32 v2, v5, v2
	s_delay_alu instid0(VALU_DEP_1)
	v_add_nc_u32_e32 v3, v2, v3
	ds_store_2addr_b32 v15, v13, v8 offset0:32 offset1:33
	ds_store_2addr_b32 v28, v9, v6 offset0:2 offset1:3
	;; [unrolled: 1-line block ×4, first 2 shown]
	ds_store_b32 v28, v3 offset:32
	s_waitcnt lgkmcnt(0)
	s_barrier
	buffer_gl0_inv
	ds_load_b32 v2, v16 offset:128
	ds_load_b32 v5, v20 offset:128
	;; [unrolled: 1-line block ×4, first 2 shown]
	v_mov_b32_e32 v3, 0
	v_mov_b32_e32 v4, 0
                                        ; implicit-def: $vgpr13
	s_and_saveexec_b32 s2, vcc_lo
	s_cbranch_execz .LBB73_85
; %bb.82:
	v_mul_u32_u24_e32 v3, 33, v1
	v_mov_b32_e32 v4, 0x1000
	s_mov_b32 s3, exec_lo
	s_delay_alu instid0(VALU_DEP_2)
	v_lshlrev_b32_e32 v8, 2, v3
	ds_load_b32 v3, v8 offset:128
	v_cmpx_ne_u32_e32 0xff, v1
	s_cbranch_execz .LBB73_84
; %bb.83:
	ds_load_b32 v4, v8 offset:260
.LBB73_84:
	s_or_b32 exec_lo, exec_lo, s3
	s_waitcnt lgkmcnt(0)
	v_sub_nc_u32_e32 v13, v4, v3
	v_mov_b32_e32 v4, 0
.LBB73_85:
	s_or_b32 exec_lo, exec_lo, s2
	s_waitcnt lgkmcnt(3)
	v_add_nc_u32_e32 v20, v2, v0
	s_waitcnt lgkmcnt(2)
	v_add3_u32 v16, v18, v17, v5
	s_waitcnt lgkmcnt(1)
	v_add3_u32 v15, v22, v21, v6
	;; [unrolled: 2-line block ×3, first 2 shown]
	v_lshlrev_b32_e32 v2, 1, v20
	v_lshlrev_b32_e32 v5, 1, v16
	;; [unrolled: 1-line block ×3, first 2 shown]
	s_delay_alu instid0(VALU_DEP_4)
	v_lshlrev_b32_e32 v7, 1, v0
	s_barrier
	buffer_gl0_inv
	ds_store_b16 v2, v10 offset:2048
	ds_store_b16 v5, v14 offset:2048
	ds_store_b16 v6, v19 offset:2048
	ds_store_b16 v7, v23 offset:2048
	s_waitcnt lgkmcnt(0)
	s_barrier
	buffer_gl0_inv
	s_and_saveexec_b32 s1, s0
	s_delay_alu instid0(SALU_CYCLE_1)
	s_xor_b32 s0, exec_lo, s1
; %bb.86:
	v_mov_b32_e32 v2, 0
; %bb.87:
	s_and_not1_saveexec_b32 s1, s0
	s_cbranch_execz .LBB73_97
; %bb.88:
	v_lshl_or_b32 v7, s15, 8, v1
	v_mov_b32_e32 v8, 0
	v_mov_b32_e32 v2, 0
	s_mov_b32 s2, 0
	s_mov_b32 s3, s15
	s_delay_alu instid0(VALU_DEP_2) | instskip(SKIP_1) | instid1(VALU_DEP_2)
	v_lshlrev_b64 v[5:6], 2, v[7:8]
	v_or_b32_e32 v7, 2.0, v13
	v_add_co_u32 v5, s0, s12, v5
	s_delay_alu instid0(VALU_DEP_1)
	v_add_co_ci_u32_e64 v6, s0, s13, v6, s0
                                        ; implicit-def: $sgpr0
	global_store_b32 v[5:6], v7, off
	s_branch .LBB73_91
	.p2align	6
.LBB73_89:                              ;   in Loop: Header=BB73_91 Depth=1
	s_or_b32 exec_lo, exec_lo, s5
.LBB73_90:                              ;   in Loop: Header=BB73_91 Depth=1
	s_delay_alu instid0(SALU_CYCLE_1) | instskip(SKIP_2) | instid1(VALU_DEP_2)
	s_or_b32 exec_lo, exec_lo, s4
	v_and_b32_e32 v9, 0x3fffffff, v14
	v_cmp_eq_u32_e64 s0, 0x80000000, v7
	v_add_nc_u32_e32 v2, v9, v2
	s_delay_alu instid0(VALU_DEP_2) | instskip(NEXT) | instid1(SALU_CYCLE_1)
	s_and_b32 s4, exec_lo, s0
	s_or_b32 s2, s4, s2
	s_delay_alu instid0(SALU_CYCLE_1)
	s_and_not1_b32 exec_lo, exec_lo, s2
	s_cbranch_execz .LBB73_96
.LBB73_91:                              ; =>This Loop Header: Depth=1
                                        ;     Child Loop BB73_94 Depth 2
	s_or_b32 s0, s0, exec_lo
	s_cmp_eq_u32 s3, 0
	s_cbranch_scc1 .LBB73_95
; %bb.92:                               ;   in Loop: Header=BB73_91 Depth=1
	s_add_i32 s3, s3, -1
	s_mov_b32 s4, exec_lo
	v_lshl_or_b32 v7, s3, 8, v1
	s_delay_alu instid0(VALU_DEP_1) | instskip(NEXT) | instid1(VALU_DEP_1)
	v_lshlrev_b64 v[9:10], 2, v[7:8]
	v_add_co_u32 v9, s0, s12, v9
	s_delay_alu instid0(VALU_DEP_1) | instskip(SKIP_3) | instid1(VALU_DEP_1)
	v_add_co_ci_u32_e64 v10, s0, s13, v10, s0
	global_load_b32 v14, v[9:10], off glc
	s_waitcnt vmcnt(0)
	v_and_b32_e32 v7, -2.0, v14
	v_cmpx_eq_u32_e32 0, v7
	s_cbranch_execz .LBB73_90
; %bb.93:                               ;   in Loop: Header=BB73_91 Depth=1
	s_mov_b32 s5, 0
.LBB73_94:                              ;   Parent Loop BB73_91 Depth=1
                                        ; =>  This Inner Loop Header: Depth=2
	global_load_b32 v14, v[9:10], off glc
	s_waitcnt vmcnt(0)
	v_and_b32_e32 v7, -2.0, v14
	s_delay_alu instid0(VALU_DEP_1) | instskip(NEXT) | instid1(VALU_DEP_1)
	v_cmp_ne_u32_e64 s0, 0, v7
	s_or_b32 s5, s0, s5
	s_delay_alu instid0(SALU_CYCLE_1)
	s_and_not1_b32 exec_lo, exec_lo, s5
	s_cbranch_execnz .LBB73_94
	s_branch .LBB73_89
.LBB73_95:                              ;   in Loop: Header=BB73_91 Depth=1
                                        ; implicit-def: $sgpr3
	s_and_b32 s4, exec_lo, s0
	s_delay_alu instid0(SALU_CYCLE_1) | instskip(NEXT) | instid1(SALU_CYCLE_1)
	s_or_b32 s2, s4, s2
	s_and_not1_b32 exec_lo, exec_lo, s2
	s_cbranch_execnz .LBB73_91
.LBB73_96:
	s_or_b32 exec_lo, exec_lo, s2
	v_add_nc_u32_e32 v7, v2, v13
	v_lshlrev_b32_e32 v8, 3, v1
	v_sub_co_u32 v2, s0, v2, v3
	s_delay_alu instid0(VALU_DEP_3)
	v_or_b32_e32 v7, 0x80000000, v7
	global_store_b32 v[5:6], v7, off
	global_load_b64 v[5:6], v8, s[24:25]
	v_sub_co_ci_u32_e64 v7, s0, 0, v4, s0
	s_waitcnt vmcnt(0)
	v_add_co_u32 v5, s0, v2, v5
	v_mov_b32_e32 v2, 0
	s_delay_alu instid0(VALU_DEP_3)
	v_add_co_ci_u32_e64 v6, s0, v7, v6, s0
	ds_store_b64 v8, v[5:6]
.LBB73_97:
	s_or_b32 exec_lo, exec_lo, s1
	v_lshlrev_b32_e32 v5, 3, v12
	s_lshl_b64 s[0:1], s[6:7], 3
	v_lshlrev_b32_e32 v6, 3, v11
	s_add_u32 s0, s20, s0
	s_addc_u32 s1, s21, s1
	v_add_co_u32 v5, s0, s0, v5
	s_delay_alu instid0(VALU_DEP_1) | instskip(SKIP_2) | instid1(VALU_DEP_2)
	v_add_co_ci_u32_e64 v7, null, s1, 0, s0
	s_waitcnt lgkmcnt(0)
	s_waitcnt_vscnt null, 0x0
	v_add_co_u32 v5, s0, v5, v6
	s_delay_alu instid0(VALU_DEP_1)
	v_add_co_ci_u32_e64 v6, s0, 0, v7, s0
	s_barrier
	buffer_gl0_inv
	v_lshlrev_b32_e32 v27, 1, v1
	s_clause 0x3
	global_load_b64 v[7:8], v[5:6], off
	global_load_b64 v[9:10], v[5:6], off offset:256
	global_load_b64 v[11:12], v[5:6], off offset:512
	;; [unrolled: 1-line block ×3, first 2 shown]
	v_lshlrev_b32_e32 v29, 1, v1
	v_lshlrev_b32_e32 v40, 3, v15
	;; [unrolled: 1-line block ×3, first 2 shown]
	ds_load_u16 v28, v27 offset:8192
	ds_load_u16 v19, v29 offset:2048
	;; [unrolled: 1-line block ×3, first 2 shown]
	v_lshlrev_b32_e32 v39, 3, v16
	v_lshlrev_b64 v[25:26], 1, v[1:2]
	v_or_b32_e32 v35, 0x800, v1
	v_or_b32_e32 v36, 0xc00, v1
	v_lshlrev_b32_e32 v0, 3, v0
	s_add_i32 s9, s9, -1
	s_delay_alu instid0(VALU_DEP_3) | instskip(NEXT) | instid1(VALU_DEP_3)
	v_lshlrev_b32_e32 v41, 1, v35
	v_lshlrev_b32_e32 v42, 1, v36
	s_cmp_eq_u32 s15, s9
	s_cselect_b32 s1, -1, 0
	s_delay_alu instid0(SALU_CYCLE_1)
	s_and_b32 s1, vcc_lo, s1
	s_waitcnt lgkmcnt(2)
	v_and_b32_e32 v14, 0xffff, v28
	s_waitcnt lgkmcnt(1)
	v_xor_b32_e32 v43, 0xffff8000, v19
	s_waitcnt lgkmcnt(0)
	v_and_b32_e32 v21, 0xffff, v30
	v_xor_b32_e32 v30, 0xffff8000, v30
	v_xor_b32_e32 v28, 0xffff8000, v28
	v_lshrrev_b32_e32 v14, s28, v14
	s_delay_alu instid0(VALU_DEP_4) | instskip(NEXT) | instid1(VALU_DEP_2)
	v_lshrrev_b32_e32 v21, s28, v21
	v_and_b32_e32 v14, s10, v14
	s_delay_alu instid0(VALU_DEP_2) | instskip(NEXT) | instid1(VALU_DEP_2)
	v_and_b32_e32 v21, s10, v21
	v_lshlrev_b32_e32 v31, 3, v14
	ds_load_b64 v[17:18], v31
	ds_load_u16 v32, v27 offset:6144
	v_and_b32_e32 v14, 0xffff, v19
	v_lshlrev_b32_e32 v34, 3, v21
	s_delay_alu instid0(VALU_DEP_2) | instskip(NEXT) | instid1(VALU_DEP_1)
	v_lshrrev_b32_e32 v14, s28, v14
	v_and_b32_e32 v14, s10, v14
	s_delay_alu instid0(VALU_DEP_1)
	v_lshlrev_b32_e32 v33, 3, v14
	ds_load_b64 v[21:22], v33
	ds_load_b64 v[23:24], v34
	s_waitcnt lgkmcnt(2)
	v_and_b32_e32 v14, 0xffff, v32
	v_lshlrev_b64 v[16:17], 1, v[17:18]
	s_delay_alu instid0(VALU_DEP_2) | instskip(NEXT) | instid1(VALU_DEP_1)
	v_lshrrev_b32_e32 v14, s28, v14
	v_and_b32_e32 v14, s10, v14
	s_delay_alu instid0(VALU_DEP_1)
	v_lshlrev_b32_e32 v38, 3, v14
	s_waitcnt lgkmcnt(1)
	v_lshlrev_b64 v[19:20], 1, v[21:22]
	s_waitcnt lgkmcnt(0)
	v_lshlrev_b64 v[21:22], 1, v[23:24]
	ds_load_b64 v[14:15], v38
	v_xor_b32_e32 v23, 0xffff8000, v32
	v_add_co_u32 v18, s0, s18, v19
	s_delay_alu instid0(VALU_DEP_1) | instskip(SKIP_1) | instid1(VALU_DEP_1)
	v_add_co_ci_u32_e64 v19, s0, s19, v20, s0
	v_add_co_u32 v20, s0, s18, v21
	v_add_co_ci_u32_e64 v21, s0, s19, v22, s0
	v_add_co_u32 v22, s0, s18, v16
	s_delay_alu instid0(VALU_DEP_1) | instskip(SKIP_1) | instid1(VALU_DEP_1)
	v_add_co_ci_u32_e64 v24, s0, s19, v17, s0
	v_add_co_u32 v16, s0, v18, v25
	v_add_co_ci_u32_e64 v17, s0, v19, v26, s0
	s_waitcnt lgkmcnt(0)
	v_lshlrev_b64 v[14:15], 1, v[14:15]
	s_delay_alu instid0(VALU_DEP_1) | instskip(NEXT) | instid1(VALU_DEP_1)
	v_add_co_u32 v18, s0, s18, v14
	v_add_co_ci_u32_e64 v19, s0, s19, v15, s0
	v_add_co_u32 v14, s0, v20, v25
	s_delay_alu instid0(VALU_DEP_1) | instskip(NEXT) | instid1(VALU_DEP_4)
	v_add_co_ci_u32_e64 v15, s0, v21, v26, s0
	v_add_co_u32 v18, s0, v18, v41
	s_delay_alu instid0(VALU_DEP_1) | instskip(SKIP_1) | instid1(VALU_DEP_1)
	v_add_co_ci_u32_e64 v19, s0, 0, v19, s0
	v_add_co_u32 v20, s0, v22, v42
	v_add_co_ci_u32_e64 v21, s0, 0, v24, s0
	s_clause 0x3
	global_store_b16 v[16:17], v43, off
	global_store_b16 v[14:15], v30, off offset:2048
	global_store_b16 v[18:19], v23, off
	global_store_b16 v[20:21], v28, off
	s_waitcnt vmcnt(0)
	s_waitcnt_vscnt null, 0x0
	s_barrier
	buffer_gl0_inv
	v_mad_i32_i24 v20, v1, 6, v29
	v_lshlrev_b64 v[18:19], 3, v[1:2]
	v_lshl_or_b32 v24, v1, 3, 0x2000
	v_lshlrev_b32_e32 v25, 3, v35
	v_lshlrev_b32_e32 v26, 3, v36
	ds_store_b64 v37, v[7:8] offset:2048
	ds_store_b64 v39, v[9:10] offset:2048
	;; [unrolled: 1-line block ×4, first 2 shown]
	s_waitcnt lgkmcnt(0)
	s_barrier
	buffer_gl0_inv
	ds_load_b64 v[9:10], v33
	ds_load_b64 v[11:12], v34
	;; [unrolled: 1-line block ×4, first 2 shown]
	v_or_b32_e32 v0, 0x800, v27
	s_delay_alu instid0(VALU_DEP_1)
	v_mad_u32_u24 v0, v1, 6, v0
	ds_load_2addr_stride64_b64 v[5:8], v0 offset0:16 offset1:32
	ds_load_b64 v[20:21], v20 offset:2048
	ds_load_b64 v[22:23], v0 offset:24576
	s_waitcnt lgkmcnt(6)
	v_lshlrev_b64 v[9:10], 3, v[9:10]
	s_waitcnt lgkmcnt(5)
	v_lshlrev_b64 v[11:12], 3, v[11:12]
	;; [unrolled: 2-line block ×4, first 2 shown]
	v_add_co_u32 v0, s0, s22, v9
	s_delay_alu instid0(VALU_DEP_1) | instskip(SKIP_1) | instid1(VALU_DEP_1)
	v_add_co_ci_u32_e64 v10, s0, s23, v10, s0
	v_add_co_u32 v11, s0, s22, v11
	v_add_co_ci_u32_e64 v12, s0, s23, v12, s0
	v_add_co_u32 v14, s0, s22, v14
	s_delay_alu instid0(VALU_DEP_1) | instskip(SKIP_1) | instid1(VALU_DEP_1)
	v_add_co_ci_u32_e64 v15, s0, s23, v15, s0
	v_add_co_u32 v16, s0, s22, v16
	v_add_co_ci_u32_e64 v17, s0, s23, v17, s0
	;; [unrolled: 5-line block ×4, first 2 shown]
	s_waitcnt lgkmcnt(1)
	s_clause 0x2
	global_store_b64 v[9:10], v[20:21], off
	global_store_b64 v[11:12], v[5:6], off
	;; [unrolled: 1-line block ×3, first 2 shown]
	s_waitcnt lgkmcnt(0)
	global_store_b64 v[16:17], v[22:23], off
                                        ; implicit-def: $vgpr5_vgpr6
	s_and_saveexec_b32 s0, s1
; %bb.98:
	v_add_co_u32 v5, vcc_lo, v3, v13
	v_add_co_ci_u32_e32 v6, vcc_lo, 0, v4, vcc_lo
	s_or_b32 s8, s8, exec_lo
; %bb.99:
	s_or_b32 exec_lo, exec_lo, s0
.LBB73_100:
	s_and_saveexec_b32 s0, s8
	s_cbranch_execnz .LBB73_102
; %bb.101:
	s_nop 0
	s_sendmsg sendmsg(MSG_DEALLOC_VGPRS)
	s_endpgm
.LBB73_102:
	v_lshlrev_b32_e32 v0, 3, v1
	ds_load_b64 v[3:4], v0
	v_lshlrev_b64 v[0:1], 3, v[1:2]
	s_delay_alu instid0(VALU_DEP_1) | instskip(NEXT) | instid1(VALU_DEP_2)
	v_add_co_u32 v0, vcc_lo, s26, v0
	v_add_co_ci_u32_e32 v1, vcc_lo, s27, v1, vcc_lo
	s_waitcnt lgkmcnt(0)
	v_add_co_u32 v2, vcc_lo, v3, v5
	v_add_co_ci_u32_e32 v3, vcc_lo, v4, v6, vcc_lo
	global_store_b64 v[0:1], v[2:3], off
	s_nop 0
	s_sendmsg sendmsg(MSG_DEALLOC_VGPRS)
	s_endpgm
.LBB73_103:
	global_load_b64 v[2:3], v[10:11], off
	s_or_b32 exec_lo, exec_lo, s10
                                        ; implicit-def: $vgpr4_vgpr5
	s_and_saveexec_b32 s10, s2
	s_cbranch_execz .LBB73_47
.LBB73_104:
	global_load_b64 v[4:5], v[10:11], off offset:256
	s_or_b32 exec_lo, exec_lo, s10
                                        ; implicit-def: $vgpr6_vgpr7
	s_and_saveexec_b32 s2, s3
	s_cbranch_execz .LBB73_48
.LBB73_105:
	global_load_b64 v[6:7], v[10:11], off offset:512
	s_or_b32 exec_lo, exec_lo, s2
                                        ; implicit-def: $vgpr8_vgpr9
	s_and_saveexec_b32 s2, s4
	s_cbranch_execnz .LBB73_49
	s_branch .LBB73_50
.LBB73_106:
	v_lshlrev_b32_e32 v3, 3, v24
	ds_load_b64 v[3:4], v3
	ds_load_b64 v[5:6], v2 offset:2048
	s_waitcnt lgkmcnt(1)
	v_lshlrev_b64 v[3:4], 3, v[3:4]
	s_delay_alu instid0(VALU_DEP_1) | instskip(NEXT) | instid1(VALU_DEP_2)
	v_add_co_u32 v3, vcc_lo, s22, v3
	v_add_co_ci_u32_e32 v4, vcc_lo, s23, v4, vcc_lo
	s_delay_alu instid0(VALU_DEP_2) | instskip(NEXT) | instid1(VALU_DEP_2)
	v_add_co_u32 v3, vcc_lo, v3, v2
	v_add_co_ci_u32_e32 v4, vcc_lo, 0, v4, vcc_lo
	s_waitcnt lgkmcnt(0)
	global_store_b64 v[3:4], v[5:6], off
	s_or_b32 exec_lo, exec_lo, s2
	s_and_saveexec_b32 s2, s7
	s_cbranch_execz .LBB73_60
.LBB73_107:
	v_lshlrev_b32_e32 v3, 3, v11
	v_lshlrev_b32_e32 v7, 3, v13
	ds_load_b64 v[3:4], v3
	ds_load_b64 v[5:6], v2 offset:10240
	s_waitcnt lgkmcnt(1)
	v_lshlrev_b64 v[3:4], 3, v[3:4]
	s_delay_alu instid0(VALU_DEP_1) | instskip(NEXT) | instid1(VALU_DEP_2)
	v_add_co_u32 v3, vcc_lo, s22, v3
	v_add_co_ci_u32_e32 v4, vcc_lo, s23, v4, vcc_lo
	s_delay_alu instid0(VALU_DEP_2) | instskip(NEXT) | instid1(VALU_DEP_2)
	v_add_co_u32 v3, vcc_lo, v3, v7
	v_add_co_ci_u32_e32 v4, vcc_lo, 0, v4, vcc_lo
	s_waitcnt lgkmcnt(0)
	global_store_b64 v[3:4], v[5:6], off
	s_or_b32 exec_lo, exec_lo, s2
	s_and_saveexec_b32 s2, s8
	s_cbranch_execz .LBB73_61
.LBB73_108:
	v_lshlrev_b32_e32 v3, 3, v23
	v_lshlrev_b32_e32 v7, 3, v15
	ds_load_b64 v[3:4], v3
	ds_load_b64 v[5:6], v2 offset:18432
	s_waitcnt lgkmcnt(1)
	v_lshlrev_b64 v[3:4], 3, v[3:4]
	s_delay_alu instid0(VALU_DEP_1) | instskip(NEXT) | instid1(VALU_DEP_2)
	v_add_co_u32 v3, vcc_lo, s22, v3
	v_add_co_ci_u32_e32 v4, vcc_lo, s23, v4, vcc_lo
	s_delay_alu instid0(VALU_DEP_2) | instskip(NEXT) | instid1(VALU_DEP_2)
	v_add_co_u32 v3, vcc_lo, v3, v7
	v_add_co_ci_u32_e32 v4, vcc_lo, 0, v4, vcc_lo
	s_waitcnt lgkmcnt(0)
	global_store_b64 v[3:4], v[5:6], off
	s_or_b32 exec_lo, exec_lo, s2
	s_and_saveexec_b32 s2, s9
	s_cbranch_execnz .LBB73_62
	s_branch .LBB73_63
	.section	.rodata,"a",@progbits
	.p2align	6, 0x0
	.amdhsa_kernel _ZN7rocprim17ROCPRIM_304000_NS6detail25onesweep_iteration_kernelINS1_34wrapped_radix_sort_onesweep_configINS0_14default_configEsN2at4cuda3cub6detail10OpaqueTypeILi8EEEEELb0EPsSC_PSA_SD_mNS0_19identity_decomposerEEEvT1_T2_T3_T4_jPT5_SK_PNS1_23onesweep_lookback_stateET6_jjj
		.amdhsa_group_segment_fixed_size 36992
		.amdhsa_private_segment_fixed_size 0
		.amdhsa_kernarg_size 336
		.amdhsa_user_sgpr_count 15
		.amdhsa_user_sgpr_dispatch_ptr 0
		.amdhsa_user_sgpr_queue_ptr 0
		.amdhsa_user_sgpr_kernarg_segment_ptr 1
		.amdhsa_user_sgpr_dispatch_id 0
		.amdhsa_user_sgpr_private_segment_size 0
		.amdhsa_wavefront_size32 1
		.amdhsa_uses_dynamic_stack 0
		.amdhsa_enable_private_segment 0
		.amdhsa_system_sgpr_workgroup_id_x 1
		.amdhsa_system_sgpr_workgroup_id_y 0
		.amdhsa_system_sgpr_workgroup_id_z 0
		.amdhsa_system_sgpr_workgroup_info 0
		.amdhsa_system_vgpr_workitem_id 2
		.amdhsa_next_free_vgpr 44
		.amdhsa_next_free_sgpr 36
		.amdhsa_reserve_vcc 1
		.amdhsa_float_round_mode_32 0
		.amdhsa_float_round_mode_16_64 0
		.amdhsa_float_denorm_mode_32 3
		.amdhsa_float_denorm_mode_16_64 3
		.amdhsa_dx10_clamp 1
		.amdhsa_ieee_mode 1
		.amdhsa_fp16_overflow 0
		.amdhsa_workgroup_processor_mode 1
		.amdhsa_memory_ordered 1
		.amdhsa_forward_progress 0
		.amdhsa_shared_vgpr_count 0
		.amdhsa_exception_fp_ieee_invalid_op 0
		.amdhsa_exception_fp_denorm_src 0
		.amdhsa_exception_fp_ieee_div_zero 0
		.amdhsa_exception_fp_ieee_overflow 0
		.amdhsa_exception_fp_ieee_underflow 0
		.amdhsa_exception_fp_ieee_inexact 0
		.amdhsa_exception_int_div_zero 0
	.end_amdhsa_kernel
	.section	.text._ZN7rocprim17ROCPRIM_304000_NS6detail25onesweep_iteration_kernelINS1_34wrapped_radix_sort_onesweep_configINS0_14default_configEsN2at4cuda3cub6detail10OpaqueTypeILi8EEEEELb0EPsSC_PSA_SD_mNS0_19identity_decomposerEEEvT1_T2_T3_T4_jPT5_SK_PNS1_23onesweep_lookback_stateET6_jjj,"axG",@progbits,_ZN7rocprim17ROCPRIM_304000_NS6detail25onesweep_iteration_kernelINS1_34wrapped_radix_sort_onesweep_configINS0_14default_configEsN2at4cuda3cub6detail10OpaqueTypeILi8EEEEELb0EPsSC_PSA_SD_mNS0_19identity_decomposerEEEvT1_T2_T3_T4_jPT5_SK_PNS1_23onesweep_lookback_stateET6_jjj,comdat
.Lfunc_end73:
	.size	_ZN7rocprim17ROCPRIM_304000_NS6detail25onesweep_iteration_kernelINS1_34wrapped_radix_sort_onesweep_configINS0_14default_configEsN2at4cuda3cub6detail10OpaqueTypeILi8EEEEELb0EPsSC_PSA_SD_mNS0_19identity_decomposerEEEvT1_T2_T3_T4_jPT5_SK_PNS1_23onesweep_lookback_stateET6_jjj, .Lfunc_end73-_ZN7rocprim17ROCPRIM_304000_NS6detail25onesweep_iteration_kernelINS1_34wrapped_radix_sort_onesweep_configINS0_14default_configEsN2at4cuda3cub6detail10OpaqueTypeILi8EEEEELb0EPsSC_PSA_SD_mNS0_19identity_decomposerEEEvT1_T2_T3_T4_jPT5_SK_PNS1_23onesweep_lookback_stateET6_jjj
                                        ; -- End function
	.section	.AMDGPU.csdata,"",@progbits
; Kernel info:
; codeLenInByte = 9152
; NumSgprs: 38
; NumVgprs: 44
; ScratchSize: 0
; MemoryBound: 0
; FloatMode: 240
; IeeeMode: 1
; LDSByteSize: 36992 bytes/workgroup (compile time only)
; SGPRBlocks: 4
; VGPRBlocks: 5
; NumSGPRsForWavesPerEU: 38
; NumVGPRsForWavesPerEU: 44
; Occupancy: 16
; WaveLimiterHint : 1
; COMPUTE_PGM_RSRC2:SCRATCH_EN: 0
; COMPUTE_PGM_RSRC2:USER_SGPR: 15
; COMPUTE_PGM_RSRC2:TRAP_HANDLER: 0
; COMPUTE_PGM_RSRC2:TGID_X_EN: 1
; COMPUTE_PGM_RSRC2:TGID_Y_EN: 0
; COMPUTE_PGM_RSRC2:TGID_Z_EN: 0
; COMPUTE_PGM_RSRC2:TIDIG_COMP_CNT: 2
	.section	.text._ZN7rocprim17ROCPRIM_304000_NS6detail28radix_sort_block_sort_kernelINS1_36wrapped_radix_sort_block_sort_configINS0_13kernel_configILj256ELj4ELj4294967295EEEiN2at4cuda3cub6detail10OpaqueTypeILi8EEEEELb1EPKiPiPKSB_PSB_NS0_19identity_decomposerEEEvT1_T2_T3_T4_jT5_jj,"axG",@progbits,_ZN7rocprim17ROCPRIM_304000_NS6detail28radix_sort_block_sort_kernelINS1_36wrapped_radix_sort_block_sort_configINS0_13kernel_configILj256ELj4ELj4294967295EEEiN2at4cuda3cub6detail10OpaqueTypeILi8EEEEELb1EPKiPiPKSB_PSB_NS0_19identity_decomposerEEEvT1_T2_T3_T4_jT5_jj,comdat
	.protected	_ZN7rocprim17ROCPRIM_304000_NS6detail28radix_sort_block_sort_kernelINS1_36wrapped_radix_sort_block_sort_configINS0_13kernel_configILj256ELj4ELj4294967295EEEiN2at4cuda3cub6detail10OpaqueTypeILi8EEEEELb1EPKiPiPKSB_PSB_NS0_19identity_decomposerEEEvT1_T2_T3_T4_jT5_jj ; -- Begin function _ZN7rocprim17ROCPRIM_304000_NS6detail28radix_sort_block_sort_kernelINS1_36wrapped_radix_sort_block_sort_configINS0_13kernel_configILj256ELj4ELj4294967295EEEiN2at4cuda3cub6detail10OpaqueTypeILi8EEEEELb1EPKiPiPKSB_PSB_NS0_19identity_decomposerEEEvT1_T2_T3_T4_jT5_jj
	.globl	_ZN7rocprim17ROCPRIM_304000_NS6detail28radix_sort_block_sort_kernelINS1_36wrapped_radix_sort_block_sort_configINS0_13kernel_configILj256ELj4ELj4294967295EEEiN2at4cuda3cub6detail10OpaqueTypeILi8EEEEELb1EPKiPiPKSB_PSB_NS0_19identity_decomposerEEEvT1_T2_T3_T4_jT5_jj
	.p2align	8
	.type	_ZN7rocprim17ROCPRIM_304000_NS6detail28radix_sort_block_sort_kernelINS1_36wrapped_radix_sort_block_sort_configINS0_13kernel_configILj256ELj4ELj4294967295EEEiN2at4cuda3cub6detail10OpaqueTypeILi8EEEEELb1EPKiPiPKSB_PSB_NS0_19identity_decomposerEEEvT1_T2_T3_T4_jT5_jj,@function
_ZN7rocprim17ROCPRIM_304000_NS6detail28radix_sort_block_sort_kernelINS1_36wrapped_radix_sort_block_sort_configINS0_13kernel_configILj256ELj4ELj4294967295EEEiN2at4cuda3cub6detail10OpaqueTypeILi8EEEEELb1EPKiPiPKSB_PSB_NS0_19identity_decomposerEEEvT1_T2_T3_T4_jT5_jj: ; @_ZN7rocprim17ROCPRIM_304000_NS6detail28radix_sort_block_sort_kernelINS1_36wrapped_radix_sort_block_sort_configINS0_13kernel_configILj256ELj4ELj4294967295EEEiN2at4cuda3cub6detail10OpaqueTypeILi8EEEEELb1EPKiPiPKSB_PSB_NS0_19identity_decomposerEEEvT1_T2_T3_T4_jT5_jj
; %bb.0:
	s_clause 0x1
	s_load_b32 s2, s[0:1], 0x20
	s_load_b256 s[16:23], s[0:1], 0x0
	v_and_b32_e32 v8, 0x3ff, v0
	v_mbcnt_lo_u32_b32 v7, -1, 0
	s_lshl_b32 s24, s15, 10
	s_mov_b32 s25, 0
	s_delay_alu instid0(VALU_DEP_2) | instskip(NEXT) | instid1(VALU_DEP_2)
	v_lshlrev_b32_e32 v27, 2, v8
	v_lshlrev_b32_e32 v1, 2, v7
	;; [unrolled: 1-line block ×3, first 2 shown]
	s_delay_alu instid0(VALU_DEP_3) | instskip(NEXT) | instid1(VALU_DEP_1)
	v_and_b32_e32 v11, 0x380, v27
	v_lshlrev_b32_e32 v2, 2, v11
	v_lshlrev_b32_e32 v16, 3, v11
	v_add_nc_u32_e32 v13, v7, v11
	s_waitcnt lgkmcnt(0)
	s_lshr_b32 s3, s2, 10
	s_delay_alu instid0(SALU_CYCLE_1) | instskip(SKIP_2) | instid1(SALU_CYCLE_1)
	s_cmp_lg_u32 s15, s3
	s_cselect_b32 s28, -1, 0
	s_lshl_b64 s[26:27], s[24:25], 2
	s_add_u32 s4, s16, s26
	s_addc_u32 s5, s17, s27
	v_add_co_u32 v1, s4, s4, v1
	s_delay_alu instid0(VALU_DEP_1) | instskip(SKIP_1) | instid1(VALU_DEP_2)
	v_add_co_ci_u32_e64 v3, null, s5, 0, s4
	s_cmp_eq_u32 s15, s3
	v_add_co_u32 v9, vcc_lo, v1, v2
	s_delay_alu instid0(VALU_DEP_2)
	v_add_co_ci_u32_e32 v10, vcc_lo, 0, v3, vcc_lo
	s_mov_b32 s3, -1
	s_cbranch_scc1 .LBB74_2
; %bb.1:
	s_lshl_b64 s[4:5], s[24:25], 3
	s_delay_alu instid0(SALU_CYCLE_1) | instskip(SKIP_2) | instid1(VALU_DEP_1)
	s_add_u32 s3, s20, s4
	s_addc_u32 s4, s21, s5
	v_add_co_u32 v1, s3, s3, v15
	v_add_co_ci_u32_e64 v2, null, s4, 0, s3
	s_mov_b32 s3, s25
	s_delay_alu instid0(VALU_DEP_2) | instskip(NEXT) | instid1(VALU_DEP_2)
	v_add_co_u32 v17, vcc_lo, v1, v16
	v_add_co_ci_u32_e32 v18, vcc_lo, 0, v2, vcc_lo
	s_clause 0x3
	global_load_b32 v1, v[9:10], off
	global_load_b32 v2, v[9:10], off offset:128
	global_load_b32 v3, v[9:10], off offset:256
	;; [unrolled: 1-line block ×3, first 2 shown]
	s_clause 0x3
	global_load_b64 v[5:6], v[17:18], off
	global_load_b64 v[21:22], v[17:18], off offset:256
	global_load_b64 v[23:24], v[17:18], off offset:512
	;; [unrolled: 1-line block ×3, first 2 shown]
	v_add_nc_u32_e32 v17, v7, v11
	s_delay_alu instid0(VALU_DEP_1)
	v_add_nc_u32_e32 v11, 32, v17
	v_add_nc_u32_e32 v12, 64, v17
	;; [unrolled: 1-line block ×3, first 2 shown]
	s_and_not1_b32 vcc_lo, exec_lo, s3
	s_sub_i32 s16, s2, s24
	s_cbranch_vccz .LBB74_3
	s_branch .LBB74_17
.LBB74_2:
                                        ; implicit-def: $vgpr1_vgpr2_vgpr3_vgpr4
                                        ; implicit-def: $vgpr5_vgpr6
                                        ; implicit-def: $vgpr21_vgpr22
                                        ; implicit-def: $vgpr23_vgpr24
                                        ; implicit-def: $vgpr25_vgpr26
                                        ; implicit-def: $vgpr17
                                        ; implicit-def: $vgpr11
                                        ; implicit-def: $vgpr12
                                        ; implicit-def: $vgpr14
	s_and_not1_b32 vcc_lo, exec_lo, s3
	s_sub_i32 s16, s2, s24
	s_cbranch_vccnz .LBB74_17
.LBB74_3:
	s_brev_b32 s4, 1
	v_cmp_gt_u32_e32 vcc_lo, s16, v13
	s_mov_b32 s5, s4
	s_mov_b32 s6, s4
	;; [unrolled: 1-line block ×3, first 2 shown]
	s_waitcnt vmcnt(4)
	v_dual_mov_b32 v1, s4 :: v_dual_mov_b32 v2, s5
	v_dual_mov_b32 v3, s6 :: v_dual_mov_b32 v4, s7
	s_and_saveexec_b32 s2, vcc_lo
	s_cbranch_execz .LBB74_5
; %bb.4:
	global_load_b32 v1, v[9:10], off
	v_bfrev_b32_e32 v2, 1
	s_delay_alu instid0(VALU_DEP_1)
	v_mov_b32_e32 v3, v2
	v_mov_b32_e32 v4, v2
.LBB74_5:
	s_or_b32 exec_lo, exec_lo, s2
	v_add_nc_u32_e32 v11, 32, v13
	s_delay_alu instid0(VALU_DEP_1) | instskip(NEXT) | instid1(VALU_DEP_1)
	v_cmp_gt_u32_e64 s2, s16, v11
	s_and_saveexec_b32 s3, s2
	s_cbranch_execz .LBB74_7
; %bb.6:
	global_load_b32 v2, v[9:10], off offset:128
.LBB74_7:
	s_or_b32 exec_lo, exec_lo, s3
	v_add_nc_u32_e32 v12, 64, v13
	s_delay_alu instid0(VALU_DEP_1) | instskip(NEXT) | instid1(VALU_DEP_1)
	v_cmp_gt_u32_e64 s3, s16, v12
	s_and_saveexec_b32 s4, s3
	s_cbranch_execz .LBB74_9
; %bb.8:
	global_load_b32 v3, v[9:10], off offset:256
.LBB74_9:
	;; [unrolled: 9-line block ×3, first 2 shown]
	s_or_b32 exec_lo, exec_lo, s5
	s_lshl_b64 s[6:7], s[24:25], 3
	s_delay_alu instid0(SALU_CYCLE_1) | instskip(SKIP_3) | instid1(VALU_DEP_1)
	s_add_u32 s5, s20, s6
	s_addc_u32 s6, s21, s7
	s_waitcnt vmcnt(3)
	v_add_co_u32 v5, s5, s5, v15
	v_add_co_ci_u32_e64 v6, null, s6, 0, s5
	s_delay_alu instid0(VALU_DEP_2) | instskip(NEXT) | instid1(VALU_DEP_1)
	v_add_co_u32 v9, s5, v5, v16
	v_add_co_ci_u32_e64 v10, s5, 0, v6, s5
                                        ; implicit-def: $vgpr5_vgpr6
	s_and_saveexec_b32 s5, vcc_lo
	s_cbranch_execnz .LBB74_54
; %bb.12:
	s_or_b32 exec_lo, exec_lo, s5
                                        ; implicit-def: $vgpr21_vgpr22
	s_and_saveexec_b32 s5, s2
	s_cbranch_execnz .LBB74_55
.LBB74_13:
	s_or_b32 exec_lo, exec_lo, s5
                                        ; implicit-def: $vgpr23_vgpr24
	s_and_saveexec_b32 s2, s3
	s_cbranch_execnz .LBB74_56
.LBB74_14:
	s_or_b32 exec_lo, exec_lo, s2
                                        ; implicit-def: $vgpr25_vgpr26
	s_and_saveexec_b32 s2, s4
	s_cbranch_execz .LBB74_16
.LBB74_15:
	global_load_b64 v[25:26], v[9:10], off offset:768
.LBB74_16:
	s_or_b32 exec_lo, exec_lo, s2
	v_mov_b32_e32 v17, v13
.LBB74_17:
	s_clause 0x1
	s_load_b32 s4, s[0:1], 0x3c
	s_load_b64 s[14:15], s[0:1], 0x28
	s_mov_b32 s20, 0
	s_waitcnt vmcnt(0)
	v_xor_b32_e32 v47, 0x7fffffff, v1
	s_mov_b32 s30, s20
	s_mov_b32 s31, s20
	v_add_nc_u32_e32 v16, -1, v7
	v_xor_b32_e32 v1, 0x7fffffff, v2
	v_xor_b32_e32 v2, 0x7fffffff, v3
	;; [unrolled: 1-line block ×3, first 2 shown]
	v_bfe_u32 v4, v0, 10, 10
	v_bfe_u32 v0, v0, 20, 10
	v_lshlrev_b32_e32 v36, 2, v11
	v_lshlrev_b32_e32 v37, 2, v12
	v_mov_b32_e32 v11, s30
	v_cmp_gt_i32_e32 vcc_lo, 0, v16
	v_and_b32_e32 v9, 0x3e0, v8
	v_lshrrev_b32_e32 v18, 3, v8
	v_dual_mov_b32 v12, s31 :: v_dual_and_b32 v15, 16, v7
	s_waitcnt lgkmcnt(0)
	s_lshr_b32 s3, s4, 16
	s_and_b32 s4, s4, 0xffff
	v_mad_u32_u24 v0, v0, s3, v4
	v_min_u32_e32 v4, 0xe0, v9
	v_and_b32_e32 v19, 7, v7
	v_and_b32_e32 v33, 0x7c, v18
	v_lshlrev_b32_e32 v35, 2, v17
	v_mad_u64_u32 v[9:10], null, v0, s4, v[8:9]
	v_cndmask_b32_e32 v0, v16, v7, vcc_lo
	v_or_b32_e32 v4, 31, v4
	v_lshlrev_b32_e32 v38, 2, v14
	s_mov_b32 s21, s20
	v_lshlrev_b32_e32 v28, 5, v8
	v_and_b32_e32 v13, 15, v7
	v_lshrrev_b32_e32 v32, 5, v9
	v_dual_mov_b32 v9, s20 :: v_dual_mov_b32 v10, s21
	v_cmp_gt_u32_e64 s0, 8, v8
	v_cmp_lt_u32_e64 s1, 31, v8
	v_add_nc_u32_e32 v29, 32, v28
	v_cmp_eq_u32_e64 s2, 0, v13
	v_cmp_lt_u32_e64 s3, 1, v13
	v_cmp_lt_u32_e64 s4, 3, v13
	;; [unrolled: 1-line block ×3, first 2 shown]
	v_cmp_eq_u32_e64 s6, 0, v15
	v_lshlrev_b32_e32 v31, 2, v0
	v_cmp_eq_u32_e64 s7, v4, v8
	v_cmp_eq_u32_e64 s8, 0, v7
	;; [unrolled: 1-line block ×3, first 2 shown]
	v_mul_i32_i24_e32 v30, 0xffffffe4, v8
	v_cmp_eq_u32_e64 s10, 0, v19
	v_cmp_lt_u32_e64 s11, 1, v19
	v_cmp_lt_u32_e64 s12, 3, v19
	v_add_nc_u32_e32 v34, -4, v33
	v_add_nc_u32_e32 v39, v35, v35
	v_add_nc_u32_e32 v40, v36, v36
	;; [unrolled: 1-line block ×4, first 2 shown]
	s_add_i32 s17, s15, s14
	s_branch .LBB74_19
.LBB74_18:                              ;   in Loop: Header=BB74_19 Depth=1
	v_lshl_add_u32 v5, v48, 2, v52
	v_lshl_add_u32 v6, v7, 2, v51
	v_lshl_add_u32 v21, v4, 2, v50
	v_lshl_add_u32 v22, v0, 2, v49
	s_barrier
	buffer_gl0_inv
	ds_store_b32 v52, v43
	ds_store_b32 v51, v46
	;; [unrolled: 1-line block ×4, first 2 shown]
	s_waitcnt lgkmcnt(0)
	s_barrier
	buffer_gl0_inv
	ds_load_b32 v47, v35
	ds_load_b32 v1, v36
	;; [unrolled: 1-line block ×4, first 2 shown]
	s_waitcnt lgkmcnt(0)
	s_barrier
	buffer_gl0_inv
	ds_store_b64 v5, v[19:20]
	ds_store_b64 v6, v[17:18]
	;; [unrolled: 1-line block ×4, first 2 shown]
	s_waitcnt lgkmcnt(0)
	s_barrier
	buffer_gl0_inv
	ds_load_b64 v[5:6], v39
	ds_load_b64 v[21:22], v40
	;; [unrolled: 1-line block ×4, first 2 shown]
	s_add_i32 s15, s15, -8
	s_waitcnt lgkmcnt(0)
	s_barrier
	buffer_gl0_inv
	s_cbranch_execz .LBB74_35
.LBB74_19:                              ; =>This Inner Loop Header: Depth=1
	s_min_u32 s13, s15, 8
	ds_store_2addr_b64 v28, v[9:10], v[11:12] offset0:4 offset1:5
	ds_store_2addr_b64 v29, v[9:10], v[11:12] offset0:2 offset1:3
	s_lshl_b32 s13, -1, s13
	s_waitcnt lgkmcnt(0)
	s_not_b32 s20, s13
	v_mov_b32_e32 v43, v47
	s_barrier
	buffer_gl0_inv
	; wave barrier
	v_lshrrev_b32_e32 v0, s14, v43
	v_dual_mov_b32 v45, v2 :: v_dual_mov_b32 v44, v3
	v_mov_b32_e32 v46, v1
	s_delay_alu instid0(VALU_DEP_3) | instskip(NEXT) | instid1(VALU_DEP_1)
	v_and_b32_e32 v4, s20, v0
	v_and_b32_e32 v0, 1, v4
	v_lshlrev_b32_e32 v7, 30, v4
	v_lshlrev_b32_e32 v13, 29, v4
	;; [unrolled: 1-line block ×4, first 2 shown]
	v_add_co_u32 v0, s13, v0, -1
	s_delay_alu instid0(VALU_DEP_1)
	v_cndmask_b32_e64 v15, 0, 1, s13
	v_not_b32_e32 v19, v7
	v_cmp_gt_i32_e64 s13, 0, v7
	v_not_b32_e32 v7, v13
	v_lshlrev_b32_e32 v16, 27, v4
	v_cmp_ne_u32_e32 vcc_lo, 0, v15
	v_ashrrev_i32_e32 v19, 31, v19
	v_lshlrev_b32_e32 v18, 25, v4
	v_ashrrev_i32_e32 v7, 31, v7
	v_lshlrev_b32_e32 v15, 24, v4
	v_xor_b32_e32 v0, vcc_lo, v0
	v_xor_b32_e32 v19, s13, v19
	v_cmp_gt_i32_e32 vcc_lo, 0, v13
	v_lshl_add_u32 v1, v4, 3, v32
	s_delay_alu instid0(VALU_DEP_4) | instskip(SKIP_2) | instid1(VALU_DEP_3)
	v_and_b32_e32 v0, exec_lo, v0
	v_xor_b32_e32 v7, vcc_lo, v7
	v_cmp_gt_i32_e32 vcc_lo, 0, v16
	v_and_b32_e32 v0, v0, v19
	v_dual_mov_b32 v20, v6 :: v_dual_mov_b32 v19, v5
	v_not_b32_e32 v13, v14
	v_cmp_gt_i32_e64 s13, 0, v14
	v_not_b32_e32 v14, v16
	v_not_b32_e32 v16, v17
	v_and_b32_e32 v0, v0, v7
	v_ashrrev_i32_e32 v13, 31, v13
	s_delay_alu instid0(VALU_DEP_4) | instskip(NEXT) | instid1(VALU_DEP_4)
	v_ashrrev_i32_e32 v14, 31, v14
	v_ashrrev_i32_e32 v16, 31, v16
	s_delay_alu instid0(VALU_DEP_3) | instskip(SKIP_1) | instid1(VALU_DEP_4)
	v_xor_b32_e32 v13, s13, v13
	v_cmp_gt_i32_e64 s13, 0, v17
	v_xor_b32_e32 v14, vcc_lo, v14
	s_delay_alu instid0(VALU_DEP_3) | instskip(NEXT) | instid1(VALU_DEP_3)
	v_and_b32_e32 v0, v0, v13
	v_xor_b32_e32 v16, s13, v16
	v_not_b32_e32 v13, v15
	v_cmp_gt_i32_e64 s13, 0, v15
	s_delay_alu instid0(VALU_DEP_4) | instskip(NEXT) | instid1(VALU_DEP_3)
	v_and_b32_e32 v0, v0, v14
	v_ashrrev_i32_e32 v13, 31, v13
	s_delay_alu instid0(VALU_DEP_2) | instskip(SKIP_2) | instid1(VALU_DEP_4)
	v_dual_mov_b32 v15, v23 :: v_dual_and_b32 v0, v0, v16
	v_not_b32_e32 v7, v18
	v_cmp_gt_i32_e32 vcc_lo, 0, v18
	v_xor_b32_e32 v13, s13, v13
	v_dual_mov_b32 v17, v21 :: v_dual_mov_b32 v18, v22
	s_delay_alu instid0(VALU_DEP_4) | instskip(SKIP_2) | instid1(VALU_DEP_3)
	v_ashrrev_i32_e32 v7, 31, v7
	v_mov_b32_e32 v16, v24
	v_lshl_add_u32 v22, v1, 2, 32
	v_xor_b32_e32 v7, vcc_lo, v7
	s_delay_alu instid0(VALU_DEP_1) | instskip(NEXT) | instid1(VALU_DEP_1)
	v_and_b32_e32 v0, v0, v7
	v_dual_mov_b32 v13, v25 :: v_dual_and_b32 v0, v0, v13
	v_mov_b32_e32 v14, v26
	s_delay_alu instid0(VALU_DEP_2) | instskip(SKIP_1) | instid1(VALU_DEP_2)
	v_mbcnt_lo_u32_b32 v21, v0, 0
	v_cmp_ne_u32_e64 s13, 0, v0
	v_cmp_eq_u32_e32 vcc_lo, 0, v21
	s_delay_alu instid0(VALU_DEP_2) | instskip(NEXT) | instid1(SALU_CYCLE_1)
	s_and_b32 s21, s13, vcc_lo
	s_and_saveexec_b32 s13, s21
	s_cbranch_execz .LBB74_21
; %bb.20:                               ;   in Loop: Header=BB74_19 Depth=1
	v_bcnt_u32_b32 v0, v0, 0
	ds_store_b32 v22, v0
.LBB74_21:                              ;   in Loop: Header=BB74_19 Depth=1
	s_or_b32 exec_lo, exec_lo, s13
	v_lshrrev_b32_e32 v0, s14, v46
	; wave barrier
	s_delay_alu instid0(VALU_DEP_1) | instskip(NEXT) | instid1(VALU_DEP_1)
	v_and_b32_e32 v0, s20, v0
	v_and_b32_e32 v1, 1, v0
	v_lshlrev_b32_e32 v2, 30, v0
	v_lshlrev_b32_e32 v3, 29, v0
	;; [unrolled: 1-line block ×4, first 2 shown]
	v_add_co_u32 v1, s13, v1, -1
	s_delay_alu instid0(VALU_DEP_1)
	v_cndmask_b32_e64 v5, 0, 1, s13
	v_not_b32_e32 v24, v2
	v_cmp_gt_i32_e64 s13, 0, v2
	v_not_b32_e32 v2, v3
	v_lshlrev_b32_e32 v7, 26, v0
	v_cmp_ne_u32_e32 vcc_lo, 0, v5
	v_ashrrev_i32_e32 v24, 31, v24
	v_lshlrev_b32_e32 v23, 25, v0
	v_ashrrev_i32_e32 v2, 31, v2
	v_lshlrev_b32_e32 v5, 24, v0
	v_xor_b32_e32 v1, vcc_lo, v1
	v_cmp_gt_i32_e32 vcc_lo, 0, v3
	v_not_b32_e32 v3, v4
	v_xor_b32_e32 v24, s13, v24
	v_cmp_gt_i32_e64 s13, 0, v4
	v_and_b32_e32 v1, exec_lo, v1
	v_not_b32_e32 v4, v6
	v_ashrrev_i32_e32 v3, 31, v3
	v_xor_b32_e32 v2, vcc_lo, v2
	v_cmp_gt_i32_e32 vcc_lo, 0, v6
	v_and_b32_e32 v1, v1, v24
	v_not_b32_e32 v6, v7
	v_ashrrev_i32_e32 v4, 31, v4
	v_xor_b32_e32 v3, s13, v3
	v_cmp_gt_i32_e64 s13, 0, v7
	v_and_b32_e32 v1, v1, v2
	v_not_b32_e32 v2, v23
	v_ashrrev_i32_e32 v6, 31, v6
	v_xor_b32_e32 v4, vcc_lo, v4
	v_cmp_gt_i32_e32 vcc_lo, 0, v23
	v_and_b32_e32 v1, v1, v3
	v_not_b32_e32 v3, v5
	v_ashrrev_i32_e32 v2, 31, v2
	v_xor_b32_e32 v6, s13, v6
	v_lshlrev_b32_e32 v0, 3, v0
	v_and_b32_e32 v1, v1, v4
	v_cmp_gt_i32_e64 s13, 0, v5
	v_ashrrev_i32_e32 v3, 31, v3
	v_xor_b32_e32 v2, vcc_lo, v2
	v_add_lshl_u32 v4, v0, v32, 2
	v_and_b32_e32 v1, v1, v6
	s_delay_alu instid0(VALU_DEP_4) | instskip(SKIP_3) | instid1(VALU_DEP_2)
	v_xor_b32_e32 v0, s13, v3
	ds_load_b32 v23, v4 offset:32
	v_and_b32_e32 v1, v1, v2
	v_add_nc_u32_e32 v25, 32, v4
	; wave barrier
	v_and_b32_e32 v0, v1, v0
	s_delay_alu instid0(VALU_DEP_1) | instskip(SKIP_1) | instid1(VALU_DEP_2)
	v_mbcnt_lo_u32_b32 v24, v0, 0
	v_cmp_ne_u32_e64 s13, 0, v0
	v_cmp_eq_u32_e32 vcc_lo, 0, v24
	s_delay_alu instid0(VALU_DEP_2) | instskip(NEXT) | instid1(SALU_CYCLE_1)
	s_and_b32 s21, s13, vcc_lo
	s_and_saveexec_b32 s13, s21
	s_cbranch_execz .LBB74_23
; %bb.22:                               ;   in Loop: Header=BB74_19 Depth=1
	s_waitcnt lgkmcnt(0)
	v_bcnt_u32_b32 v0, v0, v23
	ds_store_b32 v25, v0
.LBB74_23:                              ;   in Loop: Header=BB74_19 Depth=1
	s_or_b32 exec_lo, exec_lo, s13
	v_lshrrev_b32_e32 v0, s14, v45
	; wave barrier
	s_delay_alu instid0(VALU_DEP_1) | instskip(NEXT) | instid1(VALU_DEP_1)
	v_and_b32_e32 v0, s20, v0
	v_and_b32_e32 v1, 1, v0
	v_lshlrev_b32_e32 v2, 30, v0
	v_lshlrev_b32_e32 v3, 29, v0
	;; [unrolled: 1-line block ×4, first 2 shown]
	v_add_co_u32 v1, s13, v1, -1
	s_delay_alu instid0(VALU_DEP_1)
	v_cndmask_b32_e64 v5, 0, 1, s13
	v_not_b32_e32 v47, v2
	v_cmp_gt_i32_e64 s13, 0, v2
	v_not_b32_e32 v2, v3
	v_lshlrev_b32_e32 v7, 26, v0
	v_cmp_ne_u32_e32 vcc_lo, 0, v5
	v_ashrrev_i32_e32 v47, 31, v47
	v_lshlrev_b32_e32 v26, 25, v0
	v_ashrrev_i32_e32 v2, 31, v2
	v_lshlrev_b32_e32 v5, 24, v0
	v_xor_b32_e32 v1, vcc_lo, v1
	v_cmp_gt_i32_e32 vcc_lo, 0, v3
	v_not_b32_e32 v3, v4
	v_xor_b32_e32 v47, s13, v47
	v_cmp_gt_i32_e64 s13, 0, v4
	v_and_b32_e32 v1, exec_lo, v1
	v_not_b32_e32 v4, v6
	v_ashrrev_i32_e32 v3, 31, v3
	v_xor_b32_e32 v2, vcc_lo, v2
	v_cmp_gt_i32_e32 vcc_lo, 0, v6
	v_and_b32_e32 v1, v1, v47
	v_not_b32_e32 v6, v7
	v_ashrrev_i32_e32 v4, 31, v4
	v_xor_b32_e32 v3, s13, v3
	v_cmp_gt_i32_e64 s13, 0, v7
	v_and_b32_e32 v1, v1, v2
	v_not_b32_e32 v2, v26
	v_ashrrev_i32_e32 v6, 31, v6
	v_xor_b32_e32 v4, vcc_lo, v4
	v_cmp_gt_i32_e32 vcc_lo, 0, v26
	v_and_b32_e32 v1, v1, v3
	v_not_b32_e32 v3, v5
	v_ashrrev_i32_e32 v2, 31, v2
	v_xor_b32_e32 v6, s13, v6
	v_lshlrev_b32_e32 v0, 3, v0
	v_and_b32_e32 v1, v1, v4
	v_cmp_gt_i32_e64 s13, 0, v5
	v_ashrrev_i32_e32 v3, 31, v3
	v_xor_b32_e32 v2, vcc_lo, v2
	v_add_lshl_u32 v4, v0, v32, 2
	v_and_b32_e32 v1, v1, v6
	s_delay_alu instid0(VALU_DEP_4) | instskip(SKIP_3) | instid1(VALU_DEP_2)
	v_xor_b32_e32 v0, s13, v3
	ds_load_b32 v26, v4 offset:32
	v_and_b32_e32 v1, v1, v2
	v_add_nc_u32_e32 v48, 32, v4
	; wave barrier
	v_and_b32_e32 v0, v1, v0
	s_delay_alu instid0(VALU_DEP_1) | instskip(SKIP_1) | instid1(VALU_DEP_2)
	v_mbcnt_lo_u32_b32 v47, v0, 0
	v_cmp_ne_u32_e64 s13, 0, v0
	v_cmp_eq_u32_e32 vcc_lo, 0, v47
	s_delay_alu instid0(VALU_DEP_2) | instskip(NEXT) | instid1(SALU_CYCLE_1)
	s_and_b32 s21, s13, vcc_lo
	s_and_saveexec_b32 s13, s21
	s_cbranch_execz .LBB74_25
; %bb.24:                               ;   in Loop: Header=BB74_19 Depth=1
	s_waitcnt lgkmcnt(0)
	v_bcnt_u32_b32 v0, v0, v26
	ds_store_b32 v48, v0
.LBB74_25:                              ;   in Loop: Header=BB74_19 Depth=1
	s_or_b32 exec_lo, exec_lo, s13
	v_lshrrev_b32_e32 v0, s14, v44
	; wave barrier
	s_delay_alu instid0(VALU_DEP_1) | instskip(NEXT) | instid1(VALU_DEP_1)
	v_and_b32_e32 v0, s20, v0
	v_and_b32_e32 v1, 1, v0
	v_lshlrev_b32_e32 v2, 30, v0
	v_lshlrev_b32_e32 v3, 29, v0
	;; [unrolled: 1-line block ×4, first 2 shown]
	v_add_co_u32 v1, s13, v1, -1
	s_delay_alu instid0(VALU_DEP_1)
	v_cndmask_b32_e64 v5, 0, 1, s13
	v_not_b32_e32 v50, v2
	v_cmp_gt_i32_e64 s13, 0, v2
	v_not_b32_e32 v2, v3
	v_lshlrev_b32_e32 v7, 26, v0
	v_cmp_ne_u32_e32 vcc_lo, 0, v5
	v_ashrrev_i32_e32 v50, 31, v50
	v_lshlrev_b32_e32 v49, 25, v0
	v_ashrrev_i32_e32 v2, 31, v2
	v_lshlrev_b32_e32 v5, 24, v0
	v_xor_b32_e32 v1, vcc_lo, v1
	v_cmp_gt_i32_e32 vcc_lo, 0, v3
	v_not_b32_e32 v3, v4
	v_xor_b32_e32 v50, s13, v50
	v_cmp_gt_i32_e64 s13, 0, v4
	v_and_b32_e32 v1, exec_lo, v1
	v_not_b32_e32 v4, v6
	v_ashrrev_i32_e32 v3, 31, v3
	v_xor_b32_e32 v2, vcc_lo, v2
	v_cmp_gt_i32_e32 vcc_lo, 0, v6
	v_and_b32_e32 v1, v1, v50
	v_not_b32_e32 v6, v7
	v_ashrrev_i32_e32 v4, 31, v4
	v_xor_b32_e32 v3, s13, v3
	v_cmp_gt_i32_e64 s13, 0, v7
	v_and_b32_e32 v1, v1, v2
	v_not_b32_e32 v2, v49
	v_ashrrev_i32_e32 v6, 31, v6
	v_xor_b32_e32 v4, vcc_lo, v4
	v_cmp_gt_i32_e32 vcc_lo, 0, v49
	v_and_b32_e32 v1, v1, v3
	v_not_b32_e32 v3, v5
	v_ashrrev_i32_e32 v2, 31, v2
	v_xor_b32_e32 v6, s13, v6
	v_lshlrev_b32_e32 v0, 3, v0
	v_and_b32_e32 v1, v1, v4
	v_cmp_gt_i32_e64 s13, 0, v5
	v_ashrrev_i32_e32 v3, 31, v3
	v_xor_b32_e32 v2, vcc_lo, v2
	v_add_lshl_u32 v4, v0, v32, 2
	v_and_b32_e32 v1, v1, v6
	s_delay_alu instid0(VALU_DEP_4) | instskip(SKIP_3) | instid1(VALU_DEP_2)
	v_xor_b32_e32 v0, s13, v3
	ds_load_b32 v49, v4 offset:32
	v_and_b32_e32 v1, v1, v2
	v_add_nc_u32_e32 v51, 32, v4
	; wave barrier
	v_and_b32_e32 v0, v1, v0
	s_delay_alu instid0(VALU_DEP_1) | instskip(SKIP_1) | instid1(VALU_DEP_2)
	v_mbcnt_lo_u32_b32 v50, v0, 0
	v_cmp_ne_u32_e64 s13, 0, v0
	v_cmp_eq_u32_e32 vcc_lo, 0, v50
	s_delay_alu instid0(VALU_DEP_2) | instskip(NEXT) | instid1(SALU_CYCLE_1)
	s_and_b32 s20, s13, vcc_lo
	s_and_saveexec_b32 s13, s20
	s_cbranch_execz .LBB74_27
; %bb.26:                               ;   in Loop: Header=BB74_19 Depth=1
	s_waitcnt lgkmcnt(0)
	v_bcnt_u32_b32 v0, v0, v49
	ds_store_b32 v51, v0
.LBB74_27:                              ;   in Loop: Header=BB74_19 Depth=1
	s_or_b32 exec_lo, exec_lo, s13
	; wave barrier
	s_waitcnt lgkmcnt(0)
	s_barrier
	buffer_gl0_inv
	ds_load_2addr_b64 v[4:7], v28 offset0:4 offset1:5
	ds_load_2addr_b64 v[0:3], v29 offset0:2 offset1:3
	s_waitcnt lgkmcnt(1)
	v_add_nc_u32_e32 v52, v5, v4
	s_delay_alu instid0(VALU_DEP_1) | instskip(SKIP_1) | instid1(VALU_DEP_1)
	v_add3_u32 v52, v52, v6, v7
	s_waitcnt lgkmcnt(0)
	v_add3_u32 v52, v52, v0, v1
	s_delay_alu instid0(VALU_DEP_1) | instskip(NEXT) | instid1(VALU_DEP_1)
	v_add3_u32 v3, v52, v2, v3
	v_mov_b32_dpp v52, v3 row_shr:1 row_mask:0xf bank_mask:0xf
	s_delay_alu instid0(VALU_DEP_1) | instskip(NEXT) | instid1(VALU_DEP_1)
	v_cndmask_b32_e64 v52, v52, 0, s2
	v_add_nc_u32_e32 v3, v52, v3
	s_delay_alu instid0(VALU_DEP_1) | instskip(NEXT) | instid1(VALU_DEP_1)
	v_mov_b32_dpp v52, v3 row_shr:2 row_mask:0xf bank_mask:0xf
	v_cndmask_b32_e64 v52, 0, v52, s3
	s_delay_alu instid0(VALU_DEP_1) | instskip(NEXT) | instid1(VALU_DEP_1)
	v_add_nc_u32_e32 v3, v3, v52
	v_mov_b32_dpp v52, v3 row_shr:4 row_mask:0xf bank_mask:0xf
	s_delay_alu instid0(VALU_DEP_1) | instskip(NEXT) | instid1(VALU_DEP_1)
	v_cndmask_b32_e64 v52, 0, v52, s4
	v_add_nc_u32_e32 v3, v3, v52
	s_delay_alu instid0(VALU_DEP_1) | instskip(NEXT) | instid1(VALU_DEP_1)
	v_mov_b32_dpp v52, v3 row_shr:8 row_mask:0xf bank_mask:0xf
	v_cndmask_b32_e64 v52, 0, v52, s5
	s_delay_alu instid0(VALU_DEP_1) | instskip(SKIP_3) | instid1(VALU_DEP_1)
	v_add_nc_u32_e32 v3, v3, v52
	ds_swizzle_b32 v52, v3 offset:swizzle(BROADCAST,32,15)
	s_waitcnt lgkmcnt(0)
	v_cndmask_b32_e64 v52, v52, 0, s6
	v_add_nc_u32_e32 v3, v3, v52
	s_and_saveexec_b32 s13, s7
	s_cbranch_execz .LBB74_29
; %bb.28:                               ;   in Loop: Header=BB74_19 Depth=1
	ds_store_b32 v33, v3
.LBB74_29:                              ;   in Loop: Header=BB74_19 Depth=1
	s_or_b32 exec_lo, exec_lo, s13
	s_waitcnt lgkmcnt(0)
	s_barrier
	buffer_gl0_inv
	s_and_saveexec_b32 s13, s0
	s_cbranch_execz .LBB74_31
; %bb.30:                               ;   in Loop: Header=BB74_19 Depth=1
	v_add_nc_u32_e32 v52, v28, v30
	ds_load_b32 v53, v52
	s_waitcnt lgkmcnt(0)
	v_mov_b32_dpp v54, v53 row_shr:1 row_mask:0xf bank_mask:0xf
	s_delay_alu instid0(VALU_DEP_1) | instskip(NEXT) | instid1(VALU_DEP_1)
	v_cndmask_b32_e64 v54, v54, 0, s10
	v_add_nc_u32_e32 v53, v54, v53
	s_delay_alu instid0(VALU_DEP_1) | instskip(NEXT) | instid1(VALU_DEP_1)
	v_mov_b32_dpp v54, v53 row_shr:2 row_mask:0xf bank_mask:0xf
	v_cndmask_b32_e64 v54, 0, v54, s11
	s_delay_alu instid0(VALU_DEP_1) | instskip(NEXT) | instid1(VALU_DEP_1)
	v_add_nc_u32_e32 v53, v53, v54
	v_mov_b32_dpp v54, v53 row_shr:4 row_mask:0xf bank_mask:0xf
	s_delay_alu instid0(VALU_DEP_1) | instskip(NEXT) | instid1(VALU_DEP_1)
	v_cndmask_b32_e64 v54, 0, v54, s12
	v_add_nc_u32_e32 v53, v53, v54
	ds_store_b32 v52, v53
.LBB74_31:                              ;   in Loop: Header=BB74_19 Depth=1
	s_or_b32 exec_lo, exec_lo, s13
	v_mov_b32_e32 v52, 0
	s_waitcnt lgkmcnt(0)
	s_barrier
	buffer_gl0_inv
	s_and_saveexec_b32 s13, s1
	s_cbranch_execz .LBB74_33
; %bb.32:                               ;   in Loop: Header=BB74_19 Depth=1
	ds_load_b32 v52, v34
.LBB74_33:                              ;   in Loop: Header=BB74_19 Depth=1
	s_or_b32 exec_lo, exec_lo, s13
	s_waitcnt lgkmcnt(0)
	v_add_nc_u32_e32 v3, v52, v3
	s_add_i32 s14, s14, 8
	s_delay_alu instid0(SALU_CYCLE_1) | instskip(SKIP_3) | instid1(VALU_DEP_1)
	s_cmp_ge_u32 s14, s17
	ds_bpermute_b32 v3, v31, v3
	s_waitcnt lgkmcnt(0)
	v_cndmask_b32_e64 v3, v3, v52, s8
	v_cndmask_b32_e64 v3, v3, 0, s9
	s_delay_alu instid0(VALU_DEP_1) | instskip(NEXT) | instid1(VALU_DEP_1)
	v_add_nc_u32_e32 v4, v3, v4
	v_add_nc_u32_e32 v5, v4, v5
	s_delay_alu instid0(VALU_DEP_1) | instskip(NEXT) | instid1(VALU_DEP_1)
	v_add_nc_u32_e32 v6, v5, v6
	v_add_nc_u32_e32 v52, v6, v7
	;; [unrolled: 3-line block ×3, first 2 shown]
	s_delay_alu instid0(VALU_DEP_1)
	v_add_nc_u32_e32 v1, v0, v2
	ds_store_2addr_b64 v28, v[3:4], v[5:6] offset0:4 offset1:5
	ds_store_2addr_b64 v29, v[52:53], v[0:1] offset0:2 offset1:3
	s_waitcnt lgkmcnt(0)
	s_barrier
	buffer_gl0_inv
	ds_load_b32 v0, v22
	ds_load_b32 v1, v25
	;; [unrolled: 1-line block ×4, first 2 shown]
	s_waitcnt lgkmcnt(0)
	v_add_nc_u32_e32 v48, v0, v21
	v_add3_u32 v7, v24, v23, v1
	v_add3_u32 v4, v47, v26, v2
	;; [unrolled: 1-line block ×3, first 2 shown]
	s_delay_alu instid0(VALU_DEP_4) | instskip(NEXT) | instid1(VALU_DEP_4)
	v_lshlrev_b32_e32 v52, 2, v48
	v_lshlrev_b32_e32 v51, 2, v7
	s_delay_alu instid0(VALU_DEP_4) | instskip(NEXT) | instid1(VALU_DEP_4)
	v_lshlrev_b32_e32 v50, 2, v4
	v_lshlrev_b32_e32 v49, 2, v0
	s_cbranch_scc0 .LBB74_18
; %bb.34:
                                        ; implicit-def: $vgpr3
                                        ; implicit-def: $vgpr2
                                        ; implicit-def: $vgpr1
                                        ; implicit-def: $vgpr47
                                        ; implicit-def: $sgpr14
                                        ; implicit-def: $vgpr5_vgpr6
                                        ; implicit-def: $vgpr21_vgpr22
                                        ; implicit-def: $vgpr23_vgpr24
                                        ; implicit-def: $vgpr25_vgpr26
.LBB74_35:
	v_add_nc_u32_e32 v1, v28, v30
	s_barrier
	buffer_gl0_inv
	ds_store_b32 v52, v43
	ds_store_b32 v51, v46
	;; [unrolled: 1-line block ×4, first 2 shown]
	s_waitcnt lgkmcnt(0)
	s_barrier
	buffer_gl0_inv
	ds_load_2addr_stride64_b32 v[9:10], v27 offset0:4 offset1:8
	ds_load_b32 v11, v1
	ds_load_b32 v12, v27 offset:3072
	v_lshl_add_u32 v1, v48, 2, v52
	v_lshl_add_u32 v2, v7, 2, v51
	;; [unrolled: 1-line block ×3, first 2 shown]
	s_waitcnt lgkmcnt(0)
	s_barrier
	buffer_gl0_inv
	v_lshl_add_u32 v0, v0, 2, v49
	ds_store_b64 v1, v[19:20]
	ds_store_b64 v2, v[17:18]
	;; [unrolled: 1-line block ×3, first 2 shown]
	v_add_nc_u32_e32 v1, v27, v27
	s_add_u32 s0, s18, s26
	s_addc_u32 s1, s19, s27
	ds_store_b64 v0, v[13:14]
	s_waitcnt lgkmcnt(0)
	s_barrier
	buffer_gl0_inv
	ds_load_2addr_stride64_b64 v[4:7], v1 offset1:4
	ds_load_2addr_stride64_b64 v[0:3], v1 offset0:8 offset1:12
	s_mov_b32 s2, 0
	v_xor_b32_e32 v13, 0x7fffffff, v9
	v_add_co_u32 v9, s0, s0, v27
	v_xor_b32_e32 v15, 0x7fffffff, v11
	v_xor_b32_e32 v14, 0x7fffffff, v10
	;; [unrolled: 1-line block ×3, first 2 shown]
	v_add_co_ci_u32_e64 v10, null, s1, 0, s0
	v_lshlrev_b32_e32 v11, 3, v8
	s_and_not1_b32 vcc_lo, exec_lo, s28
	s_mov_b32 s0, -1
	s_cbranch_vccz .LBB74_39
; %bb.36:
	s_and_not1_b32 vcc_lo, exec_lo, s0
	s_cbranch_vccz .LBB74_40
.LBB74_37:
	s_and_saveexec_b32 s0, s2
	s_cbranch_execnz .LBB74_53
.LBB74_38:
	s_nop 0
	s_sendmsg sendmsg(MSG_DEALLOC_VGPRS)
	s_endpgm
.LBB74_39:
	s_lshl_b64 s[0:1], s[24:25], 3
	s_mov_b32 s2, -1
	s_add_u32 s4, s22, s0
	s_addc_u32 s5, s23, s1
	v_add_co_u32 v16, s0, s4, v11
	s_delay_alu instid0(VALU_DEP_1) | instskip(NEXT) | instid1(VALU_DEP_2)
	v_add_co_ci_u32_e64 v17, null, s5, 0, s0
	v_add_co_u32 v16, vcc_lo, 0x1000, v16
	s_delay_alu instid0(VALU_DEP_2)
	v_add_co_ci_u32_e32 v17, vcc_lo, 0, v17, vcc_lo
	s_clause 0x3
	global_store_b32 v[9:10], v15, off
	global_store_b32 v[9:10], v13, off offset:1024
	global_store_b32 v[9:10], v14, off offset:2048
	;; [unrolled: 1-line block ×3, first 2 shown]
	s_waitcnt lgkmcnt(1)
	s_clause 0x1
	global_store_b64 v11, v[6:7], s[4:5] offset:2048
	global_store_b64 v11, v[4:5], s[4:5]
	s_waitcnt lgkmcnt(0)
	global_store_b64 v[16:17], v[0:1], off
	s_cbranch_execnz .LBB74_37
.LBB74_40:
	v_cmp_gt_u32_e32 vcc_lo, s16, v8
	s_and_saveexec_b32 s0, vcc_lo
	s_cbranch_execz .LBB74_42
; %bb.41:
	global_store_b32 v[9:10], v15, off
.LBB74_42:
	s_or_b32 exec_lo, exec_lo, s0
	v_add_nc_u32_e32 v15, 0x100, v8
	s_delay_alu instid0(VALU_DEP_1) | instskip(NEXT) | instid1(VALU_DEP_1)
	v_cmp_gt_u32_e64 s0, s16, v15
	s_and_saveexec_b32 s1, s0
	s_cbranch_execz .LBB74_44
; %bb.43:
	global_store_b32 v[9:10], v13, off offset:1024
.LBB74_44:
	s_or_b32 exec_lo, exec_lo, s1
	v_add_nc_u32_e32 v13, 0x200, v8
	s_delay_alu instid0(VALU_DEP_1) | instskip(NEXT) | instid1(VALU_DEP_1)
	v_cmp_gt_u32_e64 s1, s16, v13
	s_and_saveexec_b32 s2, s1
	s_cbranch_execz .LBB74_46
; %bb.45:
	global_store_b32 v[9:10], v14, off offset:2048
.LBB74_46:
	;; [unrolled: 9-line block ×3, first 2 shown]
	s_or_b32 exec_lo, exec_lo, s3
	s_lshl_b64 s[4:5], s[24:25], 3
	s_delay_alu instid0(SALU_CYCLE_1) | instskip(SKIP_2) | instid1(VALU_DEP_1)
	s_add_u32 s3, s22, s4
	s_addc_u32 s4, s23, s5
	v_add_co_u32 v8, s3, s3, v11
	v_add_co_ci_u32_e64 v9, null, s4, 0, s3
	s_and_saveexec_b32 s3, vcc_lo
	s_cbranch_execnz .LBB74_57
; %bb.49:
	s_or_b32 exec_lo, exec_lo, s3
	s_and_saveexec_b32 s3, s0
	s_cbranch_execnz .LBB74_58
.LBB74_50:
	s_or_b32 exec_lo, exec_lo, s3
	s_and_saveexec_b32 s0, s1
	s_cbranch_execz .LBB74_52
.LBB74_51:
	s_waitcnt lgkmcnt(1)
	v_add_co_u32 v4, vcc_lo, 0x1000, v8
	v_add_co_ci_u32_e32 v5, vcc_lo, 0, v9, vcc_lo
	s_waitcnt lgkmcnt(0)
	global_store_b64 v[4:5], v[0:1], off
.LBB74_52:
	s_or_b32 exec_lo, exec_lo, s0
	s_and_saveexec_b32 s0, s2
	s_cbranch_execz .LBB74_38
.LBB74_53:
	s_lshl_b64 s[0:1], s[24:25], 3
	s_delay_alu instid0(SALU_CYCLE_1) | instskip(SKIP_3) | instid1(VALU_DEP_1)
	s_add_u32 s0, s22, s0
	s_addc_u32 s1, s23, s1
	s_waitcnt lgkmcnt(0)
	v_add_co_u32 v0, s0, s0, v11
	v_add_co_ci_u32_e64 v1, null, s1, 0, s0
	s_delay_alu instid0(VALU_DEP_2) | instskip(NEXT) | instid1(VALU_DEP_2)
	v_add_co_u32 v0, vcc_lo, 0x1000, v0
	v_add_co_ci_u32_e32 v1, vcc_lo, 0, v1, vcc_lo
	global_store_b64 v[0:1], v[2:3], off offset:2048
	s_nop 0
	s_sendmsg sendmsg(MSG_DEALLOC_VGPRS)
	s_endpgm
.LBB74_54:
	global_load_b64 v[5:6], v[9:10], off
	s_or_b32 exec_lo, exec_lo, s5
                                        ; implicit-def: $vgpr21_vgpr22
	s_and_saveexec_b32 s5, s2
	s_cbranch_execz .LBB74_13
.LBB74_55:
	global_load_b64 v[21:22], v[9:10], off offset:256
	s_or_b32 exec_lo, exec_lo, s5
                                        ; implicit-def: $vgpr23_vgpr24
	s_and_saveexec_b32 s2, s3
	s_cbranch_execz .LBB74_14
.LBB74_56:
	global_load_b64 v[23:24], v[9:10], off offset:512
	s_or_b32 exec_lo, exec_lo, s2
                                        ; implicit-def: $vgpr25_vgpr26
	s_and_saveexec_b32 s2, s4
	s_cbranch_execnz .LBB74_15
	s_branch .LBB74_16
.LBB74_57:
	s_waitcnt lgkmcnt(1)
	global_store_b64 v[8:9], v[4:5], off
	s_or_b32 exec_lo, exec_lo, s3
	s_and_saveexec_b32 s3, s0
	s_cbranch_execz .LBB74_50
.LBB74_58:
	s_waitcnt lgkmcnt(1)
	global_store_b64 v[8:9], v[6:7], off offset:2048
	s_or_b32 exec_lo, exec_lo, s3
	s_and_saveexec_b32 s0, s1
	s_cbranch_execnz .LBB74_51
	s_branch .LBB74_52
	.section	.rodata,"a",@progbits
	.p2align	6, 0x0
	.amdhsa_kernel _ZN7rocprim17ROCPRIM_304000_NS6detail28radix_sort_block_sort_kernelINS1_36wrapped_radix_sort_block_sort_configINS0_13kernel_configILj256ELj4ELj4294967295EEEiN2at4cuda3cub6detail10OpaqueTypeILi8EEEEELb1EPKiPiPKSB_PSB_NS0_19identity_decomposerEEEvT1_T2_T3_T4_jT5_jj
		.amdhsa_group_segment_fixed_size 8224
		.amdhsa_private_segment_fixed_size 0
		.amdhsa_kernarg_size 304
		.amdhsa_user_sgpr_count 15
		.amdhsa_user_sgpr_dispatch_ptr 0
		.amdhsa_user_sgpr_queue_ptr 0
		.amdhsa_user_sgpr_kernarg_segment_ptr 1
		.amdhsa_user_sgpr_dispatch_id 0
		.amdhsa_user_sgpr_private_segment_size 0
		.amdhsa_wavefront_size32 1
		.amdhsa_uses_dynamic_stack 0
		.amdhsa_enable_private_segment 0
		.amdhsa_system_sgpr_workgroup_id_x 1
		.amdhsa_system_sgpr_workgroup_id_y 0
		.amdhsa_system_sgpr_workgroup_id_z 0
		.amdhsa_system_sgpr_workgroup_info 0
		.amdhsa_system_vgpr_workitem_id 2
		.amdhsa_next_free_vgpr 55
		.amdhsa_next_free_sgpr 32
		.amdhsa_reserve_vcc 1
		.amdhsa_float_round_mode_32 0
		.amdhsa_float_round_mode_16_64 0
		.amdhsa_float_denorm_mode_32 3
		.amdhsa_float_denorm_mode_16_64 3
		.amdhsa_dx10_clamp 1
		.amdhsa_ieee_mode 1
		.amdhsa_fp16_overflow 0
		.amdhsa_workgroup_processor_mode 1
		.amdhsa_memory_ordered 1
		.amdhsa_forward_progress 0
		.amdhsa_shared_vgpr_count 0
		.amdhsa_exception_fp_ieee_invalid_op 0
		.amdhsa_exception_fp_denorm_src 0
		.amdhsa_exception_fp_ieee_div_zero 0
		.amdhsa_exception_fp_ieee_overflow 0
		.amdhsa_exception_fp_ieee_underflow 0
		.amdhsa_exception_fp_ieee_inexact 0
		.amdhsa_exception_int_div_zero 0
	.end_amdhsa_kernel
	.section	.text._ZN7rocprim17ROCPRIM_304000_NS6detail28radix_sort_block_sort_kernelINS1_36wrapped_radix_sort_block_sort_configINS0_13kernel_configILj256ELj4ELj4294967295EEEiN2at4cuda3cub6detail10OpaqueTypeILi8EEEEELb1EPKiPiPKSB_PSB_NS0_19identity_decomposerEEEvT1_T2_T3_T4_jT5_jj,"axG",@progbits,_ZN7rocprim17ROCPRIM_304000_NS6detail28radix_sort_block_sort_kernelINS1_36wrapped_radix_sort_block_sort_configINS0_13kernel_configILj256ELj4ELj4294967295EEEiN2at4cuda3cub6detail10OpaqueTypeILi8EEEEELb1EPKiPiPKSB_PSB_NS0_19identity_decomposerEEEvT1_T2_T3_T4_jT5_jj,comdat
.Lfunc_end74:
	.size	_ZN7rocprim17ROCPRIM_304000_NS6detail28radix_sort_block_sort_kernelINS1_36wrapped_radix_sort_block_sort_configINS0_13kernel_configILj256ELj4ELj4294967295EEEiN2at4cuda3cub6detail10OpaqueTypeILi8EEEEELb1EPKiPiPKSB_PSB_NS0_19identity_decomposerEEEvT1_T2_T3_T4_jT5_jj, .Lfunc_end74-_ZN7rocprim17ROCPRIM_304000_NS6detail28radix_sort_block_sort_kernelINS1_36wrapped_radix_sort_block_sort_configINS0_13kernel_configILj256ELj4ELj4294967295EEEiN2at4cuda3cub6detail10OpaqueTypeILi8EEEEELb1EPKiPiPKSB_PSB_NS0_19identity_decomposerEEEvT1_T2_T3_T4_jT5_jj
                                        ; -- End function
	.section	.AMDGPU.csdata,"",@progbits
; Kernel info:
; codeLenInByte = 4148
; NumSgprs: 34
; NumVgprs: 55
; ScratchSize: 0
; MemoryBound: 0
; FloatMode: 240
; IeeeMode: 1
; LDSByteSize: 8224 bytes/workgroup (compile time only)
; SGPRBlocks: 4
; VGPRBlocks: 6
; NumSGPRsForWavesPerEU: 34
; NumVGPRsForWavesPerEU: 55
; Occupancy: 16
; WaveLimiterHint : 1
; COMPUTE_PGM_RSRC2:SCRATCH_EN: 0
; COMPUTE_PGM_RSRC2:USER_SGPR: 15
; COMPUTE_PGM_RSRC2:TRAP_HANDLER: 0
; COMPUTE_PGM_RSRC2:TGID_X_EN: 1
; COMPUTE_PGM_RSRC2:TGID_Y_EN: 0
; COMPUTE_PGM_RSRC2:TGID_Z_EN: 0
; COMPUTE_PGM_RSRC2:TIDIG_COMP_CNT: 2
	.section	.text._ZN7rocprim17ROCPRIM_304000_NS6detail39device_merge_sort_compile_time_verifierINS1_36wrapped_merge_sort_block_sort_configINS1_28merge_sort_block_sort_configILj256ELj4ELNS0_20block_sort_algorithmE0EEEiN2at4cuda3cub6detail10OpaqueTypeILi8EEEEENS1_37wrapped_merge_sort_block_merge_configINS0_14default_configEiSC_EEEEvv,"axG",@progbits,_ZN7rocprim17ROCPRIM_304000_NS6detail39device_merge_sort_compile_time_verifierINS1_36wrapped_merge_sort_block_sort_configINS1_28merge_sort_block_sort_configILj256ELj4ELNS0_20block_sort_algorithmE0EEEiN2at4cuda3cub6detail10OpaqueTypeILi8EEEEENS1_37wrapped_merge_sort_block_merge_configINS0_14default_configEiSC_EEEEvv,comdat
	.protected	_ZN7rocprim17ROCPRIM_304000_NS6detail39device_merge_sort_compile_time_verifierINS1_36wrapped_merge_sort_block_sort_configINS1_28merge_sort_block_sort_configILj256ELj4ELNS0_20block_sort_algorithmE0EEEiN2at4cuda3cub6detail10OpaqueTypeILi8EEEEENS1_37wrapped_merge_sort_block_merge_configINS0_14default_configEiSC_EEEEvv ; -- Begin function _ZN7rocprim17ROCPRIM_304000_NS6detail39device_merge_sort_compile_time_verifierINS1_36wrapped_merge_sort_block_sort_configINS1_28merge_sort_block_sort_configILj256ELj4ELNS0_20block_sort_algorithmE0EEEiN2at4cuda3cub6detail10OpaqueTypeILi8EEEEENS1_37wrapped_merge_sort_block_merge_configINS0_14default_configEiSC_EEEEvv
	.globl	_ZN7rocprim17ROCPRIM_304000_NS6detail39device_merge_sort_compile_time_verifierINS1_36wrapped_merge_sort_block_sort_configINS1_28merge_sort_block_sort_configILj256ELj4ELNS0_20block_sort_algorithmE0EEEiN2at4cuda3cub6detail10OpaqueTypeILi8EEEEENS1_37wrapped_merge_sort_block_merge_configINS0_14default_configEiSC_EEEEvv
	.p2align	8
	.type	_ZN7rocprim17ROCPRIM_304000_NS6detail39device_merge_sort_compile_time_verifierINS1_36wrapped_merge_sort_block_sort_configINS1_28merge_sort_block_sort_configILj256ELj4ELNS0_20block_sort_algorithmE0EEEiN2at4cuda3cub6detail10OpaqueTypeILi8EEEEENS1_37wrapped_merge_sort_block_merge_configINS0_14default_configEiSC_EEEEvv,@function
_ZN7rocprim17ROCPRIM_304000_NS6detail39device_merge_sort_compile_time_verifierINS1_36wrapped_merge_sort_block_sort_configINS1_28merge_sort_block_sort_configILj256ELj4ELNS0_20block_sort_algorithmE0EEEiN2at4cuda3cub6detail10OpaqueTypeILi8EEEEENS1_37wrapped_merge_sort_block_merge_configINS0_14default_configEiSC_EEEEvv: ; @_ZN7rocprim17ROCPRIM_304000_NS6detail39device_merge_sort_compile_time_verifierINS1_36wrapped_merge_sort_block_sort_configINS1_28merge_sort_block_sort_configILj256ELj4ELNS0_20block_sort_algorithmE0EEEiN2at4cuda3cub6detail10OpaqueTypeILi8EEEEENS1_37wrapped_merge_sort_block_merge_configINS0_14default_configEiSC_EEEEvv
; %bb.0:
	s_endpgm
	.section	.rodata,"a",@progbits
	.p2align	6, 0x0
	.amdhsa_kernel _ZN7rocprim17ROCPRIM_304000_NS6detail39device_merge_sort_compile_time_verifierINS1_36wrapped_merge_sort_block_sort_configINS1_28merge_sort_block_sort_configILj256ELj4ELNS0_20block_sort_algorithmE0EEEiN2at4cuda3cub6detail10OpaqueTypeILi8EEEEENS1_37wrapped_merge_sort_block_merge_configINS0_14default_configEiSC_EEEEvv
		.amdhsa_group_segment_fixed_size 0
		.amdhsa_private_segment_fixed_size 0
		.amdhsa_kernarg_size 0
		.amdhsa_user_sgpr_count 15
		.amdhsa_user_sgpr_dispatch_ptr 0
		.amdhsa_user_sgpr_queue_ptr 0
		.amdhsa_user_sgpr_kernarg_segment_ptr 0
		.amdhsa_user_sgpr_dispatch_id 0
		.amdhsa_user_sgpr_private_segment_size 0
		.amdhsa_wavefront_size32 1
		.amdhsa_uses_dynamic_stack 0
		.amdhsa_enable_private_segment 0
		.amdhsa_system_sgpr_workgroup_id_x 1
		.amdhsa_system_sgpr_workgroup_id_y 0
		.amdhsa_system_sgpr_workgroup_id_z 0
		.amdhsa_system_sgpr_workgroup_info 0
		.amdhsa_system_vgpr_workitem_id 0
		.amdhsa_next_free_vgpr 1
		.amdhsa_next_free_sgpr 1
		.amdhsa_reserve_vcc 0
		.amdhsa_float_round_mode_32 0
		.amdhsa_float_round_mode_16_64 0
		.amdhsa_float_denorm_mode_32 3
		.amdhsa_float_denorm_mode_16_64 3
		.amdhsa_dx10_clamp 1
		.amdhsa_ieee_mode 1
		.amdhsa_fp16_overflow 0
		.amdhsa_workgroup_processor_mode 1
		.amdhsa_memory_ordered 1
		.amdhsa_forward_progress 0
		.amdhsa_shared_vgpr_count 0
		.amdhsa_exception_fp_ieee_invalid_op 0
		.amdhsa_exception_fp_denorm_src 0
		.amdhsa_exception_fp_ieee_div_zero 0
		.amdhsa_exception_fp_ieee_overflow 0
		.amdhsa_exception_fp_ieee_underflow 0
		.amdhsa_exception_fp_ieee_inexact 0
		.amdhsa_exception_int_div_zero 0
	.end_amdhsa_kernel
	.section	.text._ZN7rocprim17ROCPRIM_304000_NS6detail39device_merge_sort_compile_time_verifierINS1_36wrapped_merge_sort_block_sort_configINS1_28merge_sort_block_sort_configILj256ELj4ELNS0_20block_sort_algorithmE0EEEiN2at4cuda3cub6detail10OpaqueTypeILi8EEEEENS1_37wrapped_merge_sort_block_merge_configINS0_14default_configEiSC_EEEEvv,"axG",@progbits,_ZN7rocprim17ROCPRIM_304000_NS6detail39device_merge_sort_compile_time_verifierINS1_36wrapped_merge_sort_block_sort_configINS1_28merge_sort_block_sort_configILj256ELj4ELNS0_20block_sort_algorithmE0EEEiN2at4cuda3cub6detail10OpaqueTypeILi8EEEEENS1_37wrapped_merge_sort_block_merge_configINS0_14default_configEiSC_EEEEvv,comdat
.Lfunc_end75:
	.size	_ZN7rocprim17ROCPRIM_304000_NS6detail39device_merge_sort_compile_time_verifierINS1_36wrapped_merge_sort_block_sort_configINS1_28merge_sort_block_sort_configILj256ELj4ELNS0_20block_sort_algorithmE0EEEiN2at4cuda3cub6detail10OpaqueTypeILi8EEEEENS1_37wrapped_merge_sort_block_merge_configINS0_14default_configEiSC_EEEEvv, .Lfunc_end75-_ZN7rocprim17ROCPRIM_304000_NS6detail39device_merge_sort_compile_time_verifierINS1_36wrapped_merge_sort_block_sort_configINS1_28merge_sort_block_sort_configILj256ELj4ELNS0_20block_sort_algorithmE0EEEiN2at4cuda3cub6detail10OpaqueTypeILi8EEEEENS1_37wrapped_merge_sort_block_merge_configINS0_14default_configEiSC_EEEEvv
                                        ; -- End function
	.section	.AMDGPU.csdata,"",@progbits
; Kernel info:
; codeLenInByte = 4
; NumSgprs: 0
; NumVgprs: 0
; ScratchSize: 0
; MemoryBound: 0
; FloatMode: 240
; IeeeMode: 1
; LDSByteSize: 0 bytes/workgroup (compile time only)
; SGPRBlocks: 0
; VGPRBlocks: 0
; NumSGPRsForWavesPerEU: 1
; NumVGPRsForWavesPerEU: 1
; Occupancy: 16
; WaveLimiterHint : 0
; COMPUTE_PGM_RSRC2:SCRATCH_EN: 0
; COMPUTE_PGM_RSRC2:USER_SGPR: 15
; COMPUTE_PGM_RSRC2:TRAP_HANDLER: 0
; COMPUTE_PGM_RSRC2:TGID_X_EN: 1
; COMPUTE_PGM_RSRC2:TGID_Y_EN: 0
; COMPUTE_PGM_RSRC2:TGID_Z_EN: 0
; COMPUTE_PGM_RSRC2:TIDIG_COMP_CNT: 0
	.section	.text._ZN7rocprim17ROCPRIM_304000_NS6detail45device_block_merge_mergepath_partition_kernelINS1_37wrapped_merge_sort_block_merge_configINS0_14default_configEiN2at4cuda3cub6detail10OpaqueTypeILi8EEEEEPijNS1_19radix_merge_compareILb1ELb0EiNS0_19identity_decomposerEEEEEvT0_T1_jPSH_T2_SH_,"axG",@progbits,_ZN7rocprim17ROCPRIM_304000_NS6detail45device_block_merge_mergepath_partition_kernelINS1_37wrapped_merge_sort_block_merge_configINS0_14default_configEiN2at4cuda3cub6detail10OpaqueTypeILi8EEEEEPijNS1_19radix_merge_compareILb1ELb0EiNS0_19identity_decomposerEEEEEvT0_T1_jPSH_T2_SH_,comdat
	.protected	_ZN7rocprim17ROCPRIM_304000_NS6detail45device_block_merge_mergepath_partition_kernelINS1_37wrapped_merge_sort_block_merge_configINS0_14default_configEiN2at4cuda3cub6detail10OpaqueTypeILi8EEEEEPijNS1_19radix_merge_compareILb1ELb0EiNS0_19identity_decomposerEEEEEvT0_T1_jPSH_T2_SH_ ; -- Begin function _ZN7rocprim17ROCPRIM_304000_NS6detail45device_block_merge_mergepath_partition_kernelINS1_37wrapped_merge_sort_block_merge_configINS0_14default_configEiN2at4cuda3cub6detail10OpaqueTypeILi8EEEEEPijNS1_19radix_merge_compareILb1ELb0EiNS0_19identity_decomposerEEEEEvT0_T1_jPSH_T2_SH_
	.globl	_ZN7rocprim17ROCPRIM_304000_NS6detail45device_block_merge_mergepath_partition_kernelINS1_37wrapped_merge_sort_block_merge_configINS0_14default_configEiN2at4cuda3cub6detail10OpaqueTypeILi8EEEEEPijNS1_19radix_merge_compareILb1ELb0EiNS0_19identity_decomposerEEEEEvT0_T1_jPSH_T2_SH_
	.p2align	8
	.type	_ZN7rocprim17ROCPRIM_304000_NS6detail45device_block_merge_mergepath_partition_kernelINS1_37wrapped_merge_sort_block_merge_configINS0_14default_configEiN2at4cuda3cub6detail10OpaqueTypeILi8EEEEEPijNS1_19radix_merge_compareILb1ELb0EiNS0_19identity_decomposerEEEEEvT0_T1_jPSH_T2_SH_,@function
_ZN7rocprim17ROCPRIM_304000_NS6detail45device_block_merge_mergepath_partition_kernelINS1_37wrapped_merge_sort_block_merge_configINS0_14default_configEiN2at4cuda3cub6detail10OpaqueTypeILi8EEEEEPijNS1_19radix_merge_compareILb1ELb0EiNS0_19identity_decomposerEEEEEvT0_T1_jPSH_T2_SH_: ; @_ZN7rocprim17ROCPRIM_304000_NS6detail45device_block_merge_mergepath_partition_kernelINS1_37wrapped_merge_sort_block_merge_configINS0_14default_configEiN2at4cuda3cub6detail10OpaqueTypeILi8EEEEEPijNS1_19radix_merge_compareILb1ELb0EiNS0_19identity_decomposerEEEEEvT0_T1_jPSH_T2_SH_
; %bb.0:
	s_load_b64 s[2:3], s[0:1], 0x8
	v_lshl_or_b32 v0, s15, 7, v0
	s_waitcnt lgkmcnt(0)
	s_delay_alu instid0(VALU_DEP_1)
	v_cmp_gt_u32_e32 vcc_lo, s3, v0
	s_and_saveexec_b32 s3, vcc_lo
	s_cbranch_execz .LBB76_6
; %bb.1:
	s_load_b32 s3, s[0:1], 0x1c
	s_waitcnt lgkmcnt(0)
	s_lshr_b32 s4, s3, 9
	s_delay_alu instid0(SALU_CYCLE_1) | instskip(NEXT) | instid1(SALU_CYCLE_1)
	s_and_b32 s4, s4, 0x7ffffe
	s_sub_i32 s5, 0, s4
	s_add_i32 s4, s4, -1
	v_and_b32_e32 v1, s5, v0
	v_and_b32_e32 v5, s4, v0
	s_delay_alu instid0(VALU_DEP_2) | instskip(NEXT) | instid1(VALU_DEP_1)
	v_lshlrev_b32_e32 v1, 10, v1
	v_add_nc_u32_e32 v2, s3, v1
	s_delay_alu instid0(VALU_DEP_1) | instskip(SKIP_1) | instid1(VALU_DEP_2)
	v_min_u32_e32 v4, s2, v2
	v_min_u32_e32 v2, s2, v1
	v_add_nc_u32_e32 v3, s3, v4
	s_delay_alu instid0(VALU_DEP_1) | instskip(SKIP_2) | instid1(VALU_DEP_2)
	v_min_u32_e32 v1, s2, v3
	v_lshlrev_b32_e32 v3, 10, v5
	s_mov_b32 s2, exec_lo
	v_sub_nc_u32_e32 v5, v1, v2
	v_sub_nc_u32_e32 v6, v1, v4
	s_delay_alu instid0(VALU_DEP_2) | instskip(SKIP_1) | instid1(VALU_DEP_2)
	v_min_u32_e32 v1, v5, v3
	v_sub_nc_u32_e32 v3, v4, v2
	v_sub_nc_u32_e64 v6, v1, v6 clamp
	s_delay_alu instid0(VALU_DEP_2) | instskip(NEXT) | instid1(VALU_DEP_1)
	v_min_u32_e32 v7, v1, v3
	v_cmpx_lt_u32_e64 v6, v7
	s_cbranch_execz .LBB76_5
; %bb.2:
	s_load_b64 s[4:5], s[0:1], 0x0
	v_mov_b32_e32 v5, 0
	s_mov_b32 s3, 0
	s_delay_alu instid0(VALU_DEP_1) | instskip(SKIP_1) | instid1(VALU_DEP_2)
	v_mov_b32_e32 v3, v5
	v_lshlrev_b64 v[10:11], 2, v[4:5]
	v_lshlrev_b64 v[8:9], 2, v[2:3]
	s_waitcnt lgkmcnt(0)
	s_delay_alu instid0(VALU_DEP_1) | instskip(NEXT) | instid1(VALU_DEP_2)
	v_add_co_u32 v3, vcc_lo, s4, v8
	v_add_co_ci_u32_e32 v8, vcc_lo, s5, v9, vcc_lo
	s_delay_alu instid0(VALU_DEP_4)
	v_add_co_u32 v9, vcc_lo, s4, v10
	v_add_co_ci_u32_e32 v10, vcc_lo, s5, v11, vcc_lo
	.p2align	6
.LBB76_3:                               ; =>This Inner Loop Header: Depth=1
	v_add_nc_u32_e32 v4, v7, v6
	s_delay_alu instid0(VALU_DEP_1) | instskip(SKIP_1) | instid1(VALU_DEP_2)
	v_lshrrev_b32_e32 v4, 1, v4
	v_mov_b32_e32 v12, v5
	v_xad_u32 v11, v4, -1, v1
	v_lshlrev_b64 v[13:14], 2, v[4:5]
	s_delay_alu instid0(VALU_DEP_2) | instskip(NEXT) | instid1(VALU_DEP_2)
	v_lshlrev_b64 v[11:12], 2, v[11:12]
	v_add_co_u32 v13, vcc_lo, v3, v13
	s_delay_alu instid0(VALU_DEP_3) | instskip(NEXT) | instid1(VALU_DEP_3)
	v_add_co_ci_u32_e32 v14, vcc_lo, v8, v14, vcc_lo
	v_add_co_u32 v11, vcc_lo, v9, v11
	s_delay_alu instid0(VALU_DEP_4)
	v_add_co_ci_u32_e32 v12, vcc_lo, v10, v12, vcc_lo
	s_clause 0x1
	global_load_b32 v13, v[13:14], off
	global_load_b32 v11, v[11:12], off
	v_add_nc_u32_e32 v12, 1, v4
	s_waitcnt vmcnt(0)
	v_cmp_gt_i32_e32 vcc_lo, v11, v13
	s_delay_alu instid0(VALU_DEP_2) | instskip(NEXT) | instid1(VALU_DEP_1)
	v_dual_cndmask_b32 v7, v7, v4 :: v_dual_cndmask_b32 v6, v12, v6
	v_cmp_ge_u32_e32 vcc_lo, v6, v7
	s_or_b32 s3, vcc_lo, s3
	s_delay_alu instid0(SALU_CYCLE_1)
	s_and_not1_b32 exec_lo, exec_lo, s3
	s_cbranch_execnz .LBB76_3
; %bb.4:
	s_or_b32 exec_lo, exec_lo, s3
.LBB76_5:
	s_delay_alu instid0(SALU_CYCLE_1) | instskip(SKIP_2) | instid1(VALU_DEP_1)
	s_or_b32 exec_lo, exec_lo, s2
	s_load_b64 s[0:1], s[0:1], 0x10
	v_dual_mov_b32 v1, 0 :: v_dual_add_nc_u32 v2, v6, v2
	v_lshlrev_b64 v[0:1], 2, v[0:1]
	s_waitcnt lgkmcnt(0)
	s_delay_alu instid0(VALU_DEP_1) | instskip(NEXT) | instid1(VALU_DEP_2)
	v_add_co_u32 v0, vcc_lo, s0, v0
	v_add_co_ci_u32_e32 v1, vcc_lo, s1, v1, vcc_lo
	global_store_b32 v[0:1], v2, off
.LBB76_6:
	s_nop 0
	s_sendmsg sendmsg(MSG_DEALLOC_VGPRS)
	s_endpgm
	.section	.rodata,"a",@progbits
	.p2align	6, 0x0
	.amdhsa_kernel _ZN7rocprim17ROCPRIM_304000_NS6detail45device_block_merge_mergepath_partition_kernelINS1_37wrapped_merge_sort_block_merge_configINS0_14default_configEiN2at4cuda3cub6detail10OpaqueTypeILi8EEEEEPijNS1_19radix_merge_compareILb1ELb0EiNS0_19identity_decomposerEEEEEvT0_T1_jPSH_T2_SH_
		.amdhsa_group_segment_fixed_size 0
		.amdhsa_private_segment_fixed_size 0
		.amdhsa_kernarg_size 32
		.amdhsa_user_sgpr_count 15
		.amdhsa_user_sgpr_dispatch_ptr 0
		.amdhsa_user_sgpr_queue_ptr 0
		.amdhsa_user_sgpr_kernarg_segment_ptr 1
		.amdhsa_user_sgpr_dispatch_id 0
		.amdhsa_user_sgpr_private_segment_size 0
		.amdhsa_wavefront_size32 1
		.amdhsa_uses_dynamic_stack 0
		.amdhsa_enable_private_segment 0
		.amdhsa_system_sgpr_workgroup_id_x 1
		.amdhsa_system_sgpr_workgroup_id_y 0
		.amdhsa_system_sgpr_workgroup_id_z 0
		.amdhsa_system_sgpr_workgroup_info 0
		.amdhsa_system_vgpr_workitem_id 0
		.amdhsa_next_free_vgpr 15
		.amdhsa_next_free_sgpr 16
		.amdhsa_reserve_vcc 1
		.amdhsa_float_round_mode_32 0
		.amdhsa_float_round_mode_16_64 0
		.amdhsa_float_denorm_mode_32 3
		.amdhsa_float_denorm_mode_16_64 3
		.amdhsa_dx10_clamp 1
		.amdhsa_ieee_mode 1
		.amdhsa_fp16_overflow 0
		.amdhsa_workgroup_processor_mode 1
		.amdhsa_memory_ordered 1
		.amdhsa_forward_progress 0
		.amdhsa_shared_vgpr_count 0
		.amdhsa_exception_fp_ieee_invalid_op 0
		.amdhsa_exception_fp_denorm_src 0
		.amdhsa_exception_fp_ieee_div_zero 0
		.amdhsa_exception_fp_ieee_overflow 0
		.amdhsa_exception_fp_ieee_underflow 0
		.amdhsa_exception_fp_ieee_inexact 0
		.amdhsa_exception_int_div_zero 0
	.end_amdhsa_kernel
	.section	.text._ZN7rocprim17ROCPRIM_304000_NS6detail45device_block_merge_mergepath_partition_kernelINS1_37wrapped_merge_sort_block_merge_configINS0_14default_configEiN2at4cuda3cub6detail10OpaqueTypeILi8EEEEEPijNS1_19radix_merge_compareILb1ELb0EiNS0_19identity_decomposerEEEEEvT0_T1_jPSH_T2_SH_,"axG",@progbits,_ZN7rocprim17ROCPRIM_304000_NS6detail45device_block_merge_mergepath_partition_kernelINS1_37wrapped_merge_sort_block_merge_configINS0_14default_configEiN2at4cuda3cub6detail10OpaqueTypeILi8EEEEEPijNS1_19radix_merge_compareILb1ELb0EiNS0_19identity_decomposerEEEEEvT0_T1_jPSH_T2_SH_,comdat
.Lfunc_end76:
	.size	_ZN7rocprim17ROCPRIM_304000_NS6detail45device_block_merge_mergepath_partition_kernelINS1_37wrapped_merge_sort_block_merge_configINS0_14default_configEiN2at4cuda3cub6detail10OpaqueTypeILi8EEEEEPijNS1_19radix_merge_compareILb1ELb0EiNS0_19identity_decomposerEEEEEvT0_T1_jPSH_T2_SH_, .Lfunc_end76-_ZN7rocprim17ROCPRIM_304000_NS6detail45device_block_merge_mergepath_partition_kernelINS1_37wrapped_merge_sort_block_merge_configINS0_14default_configEiN2at4cuda3cub6detail10OpaqueTypeILi8EEEEEPijNS1_19radix_merge_compareILb1ELb0EiNS0_19identity_decomposerEEEEEvT0_T1_jPSH_T2_SH_
                                        ; -- End function
	.section	.AMDGPU.csdata,"",@progbits
; Kernel info:
; codeLenInByte = 464
; NumSgprs: 18
; NumVgprs: 15
; ScratchSize: 0
; MemoryBound: 0
; FloatMode: 240
; IeeeMode: 1
; LDSByteSize: 0 bytes/workgroup (compile time only)
; SGPRBlocks: 2
; VGPRBlocks: 1
; NumSGPRsForWavesPerEU: 18
; NumVGPRsForWavesPerEU: 15
; Occupancy: 16
; WaveLimiterHint : 0
; COMPUTE_PGM_RSRC2:SCRATCH_EN: 0
; COMPUTE_PGM_RSRC2:USER_SGPR: 15
; COMPUTE_PGM_RSRC2:TRAP_HANDLER: 0
; COMPUTE_PGM_RSRC2:TGID_X_EN: 1
; COMPUTE_PGM_RSRC2:TGID_Y_EN: 0
; COMPUTE_PGM_RSRC2:TGID_Z_EN: 0
; COMPUTE_PGM_RSRC2:TIDIG_COMP_CNT: 0
	.section	.text._ZN7rocprim17ROCPRIM_304000_NS6detail35device_block_merge_mergepath_kernelINS1_37wrapped_merge_sort_block_merge_configINS0_14default_configEiN2at4cuda3cub6detail10OpaqueTypeILi8EEEEEPiSC_PSA_SD_jNS1_19radix_merge_compareILb1ELb0EiNS0_19identity_decomposerEEEEEvT0_T1_T2_T3_T4_SL_jT5_PKSL_NS1_7vsmem_tE,"axG",@progbits,_ZN7rocprim17ROCPRIM_304000_NS6detail35device_block_merge_mergepath_kernelINS1_37wrapped_merge_sort_block_merge_configINS0_14default_configEiN2at4cuda3cub6detail10OpaqueTypeILi8EEEEEPiSC_PSA_SD_jNS1_19radix_merge_compareILb1ELb0EiNS0_19identity_decomposerEEEEEvT0_T1_T2_T3_T4_SL_jT5_PKSL_NS1_7vsmem_tE,comdat
	.protected	_ZN7rocprim17ROCPRIM_304000_NS6detail35device_block_merge_mergepath_kernelINS1_37wrapped_merge_sort_block_merge_configINS0_14default_configEiN2at4cuda3cub6detail10OpaqueTypeILi8EEEEEPiSC_PSA_SD_jNS1_19radix_merge_compareILb1ELb0EiNS0_19identity_decomposerEEEEEvT0_T1_T2_T3_T4_SL_jT5_PKSL_NS1_7vsmem_tE ; -- Begin function _ZN7rocprim17ROCPRIM_304000_NS6detail35device_block_merge_mergepath_kernelINS1_37wrapped_merge_sort_block_merge_configINS0_14default_configEiN2at4cuda3cub6detail10OpaqueTypeILi8EEEEEPiSC_PSA_SD_jNS1_19radix_merge_compareILb1ELb0EiNS0_19identity_decomposerEEEEEvT0_T1_T2_T3_T4_SL_jT5_PKSL_NS1_7vsmem_tE
	.globl	_ZN7rocprim17ROCPRIM_304000_NS6detail35device_block_merge_mergepath_kernelINS1_37wrapped_merge_sort_block_merge_configINS0_14default_configEiN2at4cuda3cub6detail10OpaqueTypeILi8EEEEEPiSC_PSA_SD_jNS1_19radix_merge_compareILb1ELb0EiNS0_19identity_decomposerEEEEEvT0_T1_T2_T3_T4_SL_jT5_PKSL_NS1_7vsmem_tE
	.p2align	8
	.type	_ZN7rocprim17ROCPRIM_304000_NS6detail35device_block_merge_mergepath_kernelINS1_37wrapped_merge_sort_block_merge_configINS0_14default_configEiN2at4cuda3cub6detail10OpaqueTypeILi8EEEEEPiSC_PSA_SD_jNS1_19radix_merge_compareILb1ELb0EiNS0_19identity_decomposerEEEEEvT0_T1_T2_T3_T4_SL_jT5_PKSL_NS1_7vsmem_tE,@function
_ZN7rocprim17ROCPRIM_304000_NS6detail35device_block_merge_mergepath_kernelINS1_37wrapped_merge_sort_block_merge_configINS0_14default_configEiN2at4cuda3cub6detail10OpaqueTypeILi8EEEEEPiSC_PSA_SD_jNS1_19radix_merge_compareILb1ELb0EiNS0_19identity_decomposerEEEEEvT0_T1_T2_T3_T4_SL_jT5_PKSL_NS1_7vsmem_tE: ; @_ZN7rocprim17ROCPRIM_304000_NS6detail35device_block_merge_mergepath_kernelINS1_37wrapped_merge_sort_block_merge_configINS0_14default_configEiN2at4cuda3cub6detail10OpaqueTypeILi8EEEEEPiSC_PSA_SD_jNS1_19radix_merge_compareILb1ELb0EiNS0_19identity_decomposerEEEEEvT0_T1_T2_T3_T4_SL_jT5_PKSL_NS1_7vsmem_tE
; %bb.0:
	s_clause 0x1
	s_load_b64 s[22:23], s[0:1], 0x40
	s_load_b128 s[16:19], s[0:1], 0x20
	s_add_u32 s20, s0, 64
	s_addc_u32 s21, s1, 0
	s_waitcnt lgkmcnt(0)
	s_mul_i32 s2, s23, s15
	s_delay_alu instid0(SALU_CYCLE_1) | instskip(NEXT) | instid1(SALU_CYCLE_1)
	s_add_i32 s2, s2, s14
	s_mul_i32 s2, s2, s22
	s_delay_alu instid0(SALU_CYCLE_1) | instskip(NEXT) | instid1(SALU_CYCLE_1)
	s_add_i32 s2, s2, s13
	s_cmp_ge_u32 s2, s18
	s_cbranch_scc1 .LBB77_53
; %bb.1:
	s_load_b64 s[4:5], s[0:1], 0x30
	s_lshr_b32 s27, s16, 10
	s_mov_b32 s15, 0
	s_cmp_lg_u32 s2, s27
	s_mov_b32 s3, s15
	s_cselect_b32 s23, -1, 0
	s_lshl_b64 s[6:7], s[2:3], 2
	v_mov_b32_e32 v4, 0
	s_mov_b32 s19, s15
	v_lshlrev_b32_e32 v5, 2, v0
	s_waitcnt lgkmcnt(0)
	s_add_u32 s4, s4, s6
	s_addc_u32 s5, s5, s7
	s_lshl_b32 s12, s2, 10
	s_load_b64 s[24:25], s[4:5], 0x0
	s_load_b256 s[4:11], s[0:1], 0x0
	global_load_b32 v1, v4, s[20:21] offset:14
	s_lshr_b32 s0, s17, 9
	s_delay_alu instid0(SALU_CYCLE_1) | instskip(NEXT) | instid1(SALU_CYCLE_1)
	s_and_b32 s0, s0, 0x7ffffe
	s_sub_i32 s0, 0, s0
	s_delay_alu instid0(SALU_CYCLE_1)
	s_and_b32 s1, s2, s0
	s_or_b32 s0, s2, s0
	s_lshl_b32 s3, s1, 11
	s_lshl_b32 s1, s1, 10
	s_add_i32 s3, s3, s17
	s_sub_i32 s14, s12, s1
	s_sub_i32 s1, s3, s1
	s_add_i32 s3, s3, s14
	s_min_u32 s26, s16, s1
	s_add_i32 s1, s1, s17
	s_waitcnt lgkmcnt(0)
	s_sub_i32 s14, s3, s24
	s_sub_i32 s3, s3, s25
	s_min_u32 s18, s16, s14
	s_addk_i32 s3, 0x400
	s_cmp_eq_u32 s0, -1
	s_mov_b32 s14, s24
	s_cselect_b32 s3, s1, s3
	s_cselect_b32 s17, s26, s25
	s_min_u32 s3, s3, s16
	s_lshl_b64 s[0:1], s[14:15], 2
	s_sub_i32 s17, s17, s24
	s_sub_i32 s24, s3, s18
	s_add_u32 s25, s4, s0
	s_addc_u32 s26, s5, s1
	s_lshl_b64 s[28:29], s[18:19], 2
	v_cmp_gt_u32_e32 vcc_lo, s17, v0
	s_add_u32 s1, s4, s28
	s_addc_u32 s4, s5, s29
	s_cmp_lt_u32 s13, s22
	s_cselect_b32 s0, 12, 18
	s_delay_alu instid0(SALU_CYCLE_1)
	s_add_u32 s20, s20, s0
	s_addc_u32 s21, s21, 0
	s_cmp_eq_u32 s2, s27
	s_mov_b32 s0, -1
	s_waitcnt vmcnt(0)
	v_lshrrev_b32_e32 v3, 16, v1
	v_and_b32_e32 v1, 0xffff, v1
	global_load_u16 v2, v4, s[20:21]
	v_mul_lo_u32 v1, v1, v3
	s_waitcnt vmcnt(0)
	s_delay_alu instid0(VALU_DEP_1) | instskip(NEXT) | instid1(VALU_DEP_1)
	v_mul_lo_u32 v1, v1, v2
	v_add_nc_u32_e32 v1, v1, v0
	s_cbranch_scc1 .LBB77_3
; %bb.2:
	v_subrev_nc_u32_e32 v3, s17, v0
	v_add_co_u32 v10, s0, s25, v5
	s_delay_alu instid0(VALU_DEP_1) | instskip(NEXT) | instid1(VALU_DEP_3)
	v_add_co_ci_u32_e64 v11, null, s26, 0, s0
	v_lshlrev_b64 v[6:7], 2, v[3:4]
	v_subrev_nc_u32_e32 v3, s17, v1
	s_add_i32 s3, s24, s17
	s_delay_alu instid0(VALU_DEP_2) | instskip(NEXT) | instid1(VALU_DEP_1)
	v_add_co_u32 v6, s0, s1, v6
	v_add_co_ci_u32_e64 v7, s0, s4, v7, s0
	v_mov_b32_e32 v2, v4
	s_delay_alu instid0(VALU_DEP_1) | instskip(SKIP_1) | instid1(VALU_DEP_2)
	v_lshlrev_b64 v[8:9], 2, v[1:2]
	v_lshlrev_b64 v[2:3], 2, v[3:4]
	v_add_co_u32 v4, s0, s25, v8
	s_delay_alu instid0(VALU_DEP_1) | instskip(NEXT) | instid1(VALU_DEP_3)
	v_add_co_ci_u32_e64 v8, s0, s26, v9, s0
	v_add_co_u32 v9, s0, s1, v2
	s_delay_alu instid0(VALU_DEP_1) | instskip(SKIP_3) | instid1(VALU_DEP_2)
	v_add_co_ci_u32_e64 v12, s0, s4, v3, s0
	v_cndmask_b32_e32 v3, v7, v11, vcc_lo
	v_cmp_gt_u32_e64 s0, s17, v1
	v_cndmask_b32_e32 v2, v6, v10, vcc_lo
	v_cndmask_b32_e64 v8, v12, v8, s0
	v_cndmask_b32_e64 v7, v9, v4, s0
	global_load_b32 v6, v[2:3], off
	global_load_b32 v8, v[7:8], off
	s_mov_b32 s0, s15
	s_delay_alu instid0(SALU_CYCLE_1)
	s_and_not1_b32 vcc_lo, exec_lo, s0
	s_cbranch_vccz .LBB77_4
	s_branch .LBB77_9
.LBB77_3:
                                        ; implicit-def: $vgpr8
                                        ; implicit-def: $vgpr6
                                        ; implicit-def: $sgpr3
	s_and_not1_b32 vcc_lo, exec_lo, s0
	s_cbranch_vccnz .LBB77_9
.LBB77_4:
	s_add_i32 s3, s24, s17
	s_mov_b32 s0, exec_lo
                                        ; implicit-def: $vgpr6
	v_cmpx_gt_u32_e64 s3, v0
	s_cbranch_execz .LBB77_6
; %bb.5:
	v_subrev_nc_u32_e32 v2, s17, v0
	v_add_co_u32 v4, s2, s25, v5
	v_mov_b32_e32 v3, 0
	s_waitcnt vmcnt(1)
	v_add_co_ci_u32_e64 v6, null, s26, 0, s2
	s_delay_alu instid0(VALU_DEP_2) | instskip(NEXT) | instid1(VALU_DEP_1)
	v_lshlrev_b64 v[2:3], 2, v[2:3]
	v_add_co_u32 v2, vcc_lo, s1, v2
	s_delay_alu instid0(VALU_DEP_2) | instskip(SKIP_1) | instid1(VALU_DEP_2)
	v_add_co_ci_u32_e32 v3, vcc_lo, s4, v3, vcc_lo
	v_cmp_gt_u32_e32 vcc_lo, s17, v0
	v_dual_cndmask_b32 v2, v2, v4 :: v_dual_cndmask_b32 v3, v3, v6
	global_load_b32 v6, v[2:3], off
.LBB77_6:
	s_or_b32 exec_lo, exec_lo, s0
	s_delay_alu instid0(SALU_CYCLE_1)
	s_mov_b32 s2, exec_lo
                                        ; implicit-def: $vgpr8
	v_cmpx_gt_u32_e64 s3, v1
	s_cbranch_execz .LBB77_8
; %bb.7:
	v_mov_b32_e32 v2, 0
	s_delay_alu instid0(VALU_DEP_1) | instskip(NEXT) | instid1(VALU_DEP_1)
	v_lshlrev_b64 v[3:4], 2, v[1:2]
	v_add_co_u32 v3, vcc_lo, s25, v3
	s_delay_alu instid0(VALU_DEP_2) | instskip(SKIP_2) | instid1(VALU_DEP_1)
	v_add_co_ci_u32_e32 v4, vcc_lo, s26, v4, vcc_lo
	v_cmp_gt_u32_e32 vcc_lo, s17, v1
	v_subrev_nc_u32_e32 v1, s17, v1
	v_lshlrev_b64 v[1:2], 2, v[1:2]
	s_delay_alu instid0(VALU_DEP_1) | instskip(NEXT) | instid1(VALU_DEP_1)
	v_add_co_u32 v1, s0, s1, v1
	v_add_co_ci_u32_e64 v2, s0, s4, v2, s0
	s_delay_alu instid0(VALU_DEP_1)
	v_dual_cndmask_b32 v1, v1, v3 :: v_dual_cndmask_b32 v2, v2, v4
	global_load_b32 v8, v[1:2], off
.LBB77_8:
	s_or_b32 exec_lo, exec_lo, s2
.LBB77_9:
	v_lshlrev_b32_e32 v7, 1, v0
	s_mov_b32 s0, exec_lo
	s_waitcnt vmcnt(0)
	ds_store_2addr_stride64_b32 v5, v6, v8 offset1:8
	s_waitcnt lgkmcnt(0)
	s_barrier
	v_min_u32_e32 v2, s3, v7
	buffer_gl0_inv
	v_sub_nc_u32_e64 v1, v2, s24 clamp
	v_min_u32_e32 v3, s17, v2
	s_delay_alu instid0(VALU_DEP_1)
	v_cmpx_lt_u32_e64 v1, v3
	s_cbranch_execz .LBB77_13
; %bb.10:
	v_lshlrev_b32_e32 v4, 2, v2
	s_mov_b32 s1, 0
	s_delay_alu instid0(VALU_DEP_1)
	v_lshl_add_u32 v4, s17, 2, v4
	.p2align	6
.LBB77_11:                              ; =>This Inner Loop Header: Depth=1
	v_add_nc_u32_e32 v9, v3, v1
	s_delay_alu instid0(VALU_DEP_1) | instskip(NEXT) | instid1(VALU_DEP_1)
	v_lshrrev_b32_e32 v9, 1, v9
	v_not_b32_e32 v10, v9
	v_lshlrev_b32_e32 v11, 2, v9
	v_add_nc_u32_e32 v12, 1, v9
	s_delay_alu instid0(VALU_DEP_3)
	v_lshl_add_u32 v10, v10, 2, v4
	ds_load_b32 v11, v11
	ds_load_b32 v10, v10
	s_waitcnt lgkmcnt(0)
	v_cmp_gt_i32_e32 vcc_lo, v10, v11
	v_cndmask_b32_e32 v3, v3, v9, vcc_lo
	v_cndmask_b32_e32 v1, v12, v1, vcc_lo
	s_delay_alu instid0(VALU_DEP_1) | instskip(SKIP_1) | instid1(SALU_CYCLE_1)
	v_cmp_ge_u32_e32 vcc_lo, v1, v3
	s_or_b32 s1, vcc_lo, s1
	s_and_not1_b32 exec_lo, exec_lo, s1
	s_cbranch_execnz .LBB77_11
; %bb.12:
	s_or_b32 exec_lo, exec_lo, s1
.LBB77_13:
	s_delay_alu instid0(SALU_CYCLE_1) | instskip(SKIP_2) | instid1(VALU_DEP_2)
	s_or_b32 exec_lo, exec_lo, s0
	v_sub_nc_u32_e32 v2, v2, v1
	v_cmp_ge_u32_e32 vcc_lo, s17, v1
                                        ; implicit-def: $vgpr10
                                        ; implicit-def: $vgpr11
	v_add_nc_u32_e32 v2, s17, v2
	s_delay_alu instid0(VALU_DEP_1) | instskip(NEXT) | instid1(VALU_DEP_1)
	v_cmp_ge_u32_e64 s0, s3, v2
	s_or_b32 s0, vcc_lo, s0
	s_delay_alu instid0(SALU_CYCLE_1)
	s_and_saveexec_b32 s4, s0
	s_cbranch_execz .LBB77_19
; %bb.14:
	v_cmp_gt_u32_e32 vcc_lo, s17, v1
                                        ; implicit-def: $vgpr3
	s_and_saveexec_b32 s0, vcc_lo
	s_cbranch_execz .LBB77_16
; %bb.15:
	v_lshlrev_b32_e32 v3, 2, v1
	ds_load_b32 v3, v3
.LBB77_16:
	s_or_b32 exec_lo, exec_lo, s0
	v_cmp_le_u32_e64 s0, s3, v2
	s_mov_b32 s2, exec_lo
                                        ; implicit-def: $vgpr4
	v_cmpx_gt_u32_e64 s3, v2
	s_cbranch_execz .LBB77_18
; %bb.17:
	v_lshlrev_b32_e32 v4, 2, v2
	ds_load_b32 v4, v4
.LBB77_18:
	s_or_b32 exec_lo, exec_lo, s2
	s_waitcnt lgkmcnt(0)
	v_cmp_le_i32_e64 s1, v4, v3
	s_delay_alu instid0(VALU_DEP_1) | instskip(NEXT) | instid1(SALU_CYCLE_1)
	s_and_b32 s1, vcc_lo, s1
	s_or_b32 vcc_lo, s0, s1
	v_dual_mov_b32 v6, s17 :: v_dual_cndmask_b32 v11, v2, v1
	s_delay_alu instid0(VALU_DEP_1) | instskip(NEXT) | instid1(VALU_DEP_2)
	v_cndmask_b32_e32 v6, s3, v6, vcc_lo
	v_add_nc_u32_e32 v8, 1, v11
	s_delay_alu instid0(VALU_DEP_2) | instskip(NEXT) | instid1(VALU_DEP_1)
	v_add_nc_u32_e32 v6, -1, v6
	v_min_u32_e32 v6, v8, v6
	s_delay_alu instid0(VALU_DEP_1)
	v_lshlrev_b32_e32 v6, 2, v6
	ds_load_b32 v6, v6
	s_waitcnt lgkmcnt(0)
	v_cndmask_b32_e32 v9, v6, v4, vcc_lo
	v_dual_cndmask_b32 v1, v1, v8 :: v_dual_cndmask_b32 v12, v3, v6
	v_cndmask_b32_e32 v2, v8, v2, vcc_lo
	v_cndmask_b32_e32 v6, v4, v3, vcc_lo
	s_delay_alu instid0(VALU_DEP_3) | instskip(NEXT) | instid1(VALU_DEP_4)
	v_cmp_gt_u32_e64 s0, s17, v1
	v_cmp_le_i32_e64 s1, v9, v12
	s_delay_alu instid0(VALU_DEP_4) | instskip(NEXT) | instid1(VALU_DEP_2)
	v_cmp_le_u32_e64 s2, s3, v2
	s_and_b32 s0, s0, s1
	s_delay_alu instid0(VALU_DEP_1) | instid1(SALU_CYCLE_1)
	s_or_b32 vcc_lo, s2, s0
	v_cndmask_b32_e32 v10, v2, v1, vcc_lo
	v_cndmask_b32_e32 v8, v9, v12, vcc_lo
.LBB77_19:
	s_or_b32 exec_lo, exec_lo, s4
	s_lshl_b64 s[0:1], s[14:15], 3
	v_or_b32_e32 v9, 0x200, v0
	s_add_u32 s2, s8, s0
	s_addc_u32 s4, s9, s1
	s_lshl_b64 s[14:15], s[18:19], 3
	v_cmp_gt_u32_e64 s1, s17, v0
	v_cmp_le_u32_e64 s0, s17, v0
	s_add_u32 s8, s8, s14
	s_mov_b32 s5, 0
	s_addc_u32 s9, s9, s15
	s_and_not1_b32 vcc_lo, exec_lo, s23
	s_barrier
	buffer_gl0_inv
	s_cbranch_vccnz .LBB77_21
; %bb.20:
	v_subrev_nc_u32_e32 v1, s17, v0
	v_mov_b32_e32 v2, 0
	v_lshlrev_b32_e32 v14, 3, v0
	s_delay_alu instid0(VALU_DEP_2) | instskip(NEXT) | instid1(VALU_DEP_2)
	v_lshlrev_b64 v[3:4], 3, v[1:2]
	v_add_co_u32 v15, s5, s2, v14
	s_delay_alu instid0(VALU_DEP_1) | instskip(SKIP_1) | instid1(VALU_DEP_3)
	v_add_co_ci_u32_e64 v16, null, s4, 0, s5
	s_mov_b32 s5, -1
	v_add_co_u32 v1, vcc_lo, s8, v3
	s_delay_alu instid0(VALU_DEP_4) | instskip(NEXT) | instid1(VALU_DEP_1)
	v_add_co_ci_u32_e32 v3, vcc_lo, s9, v4, vcc_lo
	v_cndmask_b32_e64 v4, v3, v16, s1
	s_delay_alu instid0(VALU_DEP_3)
	v_cndmask_b32_e64 v3, v1, v15, s1
	v_subrev_nc_u32_e32 v1, s17, v9
	global_load_b64 v[12:13], v[3:4], off
	v_lshlrev_b64 v[1:2], 3, v[1:2]
	v_add_co_u32 v3, vcc_lo, 0x1000, v15
	v_add_co_ci_u32_e32 v4, vcc_lo, 0, v16, vcc_lo
	s_delay_alu instid0(VALU_DEP_3) | instskip(NEXT) | instid1(VALU_DEP_4)
	v_add_co_u32 v1, vcc_lo, s8, v1
	v_add_co_ci_u32_e32 v2, vcc_lo, s9, v2, vcc_lo
	v_cmp_gt_u32_e32 vcc_lo, s17, v9
	s_delay_alu instid0(VALU_DEP_2)
	v_dual_cndmask_b32 v1, v1, v3 :: v_dual_cndmask_b32 v2, v2, v4
	v_or_b32_e32 v4, 0x1000, v14
	s_waitcnt vmcnt(0)
	ds_store_b64 v14, v[12:13]
	s_cbranch_execz .LBB77_22
	s_branch .LBB77_33
.LBB77_21:
                                        ; implicit-def: $vgpr4
                                        ; implicit-def: $vgpr1_vgpr2
.LBB77_22:
	s_mov_b32 s1, 0
                                        ; implicit-def: $vgpr1_vgpr2
	s_and_saveexec_b32 s13, s0
	s_delay_alu instid0(SALU_CYCLE_1)
	s_xor_b32 s0, exec_lo, s13
	s_cbranch_execnz .LBB77_54
; %bb.23:
	s_and_not1_saveexec_b32 s0, s0
	s_cbranch_execnz .LBB77_57
.LBB77_24:
	s_or_b32 exec_lo, exec_lo, s0
	v_lshl_add_u32 v12, v0, 2, v5
	s_and_saveexec_b32 s0, s1
	s_cbranch_execz .LBB77_26
.LBB77_25:
	global_load_b64 v[1:2], v[1:2], off
	s_waitcnt vmcnt(0)
	ds_store_b64 v12, v[1:2]
.LBB77_26:
	s_or_b32 exec_lo, exec_lo, s0
	s_delay_alu instid0(SALU_CYCLE_1)
	s_mov_b32 s0, exec_lo
                                        ; implicit-def: $vgpr4
                                        ; implicit-def: $vgpr1_vgpr2
	v_cmpx_le_u32_e64 s17, v9
	s_xor_b32 s0, exec_lo, s0
	s_cbranch_execz .LBB77_30
; %bb.27:
	v_subrev_nc_u32_e32 v3, s17, v9
	s_mov_b32 s13, s5
	s_mov_b32 s1, exec_lo
                                        ; implicit-def: $vgpr4
                                        ; implicit-def: $vgpr1_vgpr2
	s_delay_alu instid0(VALU_DEP_1)
	v_cmpx_gt_u32_e64 s24, v3
; %bb.28:
	v_mov_b32_e32 v4, 0
	s_or_b32 s13, s5, exec_lo
	s_delay_alu instid0(VALU_DEP_1) | instskip(SKIP_1) | instid1(VALU_DEP_2)
	v_lshlrev_b64 v[1:2], 3, v[3:4]
	v_or_b32_e32 v4, 0x1000, v12
	v_add_co_u32 v1, vcc_lo, s8, v1
	s_delay_alu instid0(VALU_DEP_3)
	v_add_co_ci_u32_e32 v2, vcc_lo, s9, v2, vcc_lo
; %bb.29:
	s_or_b32 exec_lo, exec_lo, s1
	s_delay_alu instid0(SALU_CYCLE_1) | instskip(SKIP_1) | instid1(SALU_CYCLE_1)
	s_and_not1_b32 s1, s5, exec_lo
	s_and_b32 s5, s13, exec_lo
                                        ; implicit-def: $vgpr12
	s_or_b32 s5, s1, s5
.LBB77_30:
	s_and_not1_saveexec_b32 s0, s0
; %bb.31:
	v_lshlrev_b32_e32 v1, 3, v9
	v_or_b32_e32 v4, 0x1000, v12
	s_or_b32 s5, s5, exec_lo
	s_delay_alu instid0(VALU_DEP_2) | instskip(NEXT) | instid1(VALU_DEP_1)
	v_add_co_u32 v1, s1, s2, v1
	v_add_co_ci_u32_e64 v2, null, s4, 0, s1
; %bb.32:
	s_or_b32 exec_lo, exec_lo, s0
.LBB77_33:
	s_and_saveexec_b32 s0, s5
	s_cbranch_execz .LBB77_35
; %bb.34:
	global_load_b64 v[1:2], v[1:2], off
	s_waitcnt vmcnt(0)
	ds_store_b64 v4, v[1:2]
.LBB77_35:
	s_or_b32 exec_lo, exec_lo, s0
	v_add_nc_u32_e32 v1, s12, v7
	s_and_not1_b32 vcc_lo, exec_lo, s23
	s_waitcnt lgkmcnt(0)
	s_barrier
	buffer_gl0_inv
	s_cbranch_vccnz .LBB77_37
; %bb.36:
	v_lshlrev_b32_e32 v2, 3, v11
	s_mov_b32 s0, -1
	ds_load_b64 v[3:4], v2
	v_mov_b32_e32 v2, 0
	s_delay_alu instid0(VALU_DEP_1) | instskip(NEXT) | instid1(VALU_DEP_1)
	v_lshlrev_b64 v[12:13], 3, v[1:2]
	v_add_co_u32 v12, vcc_lo, s10, v12
	s_delay_alu instid0(VALU_DEP_2)
	v_add_co_ci_u32_e32 v13, vcc_lo, s11, v13, vcc_lo
	s_waitcnt lgkmcnt(0)
	global_store_b64 v[12:13], v[3:4], off
	s_cbranch_execz .LBB77_38
	s_branch .LBB77_43
.LBB77_37:
	s_mov_b32 s0, 0
.LBB77_38:
	s_mov_b32 s1, exec_lo
	v_cmpx_gt_u32_e64 s3, v7
	s_cbranch_execz .LBB77_40
; %bb.39:
	v_lshlrev_b32_e32 v2, 3, v11
	ds_load_b64 v[3:4], v2
	v_mov_b32_e32 v2, 0
	s_delay_alu instid0(VALU_DEP_1) | instskip(NEXT) | instid1(VALU_DEP_1)
	v_lshlrev_b64 v[11:12], 3, v[1:2]
	v_add_co_u32 v11, vcc_lo, s10, v11
	s_delay_alu instid0(VALU_DEP_2)
	v_add_co_ci_u32_e32 v12, vcc_lo, s11, v12, vcc_lo
	s_waitcnt lgkmcnt(0)
	global_store_b64 v[11:12], v[3:4], off
.LBB77_40:
	s_or_b32 exec_lo, exec_lo, s1
	v_or_b32_e32 v2, 1, v7
	s_mov_b32 s1, exec_lo
	s_delay_alu instid0(VALU_DEP_1)
	v_cmpx_gt_u32_e64 s3, v2
; %bb.41:
	v_mov_b32_e32 v2, 0
	s_or_b32 s0, s0, exec_lo
; %bb.42:
	s_or_b32 exec_lo, exec_lo, s1
.LBB77_43:
	s_and_saveexec_b32 s1, s0
	s_cbranch_execz .LBB77_45
; %bb.44:
	v_lshlrev_b32_e32 v3, 3, v10
	v_lshlrev_b64 v[1:2], 3, v[1:2]
	ds_load_b64 v[3:4], v3
	v_add_co_u32 v1, vcc_lo, s10, v1
	v_add_co_ci_u32_e32 v2, vcc_lo, s11, v2, vcc_lo
	s_waitcnt lgkmcnt(0)
	global_store_b64 v[1:2], v[3:4], off offset:8
.LBB77_45:
	s_or_b32 exec_lo, exec_lo, s1
	v_lshrrev_b32_e32 v1, 2, v0
	v_lshrrev_b32_e32 v2, 3, v0
	;; [unrolled: 1-line block ×3, first 2 shown]
	s_mov_b32 s13, 0
	s_waitcnt_vscnt null, 0x0
	v_and_b32_e32 v1, 0x7c, v1
	s_lshl_b64 s[0:1], s[12:13], 2
	v_and_b32_e32 v2, 60, v2
	v_and_b32_e32 v4, 0x7c, v3
	s_add_u32 s0, s6, s0
	v_lshl_add_u32 v1, v7, 2, v1
	s_barrier
	buffer_gl0_inv
	s_barrier
	buffer_gl0_inv
	s_addc_u32 s1, s7, s1
	ds_store_2addr_b32 v1, v6, v8 offset1:1
	v_add_co_u32 v1, s0, s0, v5
	v_add_nc_u32_e32 v3, v5, v2
	v_add_nc_u32_e32 v6, v5, v4
	v_add_co_ci_u32_e64 v2, null, s1, 0, s0
	s_and_b32 vcc_lo, exec_lo, s23
	s_waitcnt lgkmcnt(0)
	s_cbranch_vccz .LBB77_47
; %bb.46:
	s_barrier
	buffer_gl0_inv
	ds_load_b32 v5, v3
	ds_load_b32 v4, v6 offset:2048
	s_mov_b32 s13, -1
	s_waitcnt lgkmcnt(1)
	global_store_b32 v[1:2], v5, off
	s_cbranch_execz .LBB77_48
	s_branch .LBB77_51
.LBB77_47:
                                        ; implicit-def: $vgpr4
.LBB77_48:
	s_waitcnt lgkmcnt(0)
	s_waitcnt_vscnt null, 0x0
	s_barrier
	buffer_gl0_inv
	ds_load_b32 v4, v6 offset:2048
	s_sub_i32 s0, s16, s12
	s_mov_b32 s1, exec_lo
	v_cmpx_gt_u32_e64 s0, v0
	s_cbranch_execz .LBB77_50
; %bb.49:
	ds_load_b32 v0, v3
	s_waitcnt lgkmcnt(0)
	global_store_b32 v[1:2], v0, off
.LBB77_50:
	s_or_b32 exec_lo, exec_lo, s1
	v_cmp_gt_u32_e64 s13, s0, v9
.LBB77_51:
	s_delay_alu instid0(VALU_DEP_1)
	s_and_saveexec_b32 s0, s13
	s_cbranch_execz .LBB77_53
; %bb.52:
	s_waitcnt lgkmcnt(0)
	global_store_b32 v[1:2], v4, off offset:2048
.LBB77_53:
	s_nop 0
	s_sendmsg sendmsg(MSG_DEALLOC_VGPRS)
	s_endpgm
.LBB77_54:
	v_subrev_nc_u32_e32 v3, s17, v0
	s_mov_b32 s13, exec_lo
                                        ; implicit-def: $vgpr1_vgpr2
	s_delay_alu instid0(VALU_DEP_1)
	v_cmpx_gt_u32_e64 s24, v3
	s_xor_b32 s13, exec_lo, s13
; %bb.55:
	v_mov_b32_e32 v4, 0
	s_mov_b32 s1, exec_lo
	s_delay_alu instid0(VALU_DEP_1) | instskip(NEXT) | instid1(VALU_DEP_1)
	v_lshlrev_b64 v[1:2], 3, v[3:4]
	v_add_co_u32 v1, vcc_lo, s8, v1
	s_delay_alu instid0(VALU_DEP_2)
	v_add_co_ci_u32_e32 v2, vcc_lo, s9, v2, vcc_lo
; %bb.56:
	s_or_b32 exec_lo, exec_lo, s13
	s_delay_alu instid0(SALU_CYCLE_1)
	s_and_b32 s1, s1, exec_lo
	s_and_not1_saveexec_b32 s0, s0
	s_cbranch_execz .LBB77_24
.LBB77_57:
	v_lshlrev_b32_e32 v1, 3, v0
	s_or_b32 s1, s1, exec_lo
	s_delay_alu instid0(VALU_DEP_1) | instskip(NEXT) | instid1(VALU_DEP_1)
	v_add_co_u32 v1, s13, s2, v1
	v_add_co_ci_u32_e64 v2, null, s4, 0, s13
	s_or_b32 exec_lo, exec_lo, s0
	v_lshl_add_u32 v12, v0, 2, v5
	s_and_saveexec_b32 s0, s1
	s_cbranch_execnz .LBB77_25
	s_branch .LBB77_26
	.section	.rodata,"a",@progbits
	.p2align	6, 0x0
	.amdhsa_kernel _ZN7rocprim17ROCPRIM_304000_NS6detail35device_block_merge_mergepath_kernelINS1_37wrapped_merge_sort_block_merge_configINS0_14default_configEiN2at4cuda3cub6detail10OpaqueTypeILi8EEEEEPiSC_PSA_SD_jNS1_19radix_merge_compareILb1ELb0EiNS0_19identity_decomposerEEEEEvT0_T1_T2_T3_T4_SL_jT5_PKSL_NS1_7vsmem_tE
		.amdhsa_group_segment_fixed_size 8208
		.amdhsa_private_segment_fixed_size 0
		.amdhsa_kernarg_size 320
		.amdhsa_user_sgpr_count 13
		.amdhsa_user_sgpr_dispatch_ptr 0
		.amdhsa_user_sgpr_queue_ptr 0
		.amdhsa_user_sgpr_kernarg_segment_ptr 1
		.amdhsa_user_sgpr_dispatch_id 0
		.amdhsa_user_sgpr_private_segment_size 0
		.amdhsa_wavefront_size32 1
		.amdhsa_uses_dynamic_stack 0
		.amdhsa_enable_private_segment 0
		.amdhsa_system_sgpr_workgroup_id_x 1
		.amdhsa_system_sgpr_workgroup_id_y 1
		.amdhsa_system_sgpr_workgroup_id_z 1
		.amdhsa_system_sgpr_workgroup_info 0
		.amdhsa_system_vgpr_workitem_id 0
		.amdhsa_next_free_vgpr 17
		.amdhsa_next_free_sgpr 30
		.amdhsa_reserve_vcc 1
		.amdhsa_float_round_mode_32 0
		.amdhsa_float_round_mode_16_64 0
		.amdhsa_float_denorm_mode_32 3
		.amdhsa_float_denorm_mode_16_64 3
		.amdhsa_dx10_clamp 1
		.amdhsa_ieee_mode 1
		.amdhsa_fp16_overflow 0
		.amdhsa_workgroup_processor_mode 1
		.amdhsa_memory_ordered 1
		.amdhsa_forward_progress 0
		.amdhsa_shared_vgpr_count 0
		.amdhsa_exception_fp_ieee_invalid_op 0
		.amdhsa_exception_fp_denorm_src 0
		.amdhsa_exception_fp_ieee_div_zero 0
		.amdhsa_exception_fp_ieee_overflow 0
		.amdhsa_exception_fp_ieee_underflow 0
		.amdhsa_exception_fp_ieee_inexact 0
		.amdhsa_exception_int_div_zero 0
	.end_amdhsa_kernel
	.section	.text._ZN7rocprim17ROCPRIM_304000_NS6detail35device_block_merge_mergepath_kernelINS1_37wrapped_merge_sort_block_merge_configINS0_14default_configEiN2at4cuda3cub6detail10OpaqueTypeILi8EEEEEPiSC_PSA_SD_jNS1_19radix_merge_compareILb1ELb0EiNS0_19identity_decomposerEEEEEvT0_T1_T2_T3_T4_SL_jT5_PKSL_NS1_7vsmem_tE,"axG",@progbits,_ZN7rocprim17ROCPRIM_304000_NS6detail35device_block_merge_mergepath_kernelINS1_37wrapped_merge_sort_block_merge_configINS0_14default_configEiN2at4cuda3cub6detail10OpaqueTypeILi8EEEEEPiSC_PSA_SD_jNS1_19radix_merge_compareILb1ELb0EiNS0_19identity_decomposerEEEEEvT0_T1_T2_T3_T4_SL_jT5_PKSL_NS1_7vsmem_tE,comdat
.Lfunc_end77:
	.size	_ZN7rocprim17ROCPRIM_304000_NS6detail35device_block_merge_mergepath_kernelINS1_37wrapped_merge_sort_block_merge_configINS0_14default_configEiN2at4cuda3cub6detail10OpaqueTypeILi8EEEEEPiSC_PSA_SD_jNS1_19radix_merge_compareILb1ELb0EiNS0_19identity_decomposerEEEEEvT0_T1_T2_T3_T4_SL_jT5_PKSL_NS1_7vsmem_tE, .Lfunc_end77-_ZN7rocprim17ROCPRIM_304000_NS6detail35device_block_merge_mergepath_kernelINS1_37wrapped_merge_sort_block_merge_configINS0_14default_configEiN2at4cuda3cub6detail10OpaqueTypeILi8EEEEEPiSC_PSA_SD_jNS1_19radix_merge_compareILb1ELb0EiNS0_19identity_decomposerEEEEEvT0_T1_T2_T3_T4_SL_jT5_PKSL_NS1_7vsmem_tE
                                        ; -- End function
	.section	.AMDGPU.csdata,"",@progbits
; Kernel info:
; codeLenInByte = 2436
; NumSgprs: 32
; NumVgprs: 17
; ScratchSize: 0
; MemoryBound: 1
; FloatMode: 240
; IeeeMode: 1
; LDSByteSize: 8208 bytes/workgroup (compile time only)
; SGPRBlocks: 3
; VGPRBlocks: 2
; NumSGPRsForWavesPerEU: 32
; NumVGPRsForWavesPerEU: 17
; Occupancy: 16
; WaveLimiterHint : 1
; COMPUTE_PGM_RSRC2:SCRATCH_EN: 0
; COMPUTE_PGM_RSRC2:USER_SGPR: 13
; COMPUTE_PGM_RSRC2:TRAP_HANDLER: 0
; COMPUTE_PGM_RSRC2:TGID_X_EN: 1
; COMPUTE_PGM_RSRC2:TGID_Y_EN: 1
; COMPUTE_PGM_RSRC2:TGID_Z_EN: 1
; COMPUTE_PGM_RSRC2:TIDIG_COMP_CNT: 0
	.section	.text._ZN7rocprim17ROCPRIM_304000_NS6detail33device_block_merge_oddeven_kernelINS1_37wrapped_merge_sort_block_merge_configINS0_14default_configEiN2at4cuda3cub6detail10OpaqueTypeILi8EEEEEPiSC_PSA_SD_jNS1_19radix_merge_compareILb1ELb0EiNS0_19identity_decomposerEEEEEvT0_T1_T2_T3_T4_SL_T5_,"axG",@progbits,_ZN7rocprim17ROCPRIM_304000_NS6detail33device_block_merge_oddeven_kernelINS1_37wrapped_merge_sort_block_merge_configINS0_14default_configEiN2at4cuda3cub6detail10OpaqueTypeILi8EEEEEPiSC_PSA_SD_jNS1_19radix_merge_compareILb1ELb0EiNS0_19identity_decomposerEEEEEvT0_T1_T2_T3_T4_SL_T5_,comdat
	.protected	_ZN7rocprim17ROCPRIM_304000_NS6detail33device_block_merge_oddeven_kernelINS1_37wrapped_merge_sort_block_merge_configINS0_14default_configEiN2at4cuda3cub6detail10OpaqueTypeILi8EEEEEPiSC_PSA_SD_jNS1_19radix_merge_compareILb1ELb0EiNS0_19identity_decomposerEEEEEvT0_T1_T2_T3_T4_SL_T5_ ; -- Begin function _ZN7rocprim17ROCPRIM_304000_NS6detail33device_block_merge_oddeven_kernelINS1_37wrapped_merge_sort_block_merge_configINS0_14default_configEiN2at4cuda3cub6detail10OpaqueTypeILi8EEEEEPiSC_PSA_SD_jNS1_19radix_merge_compareILb1ELb0EiNS0_19identity_decomposerEEEEEvT0_T1_T2_T3_T4_SL_T5_
	.globl	_ZN7rocprim17ROCPRIM_304000_NS6detail33device_block_merge_oddeven_kernelINS1_37wrapped_merge_sort_block_merge_configINS0_14default_configEiN2at4cuda3cub6detail10OpaqueTypeILi8EEEEEPiSC_PSA_SD_jNS1_19radix_merge_compareILb1ELb0EiNS0_19identity_decomposerEEEEEvT0_T1_T2_T3_T4_SL_T5_
	.p2align	8
	.type	_ZN7rocprim17ROCPRIM_304000_NS6detail33device_block_merge_oddeven_kernelINS1_37wrapped_merge_sort_block_merge_configINS0_14default_configEiN2at4cuda3cub6detail10OpaqueTypeILi8EEEEEPiSC_PSA_SD_jNS1_19radix_merge_compareILb1ELb0EiNS0_19identity_decomposerEEEEEvT0_T1_T2_T3_T4_SL_T5_,@function
_ZN7rocprim17ROCPRIM_304000_NS6detail33device_block_merge_oddeven_kernelINS1_37wrapped_merge_sort_block_merge_configINS0_14default_configEiN2at4cuda3cub6detail10OpaqueTypeILi8EEEEEPiSC_PSA_SD_jNS1_19radix_merge_compareILb1ELb0EiNS0_19identity_decomposerEEEEEvT0_T1_T2_T3_T4_SL_T5_: ; @_ZN7rocprim17ROCPRIM_304000_NS6detail33device_block_merge_oddeven_kernelINS1_37wrapped_merge_sort_block_merge_configINS0_14default_configEiN2at4cuda3cub6detail10OpaqueTypeILi8EEEEEPiSC_PSA_SD_jNS1_19radix_merge_compareILb1ELb0EiNS0_19identity_decomposerEEEEEvT0_T1_T2_T3_T4_SL_T5_
; %bb.0:
	s_load_b64 s[16:17], s[0:1], 0x20
	s_waitcnt lgkmcnt(0)
	s_lshr_b32 s2, s16, 8
	s_delay_alu instid0(SALU_CYCLE_1) | instskip(SKIP_4) | instid1(SALU_CYCLE_1)
	s_cmp_lg_u32 s15, s2
	s_cselect_b32 s4, -1, 0
	s_cmp_eq_u32 s15, s2
	s_cselect_b32 s3, -1, 0
	s_lshl_b32 s12, s15, 8
	s_sub_i32 s2, s16, s12
	s_delay_alu instid0(SALU_CYCLE_1) | instskip(NEXT) | instid1(VALU_DEP_1)
	v_cmp_gt_u32_e64 s2, s2, v0
	s_or_b32 s4, s4, s2
	s_delay_alu instid0(SALU_CYCLE_1)
	s_and_saveexec_b32 s5, s4
	s_cbranch_execz .LBB78_26
; %bb.1:
	s_load_b256 s[4:11], s[0:1], 0x0
	s_mov_b32 s13, 0
	v_lshlrev_b32_e32 v1, 3, v0
	s_lshl_b64 s[0:1], s[12:13], 2
	v_lshlrev_b32_e32 v3, 2, v0
	v_add_nc_u32_e32 v5, s12, v0
	s_waitcnt lgkmcnt(0)
	s_add_u32 s0, s4, s0
	s_addc_u32 s1, s5, s1
	s_lshl_b64 s[18:19], s[12:13], 3
	s_delay_alu instid0(SALU_CYCLE_1) | instskip(SKIP_4) | instid1(SALU_CYCLE_1)
	s_add_u32 s8, s8, s18
	s_addc_u32 s9, s9, s19
	global_load_b64 v[1:2], v1, s[8:9]
	global_load_b32 v7, v3, s[0:1]
	s_lshr_b32 s0, s17, 8
	s_sub_i32 s1, 0, s0
	s_delay_alu instid0(SALU_CYCLE_1) | instskip(NEXT) | instid1(SALU_CYCLE_1)
	s_and_b32 s1, s15, s1
	s_and_b32 s0, s1, s0
	s_lshl_b32 s9, s1, 8
	s_sub_i32 s1, 0, s17
	s_cmp_eq_u32 s0, 0
	s_cselect_b32 s0, -1, 0
	s_delay_alu instid0(SALU_CYCLE_1) | instskip(SKIP_1) | instid1(SALU_CYCLE_1)
	s_and_b32 s8, s0, exec_lo
	s_cselect_b32 s1, s17, s1
	s_add_i32 s1, s1, s9
	s_delay_alu instid0(SALU_CYCLE_1)
	s_cmp_lt_u32 s1, s16
	s_cbranch_scc1 .LBB78_6
; %bb.2:
	s_and_b32 vcc_lo, exec_lo, s3
	s_cbranch_vccz .LBB78_7
; %bb.3:
	s_mov_b32 s8, 0
	s_mov_b32 s12, exec_lo
                                        ; implicit-def: $vgpr3_vgpr4
	v_cmpx_gt_u32_e64 s16, v5
	s_cbranch_execz .LBB78_5
; %bb.4:
	v_mov_b32_e32 v6, 0
	s_mov_b32 s13, exec_lo
	s_delay_alu instid0(VALU_DEP_1) | instskip(SKIP_1) | instid1(VALU_DEP_2)
	v_lshlrev_b64 v[3:4], 2, v[5:6]
	v_lshlrev_b64 v[8:9], 3, v[5:6]
	v_add_co_u32 v10, vcc_lo, s6, v3
	s_delay_alu instid0(VALU_DEP_3) | instskip(NEXT) | instid1(VALU_DEP_3)
	v_add_co_ci_u32_e32 v11, vcc_lo, s7, v4, vcc_lo
	v_add_co_u32 v3, vcc_lo, s10, v8
	s_delay_alu instid0(VALU_DEP_4)
	v_add_co_ci_u32_e32 v4, vcc_lo, s11, v9, vcc_lo
	s_waitcnt vmcnt(0)
	global_store_b32 v[10:11], v7, off
.LBB78_5:
	s_or_b32 exec_lo, exec_lo, s12
	s_delay_alu instid0(SALU_CYCLE_1)
	s_and_b32 vcc_lo, exec_lo, s8
	s_cbranch_vccnz .LBB78_8
	s_branch .LBB78_9
.LBB78_6:
                                        ; implicit-def: $vgpr3_vgpr4
	s_cbranch_execnz .LBB78_10
	s_branch .LBB78_24
.LBB78_7:
                                        ; implicit-def: $vgpr3_vgpr4
	s_cbranch_execz .LBB78_9
.LBB78_8:
	v_mov_b32_e32 v6, 0
	s_or_b32 s13, s13, exec_lo
	s_delay_alu instid0(VALU_DEP_1) | instskip(SKIP_1) | instid1(VALU_DEP_2)
	v_lshlrev_b64 v[3:4], 2, v[5:6]
	v_lshlrev_b64 v[8:9], 3, v[5:6]
	v_add_co_u32 v10, vcc_lo, s6, v3
	s_delay_alu instid0(VALU_DEP_3) | instskip(NEXT) | instid1(VALU_DEP_3)
	v_add_co_ci_u32_e32 v11, vcc_lo, s7, v4, vcc_lo
	v_add_co_u32 v3, vcc_lo, s10, v8
	s_delay_alu instid0(VALU_DEP_4)
	v_add_co_ci_u32_e32 v4, vcc_lo, s11, v9, vcc_lo
	s_waitcnt vmcnt(0)
	global_store_b32 v[10:11], v7, off
.LBB78_9:
	s_branch .LBB78_24
.LBB78_10:
	s_min_u32 s8, s1, s16
	s_and_b32 vcc_lo, exec_lo, s3
	s_add_i32 s12, s9, s8
	s_min_u32 s9, s9, s8
	v_subrev_nc_u32_e32 v0, s12, v5
	s_add_i32 s12, s8, s17
	s_delay_alu instid0(SALU_CYCLE_1) | instskip(NEXT) | instid1(VALU_DEP_1)
	s_min_u32 s3, s12, s16
	v_add_nc_u32_e32 v0, s9, v0
	s_cbranch_vccz .LBB78_18
; %bb.11:
                                        ; implicit-def: $vgpr3_vgpr4
	s_and_saveexec_b32 s9, s2
	s_cbranch_execz .LBB78_17
; %bb.12:
	v_mov_b32_e32 v5, s8
	s_cmp_ge_u32 s1, s3
	s_cbranch_scc1 .LBB78_16
; %bb.13:
	v_dual_mov_b32 v6, s3 :: v_dual_mov_b32 v5, s8
	v_mov_b32_e32 v4, 0
	s_mov_b32 s2, 0
	.p2align	6
.LBB78_14:                              ; =>This Inner Loop Header: Depth=1
	s_delay_alu instid0(VALU_DEP_2) | instskip(NEXT) | instid1(VALU_DEP_1)
	v_add_nc_u32_e32 v3, v5, v6
	v_lshrrev_b32_e32 v3, 1, v3
	s_delay_alu instid0(VALU_DEP_1) | instskip(NEXT) | instid1(VALU_DEP_1)
	v_lshlrev_b64 v[8:9], 2, v[3:4]
	v_add_co_u32 v8, vcc_lo, s4, v8
	s_delay_alu instid0(VALU_DEP_2)
	v_add_co_ci_u32_e32 v9, vcc_lo, s5, v9, vcc_lo
	global_load_b32 v8, v[8:9], off
	s_waitcnt vmcnt(0)
	v_cmp_gt_i32_e32 vcc_lo, v8, v7
	v_cndmask_b32_e64 v9, 0, 1, vcc_lo
	v_cmp_le_i32_e32 vcc_lo, v7, v8
	v_cndmask_b32_e64 v8, 0, 1, vcc_lo
	s_delay_alu instid0(VALU_DEP_1) | instskip(SKIP_1) | instid1(VALU_DEP_2)
	v_cndmask_b32_e64 v8, v8, v9, s0
	v_add_nc_u32_e32 v9, 1, v3
	v_and_b32_e32 v8, 1, v8
	s_delay_alu instid0(VALU_DEP_1) | instskip(NEXT) | instid1(VALU_DEP_3)
	v_cmp_eq_u32_e32 vcc_lo, 1, v8
	v_dual_cndmask_b32 v6, v3, v6 :: v_dual_cndmask_b32 v5, v5, v9
	s_delay_alu instid0(VALU_DEP_1) | instskip(SKIP_1) | instid1(SALU_CYCLE_1)
	v_cmp_ge_u32_e32 vcc_lo, v5, v6
	s_or_b32 s2, vcc_lo, s2
	s_and_not1_b32 exec_lo, exec_lo, s2
	s_cbranch_execnz .LBB78_14
; %bb.15:
	s_or_b32 exec_lo, exec_lo, s2
.LBB78_16:
	s_delay_alu instid0(VALU_DEP_1) | instskip(SKIP_1) | instid1(VALU_DEP_1)
	v_dual_mov_b32 v4, 0 :: v_dual_add_nc_u32 v3, v5, v0
	s_or_b32 s13, s13, exec_lo
	v_lshlrev_b64 v[5:6], 2, v[3:4]
	v_lshlrev_b64 v[3:4], 3, v[3:4]
	s_delay_alu instid0(VALU_DEP_2) | instskip(NEXT) | instid1(VALU_DEP_3)
	v_add_co_u32 v5, vcc_lo, s6, v5
	v_add_co_ci_u32_e32 v6, vcc_lo, s7, v6, vcc_lo
	s_delay_alu instid0(VALU_DEP_3) | instskip(NEXT) | instid1(VALU_DEP_4)
	v_add_co_u32 v3, vcc_lo, s10, v3
	v_add_co_ci_u32_e32 v4, vcc_lo, s11, v4, vcc_lo
	s_waitcnt vmcnt(0)
	global_store_b32 v[5:6], v7, off
.LBB78_17:
	s_or_b32 exec_lo, exec_lo, s9
	s_branch .LBB78_24
.LBB78_18:
                                        ; implicit-def: $vgpr3_vgpr4
	s_cbranch_execz .LBB78_24
; %bb.19:
	v_mov_b32_e32 v5, s8
	s_cmp_ge_u32 s1, s3
	s_cbranch_scc1 .LBB78_23
; %bb.20:
	v_dual_mov_b32 v6, s3 :: v_dual_mov_b32 v5, s8
	v_mov_b32_e32 v4, 0
	s_mov_b32 s1, 0
	.p2align	6
.LBB78_21:                              ; =>This Inner Loop Header: Depth=1
	s_delay_alu instid0(VALU_DEP_2) | instskip(NEXT) | instid1(VALU_DEP_1)
	v_add_nc_u32_e32 v3, v5, v6
	v_lshrrev_b32_e32 v3, 1, v3
	s_delay_alu instid0(VALU_DEP_1) | instskip(NEXT) | instid1(VALU_DEP_1)
	v_lshlrev_b64 v[8:9], 2, v[3:4]
	v_add_co_u32 v8, vcc_lo, s4, v8
	s_delay_alu instid0(VALU_DEP_2)
	v_add_co_ci_u32_e32 v9, vcc_lo, s5, v9, vcc_lo
	global_load_b32 v8, v[8:9], off
	s_waitcnt vmcnt(0)
	v_cmp_gt_i32_e32 vcc_lo, v8, v7
	v_cndmask_b32_e64 v9, 0, 1, vcc_lo
	v_cmp_le_i32_e32 vcc_lo, v7, v8
	v_cndmask_b32_e64 v8, 0, 1, vcc_lo
	s_delay_alu instid0(VALU_DEP_1) | instskip(SKIP_1) | instid1(VALU_DEP_2)
	v_cndmask_b32_e64 v8, v8, v9, s0
	v_add_nc_u32_e32 v9, 1, v3
	v_and_b32_e32 v8, 1, v8
	s_delay_alu instid0(VALU_DEP_1) | instskip(NEXT) | instid1(VALU_DEP_3)
	v_cmp_eq_u32_e32 vcc_lo, 1, v8
	v_dual_cndmask_b32 v6, v3, v6 :: v_dual_cndmask_b32 v5, v5, v9
	s_delay_alu instid0(VALU_DEP_1) | instskip(SKIP_1) | instid1(SALU_CYCLE_1)
	v_cmp_ge_u32_e32 vcc_lo, v5, v6
	s_or_b32 s1, vcc_lo, s1
	s_and_not1_b32 exec_lo, exec_lo, s1
	s_cbranch_execnz .LBB78_21
; %bb.22:
	s_or_b32 exec_lo, exec_lo, s1
.LBB78_23:
	s_delay_alu instid0(VALU_DEP_1) | instskip(SKIP_1) | instid1(VALU_DEP_1)
	v_dual_mov_b32 v4, 0 :: v_dual_add_nc_u32 v3, v5, v0
	s_mov_b32 s13, -1
	v_lshlrev_b64 v[5:6], 2, v[3:4]
	v_lshlrev_b64 v[3:4], 3, v[3:4]
	s_delay_alu instid0(VALU_DEP_2) | instskip(NEXT) | instid1(VALU_DEP_3)
	v_add_co_u32 v5, vcc_lo, s6, v5
	v_add_co_ci_u32_e32 v6, vcc_lo, s7, v6, vcc_lo
	s_delay_alu instid0(VALU_DEP_3) | instskip(NEXT) | instid1(VALU_DEP_4)
	v_add_co_u32 v3, vcc_lo, s10, v3
	v_add_co_ci_u32_e32 v4, vcc_lo, s11, v4, vcc_lo
	s_waitcnt vmcnt(0)
	global_store_b32 v[5:6], v7, off
.LBB78_24:
	s_and_b32 exec_lo, exec_lo, s13
	s_cbranch_execz .LBB78_26
; %bb.25:
	s_waitcnt vmcnt(1)
	global_store_b64 v[3:4], v[1:2], off
.LBB78_26:
	s_nop 0
	s_sendmsg sendmsg(MSG_DEALLOC_VGPRS)
	s_endpgm
	.section	.rodata,"a",@progbits
	.p2align	6, 0x0
	.amdhsa_kernel _ZN7rocprim17ROCPRIM_304000_NS6detail33device_block_merge_oddeven_kernelINS1_37wrapped_merge_sort_block_merge_configINS0_14default_configEiN2at4cuda3cub6detail10OpaqueTypeILi8EEEEEPiSC_PSA_SD_jNS1_19radix_merge_compareILb1ELb0EiNS0_19identity_decomposerEEEEEvT0_T1_T2_T3_T4_SL_T5_
		.amdhsa_group_segment_fixed_size 0
		.amdhsa_private_segment_fixed_size 0
		.amdhsa_kernarg_size 44
		.amdhsa_user_sgpr_count 15
		.amdhsa_user_sgpr_dispatch_ptr 0
		.amdhsa_user_sgpr_queue_ptr 0
		.amdhsa_user_sgpr_kernarg_segment_ptr 1
		.amdhsa_user_sgpr_dispatch_id 0
		.amdhsa_user_sgpr_private_segment_size 0
		.amdhsa_wavefront_size32 1
		.amdhsa_uses_dynamic_stack 0
		.amdhsa_enable_private_segment 0
		.amdhsa_system_sgpr_workgroup_id_x 1
		.amdhsa_system_sgpr_workgroup_id_y 0
		.amdhsa_system_sgpr_workgroup_id_z 0
		.amdhsa_system_sgpr_workgroup_info 0
		.amdhsa_system_vgpr_workitem_id 0
		.amdhsa_next_free_vgpr 12
		.amdhsa_next_free_sgpr 20
		.amdhsa_reserve_vcc 1
		.amdhsa_float_round_mode_32 0
		.amdhsa_float_round_mode_16_64 0
		.amdhsa_float_denorm_mode_32 3
		.amdhsa_float_denorm_mode_16_64 3
		.amdhsa_dx10_clamp 1
		.amdhsa_ieee_mode 1
		.amdhsa_fp16_overflow 0
		.amdhsa_workgroup_processor_mode 1
		.amdhsa_memory_ordered 1
		.amdhsa_forward_progress 0
		.amdhsa_shared_vgpr_count 0
		.amdhsa_exception_fp_ieee_invalid_op 0
		.amdhsa_exception_fp_denorm_src 0
		.amdhsa_exception_fp_ieee_div_zero 0
		.amdhsa_exception_fp_ieee_overflow 0
		.amdhsa_exception_fp_ieee_underflow 0
		.amdhsa_exception_fp_ieee_inexact 0
		.amdhsa_exception_int_div_zero 0
	.end_amdhsa_kernel
	.section	.text._ZN7rocprim17ROCPRIM_304000_NS6detail33device_block_merge_oddeven_kernelINS1_37wrapped_merge_sort_block_merge_configINS0_14default_configEiN2at4cuda3cub6detail10OpaqueTypeILi8EEEEEPiSC_PSA_SD_jNS1_19radix_merge_compareILb1ELb0EiNS0_19identity_decomposerEEEEEvT0_T1_T2_T3_T4_SL_T5_,"axG",@progbits,_ZN7rocprim17ROCPRIM_304000_NS6detail33device_block_merge_oddeven_kernelINS1_37wrapped_merge_sort_block_merge_configINS0_14default_configEiN2at4cuda3cub6detail10OpaqueTypeILi8EEEEEPiSC_PSA_SD_jNS1_19radix_merge_compareILb1ELb0EiNS0_19identity_decomposerEEEEEvT0_T1_T2_T3_T4_SL_T5_,comdat
.Lfunc_end78:
	.size	_ZN7rocprim17ROCPRIM_304000_NS6detail33device_block_merge_oddeven_kernelINS1_37wrapped_merge_sort_block_merge_configINS0_14default_configEiN2at4cuda3cub6detail10OpaqueTypeILi8EEEEEPiSC_PSA_SD_jNS1_19radix_merge_compareILb1ELb0EiNS0_19identity_decomposerEEEEEvT0_T1_T2_T3_T4_SL_T5_, .Lfunc_end78-_ZN7rocprim17ROCPRIM_304000_NS6detail33device_block_merge_oddeven_kernelINS1_37wrapped_merge_sort_block_merge_configINS0_14default_configEiN2at4cuda3cub6detail10OpaqueTypeILi8EEEEEPiSC_PSA_SD_jNS1_19radix_merge_compareILb1ELb0EiNS0_19identity_decomposerEEEEEvT0_T1_T2_T3_T4_SL_T5_
                                        ; -- End function
	.section	.AMDGPU.csdata,"",@progbits
; Kernel info:
; codeLenInByte = 988
; NumSgprs: 22
; NumVgprs: 12
; ScratchSize: 0
; MemoryBound: 0
; FloatMode: 240
; IeeeMode: 1
; LDSByteSize: 0 bytes/workgroup (compile time only)
; SGPRBlocks: 2
; VGPRBlocks: 1
; NumSGPRsForWavesPerEU: 22
; NumVGPRsForWavesPerEU: 12
; Occupancy: 16
; WaveLimiterHint : 0
; COMPUTE_PGM_RSRC2:SCRATCH_EN: 0
; COMPUTE_PGM_RSRC2:USER_SGPR: 15
; COMPUTE_PGM_RSRC2:TRAP_HANDLER: 0
; COMPUTE_PGM_RSRC2:TGID_X_EN: 1
; COMPUTE_PGM_RSRC2:TGID_Y_EN: 0
; COMPUTE_PGM_RSRC2:TGID_Z_EN: 0
; COMPUTE_PGM_RSRC2:TIDIG_COMP_CNT: 0
	.section	.text._ZN7rocprim17ROCPRIM_304000_NS6detail16transform_kernelINS1_24wrapped_transform_configINS0_14default_configEiEEiPiS6_NS0_8identityIiEEEEvT1_mT2_T3_,"axG",@progbits,_ZN7rocprim17ROCPRIM_304000_NS6detail16transform_kernelINS1_24wrapped_transform_configINS0_14default_configEiEEiPiS6_NS0_8identityIiEEEEvT1_mT2_T3_,comdat
	.protected	_ZN7rocprim17ROCPRIM_304000_NS6detail16transform_kernelINS1_24wrapped_transform_configINS0_14default_configEiEEiPiS6_NS0_8identityIiEEEEvT1_mT2_T3_ ; -- Begin function _ZN7rocprim17ROCPRIM_304000_NS6detail16transform_kernelINS1_24wrapped_transform_configINS0_14default_configEiEEiPiS6_NS0_8identityIiEEEEvT1_mT2_T3_
	.globl	_ZN7rocprim17ROCPRIM_304000_NS6detail16transform_kernelINS1_24wrapped_transform_configINS0_14default_configEiEEiPiS6_NS0_8identityIiEEEEvT1_mT2_T3_
	.p2align	8
	.type	_ZN7rocprim17ROCPRIM_304000_NS6detail16transform_kernelINS1_24wrapped_transform_configINS0_14default_configEiEEiPiS6_NS0_8identityIiEEEEvT1_mT2_T3_,@function
_ZN7rocprim17ROCPRIM_304000_NS6detail16transform_kernelINS1_24wrapped_transform_configINS0_14default_configEiEEiPiS6_NS0_8identityIiEEEEvT1_mT2_T3_: ; @_ZN7rocprim17ROCPRIM_304000_NS6detail16transform_kernelINS1_24wrapped_transform_configINS0_14default_configEiEEiPiS6_NS0_8identityIiEEEEvT1_mT2_T3_
; %bb.0:
	s_clause 0x2
	s_load_b32 s2, s[0:1], 0x20
	s_load_b128 s[4:7], s[0:1], 0x0
	s_load_b64 s[16:17], s[0:1], 0x10
	s_mov_b32 s21, 0
	s_lshl_b32 s20, s15, 12
	v_lshlrev_b32_e32 v3, 2, v0
	s_lshl_b64 s[18:19], s[20:21], 2
	s_waitcnt lgkmcnt(0)
	s_add_i32 s2, s2, -1
	s_add_u32 s0, s4, s18
	s_addc_u32 s1, s5, s19
	v_add_co_u32 v1, s0, s0, v3
	s_delay_alu instid0(VALU_DEP_1)
	v_add_co_ci_u32_e64 v2, null, s1, 0, s0
	s_cmp_lg_u32 s15, s2
	s_mov_b32 s0, -1
	s_cbranch_scc0 .LBB79_2
; %bb.1:
	v_add_co_u32 v4, vcc_lo, 0x1000, v1
	v_add_co_ci_u32_e32 v5, vcc_lo, 0, v2, vcc_lo
	v_add_co_u32 v6, vcc_lo, v1, 0x2000
	v_add_co_ci_u32_e32 v7, vcc_lo, 0, v2, vcc_lo
	;; [unrolled: 2-line block ×3, first 2 shown]
	v_add_co_u32 v10, vcc_lo, 0x3000, v1
	global_load_b32 v13, v[6:7], off
	v_add_co_ci_u32_e32 v11, vcc_lo, 0, v2, vcc_lo
	s_clause 0xe
	global_load_b32 v14, v[1:2], off
	global_load_b32 v15, v[1:2], off offset:1024
	global_load_b32 v16, v[1:2], off offset:2048
	;; [unrolled: 1-line block ×9, first 2 shown]
	global_load_b32 v24, v[10:11], off
	global_load_b32 v25, v[10:11], off offset:1024
	global_load_b32 v26, v[6:7], off offset:-4096
	global_load_b32 v27, v[10:11], off offset:2048
	global_load_b32 v4, v[10:11], off offset:3072
	s_add_u32 s2, s16, s18
	s_addc_u32 s3, s17, s19
	v_add_co_u32 v11, s1, s2, v3
	s_delay_alu instid0(VALU_DEP_1) | instskip(NEXT) | instid1(VALU_DEP_2)
	v_add_co_ci_u32_e64 v12, null, s3, 0, s1
	v_add_co_u32 v5, vcc_lo, 0x1000, v11
	s_delay_alu instid0(VALU_DEP_2)
	v_add_co_ci_u32_e32 v6, vcc_lo, 0, v12, vcc_lo
	v_add_co_u32 v7, vcc_lo, v11, 0x2000
	v_add_co_ci_u32_e32 v8, vcc_lo, 0, v12, vcc_lo
	v_add_co_u32 v9, vcc_lo, 0x2000, v11
	;; [unrolled: 2-line block ×3, first 2 shown]
	s_mov_b32 s21, -1
	v_add_co_ci_u32_e32 v12, vcc_lo, 0, v12, vcc_lo
	s_waitcnt vmcnt(15)
	global_store_b32 v[7:8], v13, off
	s_waitcnt vmcnt(14)
	global_store_b32 v3, v14, s[2:3]
	s_waitcnt vmcnt(13)
	global_store_b32 v3, v15, s[2:3] offset:1024
	s_waitcnt vmcnt(12)
	global_store_b32 v3, v16, s[2:3] offset:2048
	;; [unrolled: 2-line block ×3, first 2 shown]
	s_waitcnt vmcnt(10)
	global_store_b32 v[5:6], v18, off offset:1024
	s_waitcnt vmcnt(9)
	global_store_b32 v[5:6], v19, off offset:2048
	;; [unrolled: 2-line block ×6, first 2 shown]
	s_waitcnt vmcnt(4)
	global_store_b32 v[11:12], v24, off
	s_waitcnt vmcnt(3)
	global_store_b32 v[11:12], v25, off offset:1024
	s_waitcnt vmcnt(2)
	global_store_b32 v[7:8], v26, off offset:-4096
	s_waitcnt vmcnt(1)
	global_store_b32 v[11:12], v27, off offset:2048
	s_cbranch_execz .LBB79_3
	s_branch .LBB79_52
.LBB79_2:
                                        ; implicit-def: $vgpr4
	s_and_not1_b32 vcc_lo, exec_lo, s0
	s_cbranch_vccnz .LBB79_52
.LBB79_3:
	s_sub_i32 s15, s6, s20
                                        ; implicit-def: $vgpr5
	s_delay_alu instid0(SALU_CYCLE_1)
	v_cmp_gt_u32_e32 vcc_lo, s15, v0
	s_and_saveexec_b32 s0, vcc_lo
	s_cbranch_execz .LBB79_5
; %bb.4:
	global_load_b32 v5, v[1:2], off
.LBB79_5:
	s_or_b32 exec_lo, exec_lo, s0
	s_waitcnt vmcnt(0)
	v_or_b32_e32 v4, 0x100, v0
                                        ; implicit-def: $vgpr6
	s_delay_alu instid0(VALU_DEP_1) | instskip(NEXT) | instid1(VALU_DEP_1)
	v_cmp_gt_u32_e64 s0, s15, v4
	s_and_saveexec_b32 s1, s0
	s_cbranch_execz .LBB79_7
; %bb.6:
	global_load_b32 v6, v[1:2], off offset:1024
.LBB79_7:
	s_or_b32 exec_lo, exec_lo, s1
	v_or_b32_e32 v4, 0x200, v0
                                        ; implicit-def: $vgpr7
	s_delay_alu instid0(VALU_DEP_1) | instskip(NEXT) | instid1(VALU_DEP_1)
	v_cmp_gt_u32_e64 s1, s15, v4
	s_and_saveexec_b32 s2, s1
	s_cbranch_execz .LBB79_9
; %bb.8:
	global_load_b32 v7, v[1:2], off offset:2048
.LBB79_9:
	s_or_b32 exec_lo, exec_lo, s2
	v_or_b32_e32 v4, 0x300, v0
                                        ; implicit-def: $vgpr8
	s_delay_alu instid0(VALU_DEP_1) | instskip(NEXT) | instid1(VALU_DEP_1)
	v_cmp_gt_u32_e64 s2, s15, v4
	s_and_saveexec_b32 s3, s2
	s_cbranch_execz .LBB79_11
; %bb.10:
	global_load_b32 v8, v[1:2], off offset:3072
.LBB79_11:
	s_or_b32 exec_lo, exec_lo, s3
	v_or_b32_e32 v4, 0x400, v0
                                        ; implicit-def: $vgpr9
	s_delay_alu instid0(VALU_DEP_1) | instskip(NEXT) | instid1(VALU_DEP_1)
	v_cmp_gt_u32_e64 s3, s15, v4
	s_and_saveexec_b32 s5, s3
	s_cbranch_execz .LBB79_13
; %bb.12:
	v_add_co_u32 v9, s4, 0x1000, v1
	s_delay_alu instid0(VALU_DEP_1)
	v_add_co_ci_u32_e64 v10, s4, 0, v2, s4
	global_load_b32 v9, v[9:10], off
.LBB79_13:
	s_or_b32 exec_lo, exec_lo, s5
	v_or_b32_e32 v4, 0x500, v0
                                        ; implicit-def: $vgpr10
	s_delay_alu instid0(VALU_DEP_1) | instskip(NEXT) | instid1(VALU_DEP_1)
	v_cmp_gt_u32_e64 s4, s15, v4
	s_and_saveexec_b32 s6, s4
	s_cbranch_execz .LBB79_15
; %bb.14:
	v_add_co_u32 v10, s5, 0x1000, v1
	s_delay_alu instid0(VALU_DEP_1)
	v_add_co_ci_u32_e64 v11, s5, 0, v2, s5
	global_load_b32 v10, v[10:11], off offset:1024
.LBB79_15:
	s_or_b32 exec_lo, exec_lo, s6
	v_or_b32_e32 v4, 0x600, v0
                                        ; implicit-def: $vgpr11
	s_delay_alu instid0(VALU_DEP_1) | instskip(NEXT) | instid1(VALU_DEP_1)
	v_cmp_gt_u32_e64 s5, s15, v4
	s_and_saveexec_b32 s7, s5
	s_cbranch_execz .LBB79_17
; %bb.16:
	v_add_co_u32 v11, s6, 0x1000, v1
	s_delay_alu instid0(VALU_DEP_1)
	v_add_co_ci_u32_e64 v12, s6, 0, v2, s6
	global_load_b32 v11, v[11:12], off offset:2048
.LBB79_17:
	s_or_b32 exec_lo, exec_lo, s7
	v_or_b32_e32 v4, 0x700, v0
                                        ; implicit-def: $vgpr12
	s_delay_alu instid0(VALU_DEP_1) | instskip(NEXT) | instid1(VALU_DEP_1)
	v_cmp_gt_u32_e64 s6, s15, v4
	s_and_saveexec_b32 s8, s6
	s_cbranch_execz .LBB79_19
; %bb.18:
	v_add_co_u32 v12, s7, 0x1000, v1
	s_delay_alu instid0(VALU_DEP_1)
	v_add_co_ci_u32_e64 v13, s7, 0, v2, s7
	global_load_b32 v12, v[12:13], off offset:3072
.LBB79_19:
	s_or_b32 exec_lo, exec_lo, s8
	v_or_b32_e32 v4, 0x800, v0
                                        ; implicit-def: $vgpr13
	s_delay_alu instid0(VALU_DEP_1) | instskip(NEXT) | instid1(VALU_DEP_1)
	v_cmp_gt_u32_e64 s7, s15, v4
	s_and_saveexec_b32 s9, s7
	s_cbranch_execz .LBB79_21
; %bb.20:
	v_add_co_u32 v13, s8, 0x2000, v1
	s_delay_alu instid0(VALU_DEP_1)
	v_add_co_ci_u32_e64 v14, s8, 0, v2, s8
	global_load_b32 v13, v[13:14], off
.LBB79_21:
	s_or_b32 exec_lo, exec_lo, s9
	v_or_b32_e32 v4, 0x900, v0
                                        ; implicit-def: $vgpr14
	s_delay_alu instid0(VALU_DEP_1) | instskip(NEXT) | instid1(VALU_DEP_1)
	v_cmp_gt_u32_e64 s8, s15, v4
	s_and_saveexec_b32 s10, s8
	s_cbranch_execz .LBB79_23
; %bb.22:
	v_add_co_u32 v14, s9, 0x2000, v1
	s_delay_alu instid0(VALU_DEP_1)
	v_add_co_ci_u32_e64 v15, s9, 0, v2, s9
	global_load_b32 v14, v[14:15], off offset:1024
.LBB79_23:
	s_or_b32 exec_lo, exec_lo, s10
	v_or_b32_e32 v4, 0xa00, v0
                                        ; implicit-def: $vgpr15
	s_delay_alu instid0(VALU_DEP_1) | instskip(NEXT) | instid1(VALU_DEP_1)
	v_cmp_gt_u32_e64 s9, s15, v4
	s_and_saveexec_b32 s11, s9
	s_cbranch_execz .LBB79_25
; %bb.24:
	v_add_co_u32 v15, s10, 0x2000, v1
	s_delay_alu instid0(VALU_DEP_1)
	v_add_co_ci_u32_e64 v16, s10, 0, v2, s10
	global_load_b32 v15, v[15:16], off offset:2048
.LBB79_25:
	s_or_b32 exec_lo, exec_lo, s11
	v_or_b32_e32 v4, 0xb00, v0
                                        ; implicit-def: $vgpr16
	s_delay_alu instid0(VALU_DEP_1) | instskip(NEXT) | instid1(VALU_DEP_1)
	v_cmp_gt_u32_e64 s10, s15, v4
	s_and_saveexec_b32 s12, s10
	s_cbranch_execz .LBB79_27
; %bb.26:
	v_add_co_u32 v16, s11, 0x2000, v1
	s_delay_alu instid0(VALU_DEP_1)
	v_add_co_ci_u32_e64 v17, s11, 0, v2, s11
	global_load_b32 v16, v[16:17], off offset:3072
.LBB79_27:
	s_or_b32 exec_lo, exec_lo, s12
	v_or_b32_e32 v4, 0xc00, v0
                                        ; implicit-def: $vgpr17
	s_delay_alu instid0(VALU_DEP_1) | instskip(NEXT) | instid1(VALU_DEP_1)
	v_cmp_gt_u32_e64 s11, s15, v4
	s_and_saveexec_b32 s13, s11
	s_cbranch_execz .LBB79_29
; %bb.28:
	v_add_co_u32 v17, s12, 0x3000, v1
	s_delay_alu instid0(VALU_DEP_1)
	v_add_co_ci_u32_e64 v18, s12, 0, v2, s12
	global_load_b32 v17, v[17:18], off
.LBB79_29:
	s_or_b32 exec_lo, exec_lo, s13
	v_or_b32_e32 v4, 0xd00, v0
                                        ; implicit-def: $vgpr18
	s_delay_alu instid0(VALU_DEP_1) | instskip(NEXT) | instid1(VALU_DEP_1)
	v_cmp_gt_u32_e64 s12, s15, v4
	s_and_saveexec_b32 s14, s12
	s_cbranch_execz .LBB79_31
; %bb.30:
	v_add_co_u32 v18, s13, 0x3000, v1
	s_delay_alu instid0(VALU_DEP_1)
	v_add_co_ci_u32_e64 v19, s13, 0, v2, s13
	global_load_b32 v18, v[18:19], off offset:1024
.LBB79_31:
	s_or_b32 exec_lo, exec_lo, s14
	v_or_b32_e32 v4, 0xe00, v0
                                        ; implicit-def: $vgpr19
	s_delay_alu instid0(VALU_DEP_1) | instskip(NEXT) | instid1(VALU_DEP_1)
	v_cmp_gt_u32_e64 s13, s15, v4
	s_and_saveexec_b32 s20, s13
	s_cbranch_execz .LBB79_33
; %bb.32:
	v_add_co_u32 v19, s14, 0x3000, v1
	s_delay_alu instid0(VALU_DEP_1)
	v_add_co_ci_u32_e64 v20, s14, 0, v2, s14
	global_load_b32 v19, v[19:20], off offset:2048
.LBB79_33:
	s_or_b32 exec_lo, exec_lo, s20
	v_or_b32_e32 v0, 0xf00, v0
                                        ; implicit-def: $vgpr4
	s_delay_alu instid0(VALU_DEP_1) | instskip(NEXT) | instid1(VALU_DEP_1)
	v_cmp_gt_u32_e64 s21, s15, v0
	s_and_saveexec_b32 s15, s21
	s_cbranch_execz .LBB79_35
; %bb.34:
	v_add_co_u32 v0, s14, 0x3000, v1
	s_delay_alu instid0(VALU_DEP_1)
	v_add_co_ci_u32_e64 v1, s14, 0, v2, s14
	global_load_b32 v4, v[0:1], off offset:3072
.LBB79_35:
	s_or_b32 exec_lo, exec_lo, s15
	s_add_u32 s14, s16, s18
	s_addc_u32 s15, s17, s19
	v_add_co_u32 v0, s14, s14, v3
	s_delay_alu instid0(VALU_DEP_1) | instskip(SKIP_1) | instid1(SALU_CYCLE_1)
	v_add_co_ci_u32_e64 v1, null, s15, 0, s14
	s_and_saveexec_b32 s14, vcc_lo
	s_xor_b32 s14, exec_lo, s14
	s_cbranch_execnz .LBB79_55
; %bb.36:
	s_or_b32 exec_lo, exec_lo, s14
	s_and_saveexec_b32 s14, s0
	s_cbranch_execnz .LBB79_56
.LBB79_37:
	s_or_b32 exec_lo, exec_lo, s14
	s_and_saveexec_b32 s0, s1
	s_cbranch_execnz .LBB79_57
.LBB79_38:
	s_or_b32 exec_lo, exec_lo, s0
	s_and_saveexec_b32 s0, s2
	s_cbranch_execnz .LBB79_58
.LBB79_39:
	s_or_b32 exec_lo, exec_lo, s0
	s_and_saveexec_b32 s0, s3
	s_cbranch_execnz .LBB79_59
.LBB79_40:
	s_or_b32 exec_lo, exec_lo, s0
	s_and_saveexec_b32 s0, s4
	s_cbranch_execnz .LBB79_60
.LBB79_41:
	s_or_b32 exec_lo, exec_lo, s0
	s_and_saveexec_b32 s0, s5
	s_cbranch_execnz .LBB79_61
.LBB79_42:
	s_or_b32 exec_lo, exec_lo, s0
	s_and_saveexec_b32 s0, s6
	s_cbranch_execnz .LBB79_62
.LBB79_43:
	s_or_b32 exec_lo, exec_lo, s0
	s_and_saveexec_b32 s0, s7
	s_cbranch_execnz .LBB79_63
.LBB79_44:
	s_or_b32 exec_lo, exec_lo, s0
	s_and_saveexec_b32 s0, s8
	s_cbranch_execnz .LBB79_64
.LBB79_45:
	s_or_b32 exec_lo, exec_lo, s0
	s_and_saveexec_b32 s0, s9
	s_cbranch_execnz .LBB79_65
.LBB79_46:
	s_or_b32 exec_lo, exec_lo, s0
	s_and_saveexec_b32 s0, s10
	s_cbranch_execnz .LBB79_66
.LBB79_47:
	s_or_b32 exec_lo, exec_lo, s0
	s_and_saveexec_b32 s0, s11
	s_cbranch_execnz .LBB79_67
.LBB79_48:
	s_or_b32 exec_lo, exec_lo, s0
	s_and_saveexec_b32 s0, s12
	s_cbranch_execnz .LBB79_68
.LBB79_49:
	s_or_b32 exec_lo, exec_lo, s0
	s_and_saveexec_b32 s0, s13
	s_cbranch_execz .LBB79_51
.LBB79_50:
	v_add_co_u32 v0, vcc_lo, 0x3000, v0
	v_add_co_ci_u32_e32 v1, vcc_lo, 0, v1, vcc_lo
	s_waitcnt vmcnt(0)
	global_store_b32 v[0:1], v19, off offset:2048
.LBB79_51:
	s_or_b32 exec_lo, exec_lo, s0
.LBB79_52:
	s_and_saveexec_b32 s0, s21
	s_cbranch_execnz .LBB79_54
; %bb.53:
	s_nop 0
	s_sendmsg sendmsg(MSG_DEALLOC_VGPRS)
	s_endpgm
.LBB79_54:
	s_add_u32 s0, s16, s18
	s_addc_u32 s1, s17, s19
	v_add_co_u32 v0, s0, s0, v3
	s_delay_alu instid0(VALU_DEP_1) | instskip(NEXT) | instid1(VALU_DEP_2)
	v_add_co_ci_u32_e64 v1, null, s1, 0, s0
	v_add_co_u32 v0, vcc_lo, 0x3000, v0
	s_delay_alu instid0(VALU_DEP_2)
	v_add_co_ci_u32_e32 v1, vcc_lo, 0, v1, vcc_lo
	s_waitcnt vmcnt(0)
	global_store_b32 v[0:1], v4, off offset:3072
	s_nop 0
	s_sendmsg sendmsg(MSG_DEALLOC_VGPRS)
	s_endpgm
.LBB79_55:
	global_store_b32 v[0:1], v5, off
	s_or_b32 exec_lo, exec_lo, s14
	s_and_saveexec_b32 s14, s0
	s_cbranch_execz .LBB79_37
.LBB79_56:
	s_waitcnt vmcnt(0)
	global_store_b32 v[0:1], v6, off offset:1024
	s_or_b32 exec_lo, exec_lo, s14
	s_and_saveexec_b32 s0, s1
	s_cbranch_execz .LBB79_38
.LBB79_57:
	s_waitcnt vmcnt(0)
	global_store_b32 v[0:1], v7, off offset:2048
	s_or_b32 exec_lo, exec_lo, s0
	s_and_saveexec_b32 s0, s2
	s_cbranch_execz .LBB79_39
.LBB79_58:
	s_waitcnt vmcnt(0)
	global_store_b32 v[0:1], v8, off offset:3072
	s_or_b32 exec_lo, exec_lo, s0
	s_and_saveexec_b32 s0, s3
	s_cbranch_execz .LBB79_40
.LBB79_59:
	v_add_co_u32 v5, vcc_lo, 0x1000, v0
	s_waitcnt vmcnt(0)
	v_add_co_ci_u32_e32 v6, vcc_lo, 0, v1, vcc_lo
	global_store_b32 v[5:6], v9, off
	s_or_b32 exec_lo, exec_lo, s0
	s_and_saveexec_b32 s0, s4
	s_cbranch_execz .LBB79_41
.LBB79_60:
	v_add_co_u32 v5, vcc_lo, 0x1000, v0
	s_waitcnt vmcnt(0)
	v_add_co_ci_u32_e32 v6, vcc_lo, 0, v1, vcc_lo
	global_store_b32 v[5:6], v10, off offset:1024
	s_or_b32 exec_lo, exec_lo, s0
	s_and_saveexec_b32 s0, s5
	s_cbranch_execz .LBB79_42
.LBB79_61:
	v_add_co_u32 v5, vcc_lo, 0x1000, v0
	s_waitcnt vmcnt(0)
	v_add_co_ci_u32_e32 v6, vcc_lo, 0, v1, vcc_lo
	global_store_b32 v[5:6], v11, off offset:2048
	s_or_b32 exec_lo, exec_lo, s0
	s_and_saveexec_b32 s0, s6
	s_cbranch_execz .LBB79_43
.LBB79_62:
	v_add_co_u32 v5, vcc_lo, 0x1000, v0
	s_waitcnt vmcnt(0)
	v_add_co_ci_u32_e32 v6, vcc_lo, 0, v1, vcc_lo
	global_store_b32 v[5:6], v12, off offset:3072
	s_or_b32 exec_lo, exec_lo, s0
	s_and_saveexec_b32 s0, s7
	s_cbranch_execz .LBB79_44
.LBB79_63:
	v_add_co_u32 v5, vcc_lo, 0x2000, v0
	s_waitcnt vmcnt(0)
	v_add_co_ci_u32_e32 v6, vcc_lo, 0, v1, vcc_lo
	global_store_b32 v[5:6], v13, off
	s_or_b32 exec_lo, exec_lo, s0
	s_and_saveexec_b32 s0, s8
	s_cbranch_execz .LBB79_45
.LBB79_64:
	v_add_co_u32 v5, vcc_lo, 0x2000, v0
	s_waitcnt vmcnt(0)
	v_add_co_ci_u32_e32 v6, vcc_lo, 0, v1, vcc_lo
	global_store_b32 v[5:6], v14, off offset:1024
	s_or_b32 exec_lo, exec_lo, s0
	s_and_saveexec_b32 s0, s9
	s_cbranch_execz .LBB79_46
.LBB79_65:
	v_add_co_u32 v5, vcc_lo, 0x2000, v0
	s_waitcnt vmcnt(0)
	v_add_co_ci_u32_e32 v6, vcc_lo, 0, v1, vcc_lo
	global_store_b32 v[5:6], v15, off offset:2048
	s_or_b32 exec_lo, exec_lo, s0
	s_and_saveexec_b32 s0, s10
	s_cbranch_execz .LBB79_47
.LBB79_66:
	v_add_co_u32 v5, vcc_lo, 0x2000, v0
	s_waitcnt vmcnt(0)
	v_add_co_ci_u32_e32 v6, vcc_lo, 0, v1, vcc_lo
	global_store_b32 v[5:6], v16, off offset:3072
	s_or_b32 exec_lo, exec_lo, s0
	s_and_saveexec_b32 s0, s11
	s_cbranch_execz .LBB79_48
.LBB79_67:
	v_add_co_u32 v5, vcc_lo, 0x3000, v0
	s_waitcnt vmcnt(0)
	v_add_co_ci_u32_e32 v6, vcc_lo, 0, v1, vcc_lo
	global_store_b32 v[5:6], v17, off
	s_or_b32 exec_lo, exec_lo, s0
	s_and_saveexec_b32 s0, s12
	s_cbranch_execz .LBB79_49
.LBB79_68:
	v_add_co_u32 v5, vcc_lo, 0x3000, v0
	s_waitcnt vmcnt(0)
	v_add_co_ci_u32_e32 v6, vcc_lo, 0, v1, vcc_lo
	global_store_b32 v[5:6], v18, off offset:1024
	s_or_b32 exec_lo, exec_lo, s0
	s_and_saveexec_b32 s0, s13
	s_cbranch_execnz .LBB79_50
	s_branch .LBB79_51
	.section	.rodata,"a",@progbits
	.p2align	6, 0x0
	.amdhsa_kernel _ZN7rocprim17ROCPRIM_304000_NS6detail16transform_kernelINS1_24wrapped_transform_configINS0_14default_configEiEEiPiS6_NS0_8identityIiEEEEvT1_mT2_T3_
		.amdhsa_group_segment_fixed_size 0
		.amdhsa_private_segment_fixed_size 0
		.amdhsa_kernarg_size 288
		.amdhsa_user_sgpr_count 15
		.amdhsa_user_sgpr_dispatch_ptr 0
		.amdhsa_user_sgpr_queue_ptr 0
		.amdhsa_user_sgpr_kernarg_segment_ptr 1
		.amdhsa_user_sgpr_dispatch_id 0
		.amdhsa_user_sgpr_private_segment_size 0
		.amdhsa_wavefront_size32 1
		.amdhsa_uses_dynamic_stack 0
		.amdhsa_enable_private_segment 0
		.amdhsa_system_sgpr_workgroup_id_x 1
		.amdhsa_system_sgpr_workgroup_id_y 0
		.amdhsa_system_sgpr_workgroup_id_z 0
		.amdhsa_system_sgpr_workgroup_info 0
		.amdhsa_system_vgpr_workitem_id 0
		.amdhsa_next_free_vgpr 28
		.amdhsa_next_free_sgpr 22
		.amdhsa_reserve_vcc 1
		.amdhsa_float_round_mode_32 0
		.amdhsa_float_round_mode_16_64 0
		.amdhsa_float_denorm_mode_32 3
		.amdhsa_float_denorm_mode_16_64 3
		.amdhsa_dx10_clamp 1
		.amdhsa_ieee_mode 1
		.amdhsa_fp16_overflow 0
		.amdhsa_workgroup_processor_mode 1
		.amdhsa_memory_ordered 1
		.amdhsa_forward_progress 0
		.amdhsa_shared_vgpr_count 0
		.amdhsa_exception_fp_ieee_invalid_op 0
		.amdhsa_exception_fp_denorm_src 0
		.amdhsa_exception_fp_ieee_div_zero 0
		.amdhsa_exception_fp_ieee_overflow 0
		.amdhsa_exception_fp_ieee_underflow 0
		.amdhsa_exception_fp_ieee_inexact 0
		.amdhsa_exception_int_div_zero 0
	.end_amdhsa_kernel
	.section	.text._ZN7rocprim17ROCPRIM_304000_NS6detail16transform_kernelINS1_24wrapped_transform_configINS0_14default_configEiEEiPiS6_NS0_8identityIiEEEEvT1_mT2_T3_,"axG",@progbits,_ZN7rocprim17ROCPRIM_304000_NS6detail16transform_kernelINS1_24wrapped_transform_configINS0_14default_configEiEEiPiS6_NS0_8identityIiEEEEvT1_mT2_T3_,comdat
.Lfunc_end79:
	.size	_ZN7rocprim17ROCPRIM_304000_NS6detail16transform_kernelINS1_24wrapped_transform_configINS0_14default_configEiEEiPiS6_NS0_8identityIiEEEEvT1_mT2_T3_, .Lfunc_end79-_ZN7rocprim17ROCPRIM_304000_NS6detail16transform_kernelINS1_24wrapped_transform_configINS0_14default_configEiEEiPiS6_NS0_8identityIiEEEEvT1_mT2_T3_
                                        ; -- End function
	.section	.AMDGPU.csdata,"",@progbits
; Kernel info:
; codeLenInByte = 2336
; NumSgprs: 24
; NumVgprs: 28
; ScratchSize: 0
; MemoryBound: 0
; FloatMode: 240
; IeeeMode: 1
; LDSByteSize: 0 bytes/workgroup (compile time only)
; SGPRBlocks: 2
; VGPRBlocks: 3
; NumSGPRsForWavesPerEU: 24
; NumVGPRsForWavesPerEU: 28
; Occupancy: 16
; WaveLimiterHint : 1
; COMPUTE_PGM_RSRC2:SCRATCH_EN: 0
; COMPUTE_PGM_RSRC2:USER_SGPR: 15
; COMPUTE_PGM_RSRC2:TRAP_HANDLER: 0
; COMPUTE_PGM_RSRC2:TGID_X_EN: 1
; COMPUTE_PGM_RSRC2:TGID_Y_EN: 0
; COMPUTE_PGM_RSRC2:TGID_Z_EN: 0
; COMPUTE_PGM_RSRC2:TIDIG_COMP_CNT: 0
	.section	.text._ZN7rocprim17ROCPRIM_304000_NS6detail45device_block_merge_mergepath_partition_kernelINS1_37wrapped_merge_sort_block_merge_configINS0_14default_configEiN2at4cuda3cub6detail10OpaqueTypeILi8EEEEEPijNS1_19radix_merge_compareILb1ELb1EiNS0_19identity_decomposerEEEEEvT0_T1_jPSH_T2_SH_,"axG",@progbits,_ZN7rocprim17ROCPRIM_304000_NS6detail45device_block_merge_mergepath_partition_kernelINS1_37wrapped_merge_sort_block_merge_configINS0_14default_configEiN2at4cuda3cub6detail10OpaqueTypeILi8EEEEEPijNS1_19radix_merge_compareILb1ELb1EiNS0_19identity_decomposerEEEEEvT0_T1_jPSH_T2_SH_,comdat
	.protected	_ZN7rocprim17ROCPRIM_304000_NS6detail45device_block_merge_mergepath_partition_kernelINS1_37wrapped_merge_sort_block_merge_configINS0_14default_configEiN2at4cuda3cub6detail10OpaqueTypeILi8EEEEEPijNS1_19radix_merge_compareILb1ELb1EiNS0_19identity_decomposerEEEEEvT0_T1_jPSH_T2_SH_ ; -- Begin function _ZN7rocprim17ROCPRIM_304000_NS6detail45device_block_merge_mergepath_partition_kernelINS1_37wrapped_merge_sort_block_merge_configINS0_14default_configEiN2at4cuda3cub6detail10OpaqueTypeILi8EEEEEPijNS1_19radix_merge_compareILb1ELb1EiNS0_19identity_decomposerEEEEEvT0_T1_jPSH_T2_SH_
	.globl	_ZN7rocprim17ROCPRIM_304000_NS6detail45device_block_merge_mergepath_partition_kernelINS1_37wrapped_merge_sort_block_merge_configINS0_14default_configEiN2at4cuda3cub6detail10OpaqueTypeILi8EEEEEPijNS1_19radix_merge_compareILb1ELb1EiNS0_19identity_decomposerEEEEEvT0_T1_jPSH_T2_SH_
	.p2align	8
	.type	_ZN7rocprim17ROCPRIM_304000_NS6detail45device_block_merge_mergepath_partition_kernelINS1_37wrapped_merge_sort_block_merge_configINS0_14default_configEiN2at4cuda3cub6detail10OpaqueTypeILi8EEEEEPijNS1_19radix_merge_compareILb1ELb1EiNS0_19identity_decomposerEEEEEvT0_T1_jPSH_T2_SH_,@function
_ZN7rocprim17ROCPRIM_304000_NS6detail45device_block_merge_mergepath_partition_kernelINS1_37wrapped_merge_sort_block_merge_configINS0_14default_configEiN2at4cuda3cub6detail10OpaqueTypeILi8EEEEEPijNS1_19radix_merge_compareILb1ELb1EiNS0_19identity_decomposerEEEEEvT0_T1_jPSH_T2_SH_: ; @_ZN7rocprim17ROCPRIM_304000_NS6detail45device_block_merge_mergepath_partition_kernelINS1_37wrapped_merge_sort_block_merge_configINS0_14default_configEiN2at4cuda3cub6detail10OpaqueTypeILi8EEEEEPijNS1_19radix_merge_compareILb1ELb1EiNS0_19identity_decomposerEEEEEvT0_T1_jPSH_T2_SH_
; %bb.0:
	s_load_b64 s[4:5], s[0:1], 0x8
	v_lshl_or_b32 v0, s15, 7, v0
	s_mov_b32 s2, exec_lo
	s_waitcnt lgkmcnt(0)
	s_delay_alu instid0(VALU_DEP_1)
	v_cmpx_gt_u32_e64 s5, v0
	s_cbranch_execz .LBB80_6
; %bb.1:
	s_load_b64 s[2:3], s[0:1], 0x18
	s_waitcnt lgkmcnt(0)
	s_lshr_b32 s5, s3, 9
	s_delay_alu instid0(SALU_CYCLE_1) | instskip(NEXT) | instid1(SALU_CYCLE_1)
	s_and_b32 s5, s5, 0x7ffffe
	s_sub_i32 s6, 0, s5
	s_add_i32 s5, s5, -1
	v_and_b32_e32 v1, s6, v0
	v_and_b32_e32 v5, s5, v0
	s_delay_alu instid0(VALU_DEP_2) | instskip(NEXT) | instid1(VALU_DEP_1)
	v_lshlrev_b32_e32 v1, 10, v1
	v_add_nc_u32_e32 v2, s3, v1
	s_delay_alu instid0(VALU_DEP_1) | instskip(SKIP_1) | instid1(VALU_DEP_2)
	v_min_u32_e32 v4, s4, v2
	v_min_u32_e32 v2, s4, v1
	v_add_nc_u32_e32 v3, s3, v4
	s_mov_b32 s3, exec_lo
	s_delay_alu instid0(VALU_DEP_1) | instskip(SKIP_1) | instid1(VALU_DEP_2)
	v_min_u32_e32 v1, s4, v3
	v_lshlrev_b32_e32 v3, 10, v5
	v_sub_nc_u32_e32 v5, v1, v2
	v_sub_nc_u32_e32 v6, v1, v4
	s_delay_alu instid0(VALU_DEP_2) | instskip(SKIP_1) | instid1(VALU_DEP_2)
	v_min_u32_e32 v1, v5, v3
	v_sub_nc_u32_e32 v3, v4, v2
	v_sub_nc_u32_e64 v6, v1, v6 clamp
	s_delay_alu instid0(VALU_DEP_2) | instskip(NEXT) | instid1(VALU_DEP_1)
	v_min_u32_e32 v7, v1, v3
	v_cmpx_lt_u32_e64 v6, v7
	s_cbranch_execz .LBB80_5
; %bb.2:
	s_load_b64 s[4:5], s[0:1], 0x0
	v_mov_b32_e32 v5, 0
	s_delay_alu instid0(VALU_DEP_1) | instskip(SKIP_1) | instid1(VALU_DEP_2)
	v_mov_b32_e32 v3, v5
	v_lshlrev_b64 v[10:11], 2, v[4:5]
	v_lshlrev_b64 v[8:9], 2, v[2:3]
	s_waitcnt lgkmcnt(0)
	s_delay_alu instid0(VALU_DEP_1) | instskip(NEXT) | instid1(VALU_DEP_2)
	v_add_co_u32 v3, vcc_lo, s4, v8
	v_add_co_ci_u32_e32 v8, vcc_lo, s5, v9, vcc_lo
	s_delay_alu instid0(VALU_DEP_4)
	v_add_co_u32 v9, vcc_lo, s4, v10
	v_add_co_ci_u32_e32 v10, vcc_lo, s5, v11, vcc_lo
	s_mov_b32 s4, 0
	.p2align	6
.LBB80_3:                               ; =>This Inner Loop Header: Depth=1
	v_add_nc_u32_e32 v4, v7, v6
	v_mov_b32_e32 v12, v5
	s_delay_alu instid0(VALU_DEP_2) | instskip(NEXT) | instid1(VALU_DEP_1)
	v_lshrrev_b32_e32 v4, 1, v4
	v_xad_u32 v11, v4, -1, v1
	v_lshlrev_b64 v[13:14], 2, v[4:5]
	s_delay_alu instid0(VALU_DEP_2) | instskip(NEXT) | instid1(VALU_DEP_2)
	v_lshlrev_b64 v[11:12], 2, v[11:12]
	v_add_co_u32 v13, vcc_lo, v3, v13
	s_delay_alu instid0(VALU_DEP_3) | instskip(NEXT) | instid1(VALU_DEP_3)
	v_add_co_ci_u32_e32 v14, vcc_lo, v8, v14, vcc_lo
	v_add_co_u32 v11, vcc_lo, v9, v11
	s_delay_alu instid0(VALU_DEP_4)
	v_add_co_ci_u32_e32 v12, vcc_lo, v10, v12, vcc_lo
	s_clause 0x1
	global_load_b32 v13, v[13:14], off
	global_load_b32 v11, v[11:12], off
	s_waitcnt vmcnt(1)
	v_and_b32_e32 v12, s2, v13
	s_waitcnt vmcnt(0)
	v_and_b32_e32 v11, s2, v11
	v_add_nc_u32_e32 v13, 1, v4
	s_delay_alu instid0(VALU_DEP_2) | instskip(NEXT) | instid1(VALU_DEP_2)
	v_cmp_gt_i32_e32 vcc_lo, v11, v12
	v_dual_cndmask_b32 v7, v7, v4 :: v_dual_cndmask_b32 v6, v13, v6
	s_delay_alu instid0(VALU_DEP_1) | instskip(SKIP_1) | instid1(SALU_CYCLE_1)
	v_cmp_ge_u32_e32 vcc_lo, v6, v7
	s_or_b32 s4, vcc_lo, s4
	s_and_not1_b32 exec_lo, exec_lo, s4
	s_cbranch_execnz .LBB80_3
; %bb.4:
	s_or_b32 exec_lo, exec_lo, s4
.LBB80_5:
	s_delay_alu instid0(SALU_CYCLE_1) | instskip(SKIP_2) | instid1(VALU_DEP_1)
	s_or_b32 exec_lo, exec_lo, s3
	s_load_b64 s[0:1], s[0:1], 0x10
	v_dual_mov_b32 v1, 0 :: v_dual_add_nc_u32 v2, v6, v2
	v_lshlrev_b64 v[0:1], 2, v[0:1]
	s_waitcnt lgkmcnt(0)
	s_delay_alu instid0(VALU_DEP_1) | instskip(NEXT) | instid1(VALU_DEP_2)
	v_add_co_u32 v0, vcc_lo, s0, v0
	v_add_co_ci_u32_e32 v1, vcc_lo, s1, v1, vcc_lo
	global_store_b32 v[0:1], v2, off
.LBB80_6:
	s_nop 0
	s_sendmsg sendmsg(MSG_DEALLOC_VGPRS)
	s_endpgm
	.section	.rodata,"a",@progbits
	.p2align	6, 0x0
	.amdhsa_kernel _ZN7rocprim17ROCPRIM_304000_NS6detail45device_block_merge_mergepath_partition_kernelINS1_37wrapped_merge_sort_block_merge_configINS0_14default_configEiN2at4cuda3cub6detail10OpaqueTypeILi8EEEEEPijNS1_19radix_merge_compareILb1ELb1EiNS0_19identity_decomposerEEEEEvT0_T1_jPSH_T2_SH_
		.amdhsa_group_segment_fixed_size 0
		.amdhsa_private_segment_fixed_size 0
		.amdhsa_kernarg_size 32
		.amdhsa_user_sgpr_count 15
		.amdhsa_user_sgpr_dispatch_ptr 0
		.amdhsa_user_sgpr_queue_ptr 0
		.amdhsa_user_sgpr_kernarg_segment_ptr 1
		.amdhsa_user_sgpr_dispatch_id 0
		.amdhsa_user_sgpr_private_segment_size 0
		.amdhsa_wavefront_size32 1
		.amdhsa_uses_dynamic_stack 0
		.amdhsa_enable_private_segment 0
		.amdhsa_system_sgpr_workgroup_id_x 1
		.amdhsa_system_sgpr_workgroup_id_y 0
		.amdhsa_system_sgpr_workgroup_id_z 0
		.amdhsa_system_sgpr_workgroup_info 0
		.amdhsa_system_vgpr_workitem_id 0
		.amdhsa_next_free_vgpr 15
		.amdhsa_next_free_sgpr 16
		.amdhsa_reserve_vcc 1
		.amdhsa_float_round_mode_32 0
		.amdhsa_float_round_mode_16_64 0
		.amdhsa_float_denorm_mode_32 3
		.amdhsa_float_denorm_mode_16_64 3
		.amdhsa_dx10_clamp 1
		.amdhsa_ieee_mode 1
		.amdhsa_fp16_overflow 0
		.amdhsa_workgroup_processor_mode 1
		.amdhsa_memory_ordered 1
		.amdhsa_forward_progress 0
		.amdhsa_shared_vgpr_count 0
		.amdhsa_exception_fp_ieee_invalid_op 0
		.amdhsa_exception_fp_denorm_src 0
		.amdhsa_exception_fp_ieee_div_zero 0
		.amdhsa_exception_fp_ieee_overflow 0
		.amdhsa_exception_fp_ieee_underflow 0
		.amdhsa_exception_fp_ieee_inexact 0
		.amdhsa_exception_int_div_zero 0
	.end_amdhsa_kernel
	.section	.text._ZN7rocprim17ROCPRIM_304000_NS6detail45device_block_merge_mergepath_partition_kernelINS1_37wrapped_merge_sort_block_merge_configINS0_14default_configEiN2at4cuda3cub6detail10OpaqueTypeILi8EEEEEPijNS1_19radix_merge_compareILb1ELb1EiNS0_19identity_decomposerEEEEEvT0_T1_jPSH_T2_SH_,"axG",@progbits,_ZN7rocprim17ROCPRIM_304000_NS6detail45device_block_merge_mergepath_partition_kernelINS1_37wrapped_merge_sort_block_merge_configINS0_14default_configEiN2at4cuda3cub6detail10OpaqueTypeILi8EEEEEPijNS1_19radix_merge_compareILb1ELb1EiNS0_19identity_decomposerEEEEEvT0_T1_jPSH_T2_SH_,comdat
.Lfunc_end80:
	.size	_ZN7rocprim17ROCPRIM_304000_NS6detail45device_block_merge_mergepath_partition_kernelINS1_37wrapped_merge_sort_block_merge_configINS0_14default_configEiN2at4cuda3cub6detail10OpaqueTypeILi8EEEEEPijNS1_19radix_merge_compareILb1ELb1EiNS0_19identity_decomposerEEEEEvT0_T1_jPSH_T2_SH_, .Lfunc_end80-_ZN7rocprim17ROCPRIM_304000_NS6detail45device_block_merge_mergepath_partition_kernelINS1_37wrapped_merge_sort_block_merge_configINS0_14default_configEiN2at4cuda3cub6detail10OpaqueTypeILi8EEEEEPijNS1_19radix_merge_compareILb1ELb1EiNS0_19identity_decomposerEEEEEvT0_T1_jPSH_T2_SH_
                                        ; -- End function
	.section	.AMDGPU.csdata,"",@progbits
; Kernel info:
; codeLenInByte = 480
; NumSgprs: 18
; NumVgprs: 15
; ScratchSize: 0
; MemoryBound: 0
; FloatMode: 240
; IeeeMode: 1
; LDSByteSize: 0 bytes/workgroup (compile time only)
; SGPRBlocks: 2
; VGPRBlocks: 1
; NumSGPRsForWavesPerEU: 18
; NumVGPRsForWavesPerEU: 15
; Occupancy: 16
; WaveLimiterHint : 0
; COMPUTE_PGM_RSRC2:SCRATCH_EN: 0
; COMPUTE_PGM_RSRC2:USER_SGPR: 15
; COMPUTE_PGM_RSRC2:TRAP_HANDLER: 0
; COMPUTE_PGM_RSRC2:TGID_X_EN: 1
; COMPUTE_PGM_RSRC2:TGID_Y_EN: 0
; COMPUTE_PGM_RSRC2:TGID_Z_EN: 0
; COMPUTE_PGM_RSRC2:TIDIG_COMP_CNT: 0
	.section	.text._ZN7rocprim17ROCPRIM_304000_NS6detail35device_block_merge_mergepath_kernelINS1_37wrapped_merge_sort_block_merge_configINS0_14default_configEiN2at4cuda3cub6detail10OpaqueTypeILi8EEEEEPiSC_PSA_SD_jNS1_19radix_merge_compareILb1ELb1EiNS0_19identity_decomposerEEEEEvT0_T1_T2_T3_T4_SL_jT5_PKSL_NS1_7vsmem_tE,"axG",@progbits,_ZN7rocprim17ROCPRIM_304000_NS6detail35device_block_merge_mergepath_kernelINS1_37wrapped_merge_sort_block_merge_configINS0_14default_configEiN2at4cuda3cub6detail10OpaqueTypeILi8EEEEEPiSC_PSA_SD_jNS1_19radix_merge_compareILb1ELb1EiNS0_19identity_decomposerEEEEEvT0_T1_T2_T3_T4_SL_jT5_PKSL_NS1_7vsmem_tE,comdat
	.protected	_ZN7rocprim17ROCPRIM_304000_NS6detail35device_block_merge_mergepath_kernelINS1_37wrapped_merge_sort_block_merge_configINS0_14default_configEiN2at4cuda3cub6detail10OpaqueTypeILi8EEEEEPiSC_PSA_SD_jNS1_19radix_merge_compareILb1ELb1EiNS0_19identity_decomposerEEEEEvT0_T1_T2_T3_T4_SL_jT5_PKSL_NS1_7vsmem_tE ; -- Begin function _ZN7rocprim17ROCPRIM_304000_NS6detail35device_block_merge_mergepath_kernelINS1_37wrapped_merge_sort_block_merge_configINS0_14default_configEiN2at4cuda3cub6detail10OpaqueTypeILi8EEEEEPiSC_PSA_SD_jNS1_19radix_merge_compareILb1ELb1EiNS0_19identity_decomposerEEEEEvT0_T1_T2_T3_T4_SL_jT5_PKSL_NS1_7vsmem_tE
	.globl	_ZN7rocprim17ROCPRIM_304000_NS6detail35device_block_merge_mergepath_kernelINS1_37wrapped_merge_sort_block_merge_configINS0_14default_configEiN2at4cuda3cub6detail10OpaqueTypeILi8EEEEEPiSC_PSA_SD_jNS1_19radix_merge_compareILb1ELb1EiNS0_19identity_decomposerEEEEEvT0_T1_T2_T3_T4_SL_jT5_PKSL_NS1_7vsmem_tE
	.p2align	8
	.type	_ZN7rocprim17ROCPRIM_304000_NS6detail35device_block_merge_mergepath_kernelINS1_37wrapped_merge_sort_block_merge_configINS0_14default_configEiN2at4cuda3cub6detail10OpaqueTypeILi8EEEEEPiSC_PSA_SD_jNS1_19radix_merge_compareILb1ELb1EiNS0_19identity_decomposerEEEEEvT0_T1_T2_T3_T4_SL_jT5_PKSL_NS1_7vsmem_tE,@function
_ZN7rocprim17ROCPRIM_304000_NS6detail35device_block_merge_mergepath_kernelINS1_37wrapped_merge_sort_block_merge_configINS0_14default_configEiN2at4cuda3cub6detail10OpaqueTypeILi8EEEEEPiSC_PSA_SD_jNS1_19radix_merge_compareILb1ELb1EiNS0_19identity_decomposerEEEEEvT0_T1_T2_T3_T4_SL_jT5_PKSL_NS1_7vsmem_tE: ; @_ZN7rocprim17ROCPRIM_304000_NS6detail35device_block_merge_mergepath_kernelINS1_37wrapped_merge_sort_block_merge_configINS0_14default_configEiN2at4cuda3cub6detail10OpaqueTypeILi8EEEEEPiSC_PSA_SD_jNS1_19radix_merge_compareILb1ELb1EiNS0_19identity_decomposerEEEEEvT0_T1_T2_T3_T4_SL_jT5_PKSL_NS1_7vsmem_tE
; %bb.0:
	s_clause 0x1
	s_load_b64 s[24:25], s[0:1], 0x40
	s_load_b128 s[16:19], s[0:1], 0x20
	s_add_u32 s22, s0, 64
	s_addc_u32 s23, s1, 0
	s_waitcnt lgkmcnt(0)
	s_mul_i32 s2, s25, s15
	s_delay_alu instid0(SALU_CYCLE_1) | instskip(NEXT) | instid1(SALU_CYCLE_1)
	s_add_i32 s2, s2, s14
	s_mul_i32 s2, s2, s24
	s_delay_alu instid0(SALU_CYCLE_1) | instskip(NEXT) | instid1(SALU_CYCLE_1)
	s_add_i32 s2, s2, s13
	s_cmp_ge_u32 s2, s18
	s_cbranch_scc1 .LBB81_53
; %bb.1:
	s_load_b64 s[4:5], s[0:1], 0x30
	s_lshr_b32 s30, s16, 10
	s_mov_b32 s15, 0
	s_cmp_lg_u32 s2, s30
	s_mov_b32 s3, s15
	s_cselect_b32 s18, -1, 0
	s_lshl_b64 s[6:7], s[2:3], 2
	v_mov_b32_e32 v4, 0
	s_mov_b32 s21, s15
	v_lshlrev_b32_e32 v5, 2, v0
	s_waitcnt lgkmcnt(0)
	s_add_u32 s4, s4, s6
	s_addc_u32 s5, s5, s7
	s_lshl_b32 s12, s2, 10
	s_load_b64 s[26:27], s[4:5], 0x0
	s_load_b256 s[4:11], s[0:1], 0x0
	global_load_b32 v1, v4, s[22:23] offset:14
	s_lshr_b32 s0, s17, 9
	s_delay_alu instid0(SALU_CYCLE_1) | instskip(NEXT) | instid1(SALU_CYCLE_1)
	s_and_b32 s0, s0, 0x7ffffe
	s_sub_i32 s0, 0, s0
	s_delay_alu instid0(SALU_CYCLE_1)
	s_and_b32 s1, s2, s0
	s_or_b32 s0, s2, s0
	s_lshl_b32 s3, s1, 11
	s_lshl_b32 s1, s1, 10
	s_add_i32 s3, s3, s17
	s_sub_i32 s14, s12, s1
	s_sub_i32 s1, s3, s1
	s_add_i32 s3, s3, s14
	s_min_u32 s25, s16, s1
	s_add_i32 s1, s1, s17
	s_waitcnt lgkmcnt(0)
	s_sub_i32 s14, s3, s26
	s_sub_i32 s3, s3, s27
	s_min_u32 s20, s16, s14
	s_addk_i32 s3, 0x400
	s_cmp_eq_u32 s0, -1
	s_mov_b32 s14, s26
	s_cselect_b32 s3, s1, s3
	s_cselect_b32 s17, s25, s27
	s_min_u32 s3, s3, s16
	s_lshl_b64 s[0:1], s[14:15], 2
	s_sub_i32 s17, s17, s26
	s_sub_i32 s25, s3, s20
	s_add_u32 s26, s4, s0
	s_addc_u32 s27, s5, s1
	s_lshl_b64 s[28:29], s[20:21], 2
	v_cmp_gt_u32_e32 vcc_lo, s17, v0
	s_add_u32 s1, s4, s28
	s_addc_u32 s4, s5, s29
	s_cmp_lt_u32 s13, s24
	s_cselect_b32 s0, 12, 18
	s_delay_alu instid0(SALU_CYCLE_1)
	s_add_u32 s22, s22, s0
	s_addc_u32 s23, s23, 0
	s_cmp_eq_u32 s2, s30
	s_mov_b32 s0, -1
	s_waitcnt vmcnt(0)
	v_lshrrev_b32_e32 v3, 16, v1
	v_and_b32_e32 v1, 0xffff, v1
	global_load_u16 v2, v4, s[22:23]
	v_mul_lo_u32 v1, v1, v3
	s_waitcnt vmcnt(0)
	s_delay_alu instid0(VALU_DEP_1) | instskip(NEXT) | instid1(VALU_DEP_1)
	v_mul_lo_u32 v1, v1, v2
	v_add_nc_u32_e32 v1, v1, v0
	s_cbranch_scc1 .LBB81_3
; %bb.2:
	v_subrev_nc_u32_e32 v3, s17, v0
	v_add_co_u32 v10, s0, s26, v5
	s_delay_alu instid0(VALU_DEP_1) | instskip(NEXT) | instid1(VALU_DEP_3)
	v_add_co_ci_u32_e64 v11, null, s27, 0, s0
	v_lshlrev_b64 v[6:7], 2, v[3:4]
	v_subrev_nc_u32_e32 v3, s17, v1
	s_add_i32 s3, s25, s17
	s_delay_alu instid0(VALU_DEP_2) | instskip(NEXT) | instid1(VALU_DEP_1)
	v_add_co_u32 v6, s0, s1, v6
	v_add_co_ci_u32_e64 v7, s0, s4, v7, s0
	v_mov_b32_e32 v2, v4
	s_delay_alu instid0(VALU_DEP_1) | instskip(SKIP_1) | instid1(VALU_DEP_2)
	v_lshlrev_b64 v[8:9], 2, v[1:2]
	v_lshlrev_b64 v[2:3], 2, v[3:4]
	v_add_co_u32 v4, s0, s26, v8
	s_delay_alu instid0(VALU_DEP_1) | instskip(NEXT) | instid1(VALU_DEP_3)
	v_add_co_ci_u32_e64 v8, s0, s27, v9, s0
	v_add_co_u32 v9, s0, s1, v2
	s_delay_alu instid0(VALU_DEP_1) | instskip(SKIP_3) | instid1(VALU_DEP_2)
	v_add_co_ci_u32_e64 v12, s0, s4, v3, s0
	v_cndmask_b32_e32 v3, v7, v11, vcc_lo
	v_cmp_gt_u32_e64 s0, s17, v1
	v_cndmask_b32_e32 v2, v6, v10, vcc_lo
	v_cndmask_b32_e64 v8, v12, v8, s0
	v_cndmask_b32_e64 v7, v9, v4, s0
	global_load_b32 v6, v[2:3], off
	global_load_b32 v8, v[7:8], off
	s_mov_b32 s0, s15
	s_delay_alu instid0(SALU_CYCLE_1)
	s_and_not1_b32 vcc_lo, exec_lo, s0
	s_cbranch_vccz .LBB81_4
	s_branch .LBB81_9
.LBB81_3:
                                        ; implicit-def: $vgpr8
                                        ; implicit-def: $vgpr6
                                        ; implicit-def: $sgpr3
	s_and_not1_b32 vcc_lo, exec_lo, s0
	s_cbranch_vccnz .LBB81_9
.LBB81_4:
	s_add_i32 s3, s25, s17
	s_mov_b32 s0, exec_lo
                                        ; implicit-def: $vgpr6
	v_cmpx_gt_u32_e64 s3, v0
	s_cbranch_execz .LBB81_6
; %bb.5:
	v_subrev_nc_u32_e32 v2, s17, v0
	v_add_co_u32 v4, s2, s26, v5
	v_mov_b32_e32 v3, 0
	s_waitcnt vmcnt(1)
	v_add_co_ci_u32_e64 v6, null, s27, 0, s2
	s_delay_alu instid0(VALU_DEP_2) | instskip(NEXT) | instid1(VALU_DEP_1)
	v_lshlrev_b64 v[2:3], 2, v[2:3]
	v_add_co_u32 v2, vcc_lo, s1, v2
	s_delay_alu instid0(VALU_DEP_2) | instskip(SKIP_1) | instid1(VALU_DEP_2)
	v_add_co_ci_u32_e32 v3, vcc_lo, s4, v3, vcc_lo
	v_cmp_gt_u32_e32 vcc_lo, s17, v0
	v_dual_cndmask_b32 v2, v2, v4 :: v_dual_cndmask_b32 v3, v3, v6
	global_load_b32 v6, v[2:3], off
.LBB81_6:
	s_or_b32 exec_lo, exec_lo, s0
	s_delay_alu instid0(SALU_CYCLE_1)
	s_mov_b32 s2, exec_lo
                                        ; implicit-def: $vgpr8
	v_cmpx_gt_u32_e64 s3, v1
	s_cbranch_execz .LBB81_8
; %bb.7:
	v_mov_b32_e32 v2, 0
	s_delay_alu instid0(VALU_DEP_1) | instskip(NEXT) | instid1(VALU_DEP_1)
	v_lshlrev_b64 v[3:4], 2, v[1:2]
	v_add_co_u32 v3, vcc_lo, s26, v3
	s_delay_alu instid0(VALU_DEP_2) | instskip(SKIP_2) | instid1(VALU_DEP_1)
	v_add_co_ci_u32_e32 v4, vcc_lo, s27, v4, vcc_lo
	v_cmp_gt_u32_e32 vcc_lo, s17, v1
	v_subrev_nc_u32_e32 v1, s17, v1
	v_lshlrev_b64 v[1:2], 2, v[1:2]
	s_delay_alu instid0(VALU_DEP_1) | instskip(NEXT) | instid1(VALU_DEP_1)
	v_add_co_u32 v1, s0, s1, v1
	v_add_co_ci_u32_e64 v2, s0, s4, v2, s0
	s_delay_alu instid0(VALU_DEP_1)
	v_dual_cndmask_b32 v1, v1, v3 :: v_dual_cndmask_b32 v2, v2, v4
	global_load_b32 v8, v[1:2], off
.LBB81_8:
	s_or_b32 exec_lo, exec_lo, s2
.LBB81_9:
	v_lshlrev_b32_e32 v7, 1, v0
	s_mov_b32 s0, exec_lo
	s_waitcnt vmcnt(0)
	ds_store_2addr_stride64_b32 v5, v6, v8 offset1:8
	s_waitcnt lgkmcnt(0)
	s_barrier
	v_min_u32_e32 v2, s3, v7
	buffer_gl0_inv
	v_sub_nc_u32_e64 v1, v2, s25 clamp
	v_min_u32_e32 v3, s17, v2
	s_delay_alu instid0(VALU_DEP_1)
	v_cmpx_lt_u32_e64 v1, v3
	s_cbranch_execz .LBB81_13
; %bb.10:
	v_lshlrev_b32_e32 v4, 2, v2
	s_mov_b32 s1, 0
	s_delay_alu instid0(VALU_DEP_1)
	v_lshl_add_u32 v4, s17, 2, v4
	.p2align	6
.LBB81_11:                              ; =>This Inner Loop Header: Depth=1
	v_add_nc_u32_e32 v9, v3, v1
	s_delay_alu instid0(VALU_DEP_1) | instskip(NEXT) | instid1(VALU_DEP_1)
	v_lshrrev_b32_e32 v9, 1, v9
	v_not_b32_e32 v10, v9
	v_lshlrev_b32_e32 v11, 2, v9
	v_add_nc_u32_e32 v12, 1, v9
	s_delay_alu instid0(VALU_DEP_3)
	v_lshl_add_u32 v10, v10, 2, v4
	ds_load_b32 v11, v11
	ds_load_b32 v10, v10
	s_waitcnt lgkmcnt(1)
	v_and_b32_e32 v11, s19, v11
	s_waitcnt lgkmcnt(0)
	v_and_b32_e32 v10, s19, v10
	s_delay_alu instid0(VALU_DEP_1) | instskip(SKIP_2) | instid1(VALU_DEP_1)
	v_cmp_gt_i32_e32 vcc_lo, v10, v11
	v_cndmask_b32_e32 v3, v3, v9, vcc_lo
	v_cndmask_b32_e32 v1, v12, v1, vcc_lo
	v_cmp_ge_u32_e32 vcc_lo, v1, v3
	s_or_b32 s1, vcc_lo, s1
	s_delay_alu instid0(SALU_CYCLE_1)
	s_and_not1_b32 exec_lo, exec_lo, s1
	s_cbranch_execnz .LBB81_11
; %bb.12:
	s_or_b32 exec_lo, exec_lo, s1
.LBB81_13:
	s_delay_alu instid0(SALU_CYCLE_1) | instskip(SKIP_2) | instid1(VALU_DEP_2)
	s_or_b32 exec_lo, exec_lo, s0
	v_sub_nc_u32_e32 v2, v2, v1
	v_cmp_ge_u32_e32 vcc_lo, s17, v1
                                        ; implicit-def: $vgpr10
                                        ; implicit-def: $vgpr11
	v_add_nc_u32_e32 v2, s17, v2
	s_delay_alu instid0(VALU_DEP_1) | instskip(NEXT) | instid1(VALU_DEP_1)
	v_cmp_ge_u32_e64 s0, s3, v2
	s_or_b32 s0, vcc_lo, s0
	s_delay_alu instid0(SALU_CYCLE_1)
	s_and_saveexec_b32 s4, s0
	s_cbranch_execz .LBB81_19
; %bb.14:
	v_cmp_gt_u32_e32 vcc_lo, s17, v1
                                        ; implicit-def: $vgpr3
	s_and_saveexec_b32 s0, vcc_lo
	s_cbranch_execz .LBB81_16
; %bb.15:
	v_lshlrev_b32_e32 v3, 2, v1
	ds_load_b32 v3, v3
.LBB81_16:
	s_or_b32 exec_lo, exec_lo, s0
	v_cmp_le_u32_e64 s0, s3, v2
	s_mov_b32 s2, exec_lo
                                        ; implicit-def: $vgpr4
	v_cmpx_gt_u32_e64 s3, v2
	s_cbranch_execz .LBB81_18
; %bb.17:
	v_lshlrev_b32_e32 v4, 2, v2
	ds_load_b32 v4, v4
.LBB81_18:
	s_or_b32 exec_lo, exec_lo, s2
	s_waitcnt lgkmcnt(0)
	v_and_b32_e32 v6, s19, v4
	v_and_b32_e32 v8, s19, v3
	s_delay_alu instid0(VALU_DEP_1) | instskip(NEXT) | instid1(VALU_DEP_1)
	v_cmp_le_i32_e64 s1, v6, v8
	s_and_b32 s1, vcc_lo, s1
	s_delay_alu instid0(SALU_CYCLE_1) | instskip(SKIP_1) | instid1(VALU_DEP_1)
	s_or_b32 vcc_lo, s0, s1
	v_cndmask_b32_e32 v11, v2, v1, vcc_lo
	v_add_nc_u32_e32 v8, 1, v11
	s_delay_alu instid0(VALU_DEP_1) | instskip(NEXT) | instid1(VALU_DEP_1)
	v_dual_mov_b32 v6, s17 :: v_dual_cndmask_b32 v1, v1, v8
	v_cndmask_b32_e32 v6, s3, v6, vcc_lo
	v_cndmask_b32_e32 v2, v8, v2, vcc_lo
	s_delay_alu instid0(VALU_DEP_3) | instskip(NEXT) | instid1(VALU_DEP_3)
	v_cmp_gt_u32_e64 s0, s17, v1
	v_add_nc_u32_e32 v6, -1, v6
	s_delay_alu instid0(VALU_DEP_3) | instskip(NEXT) | instid1(VALU_DEP_2)
	v_cmp_le_u32_e64 s2, s3, v2
	v_min_u32_e32 v6, v8, v6
	s_delay_alu instid0(VALU_DEP_1) | instskip(SKIP_3) | instid1(VALU_DEP_1)
	v_lshlrev_b32_e32 v6, 2, v6
	ds_load_b32 v6, v6
	s_waitcnt lgkmcnt(0)
	v_dual_cndmask_b32 v9, v6, v4 :: v_dual_cndmask_b32 v12, v3, v6
	v_and_b32_e32 v6, s19, v9
	s_delay_alu instid0(VALU_DEP_2) | instskip(NEXT) | instid1(VALU_DEP_1)
	v_and_b32_e32 v10, s19, v12
	v_cmp_le_i32_e64 s1, v6, v10
	v_cndmask_b32_e32 v6, v4, v3, vcc_lo
	s_delay_alu instid0(VALU_DEP_2) | instskip(NEXT) | instid1(SALU_CYCLE_1)
	s_and_b32 s0, s0, s1
	s_or_b32 vcc_lo, s2, s0
	v_cndmask_b32_e32 v10, v2, v1, vcc_lo
	v_cndmask_b32_e32 v8, v9, v12, vcc_lo
.LBB81_19:
	s_or_b32 exec_lo, exec_lo, s4
	s_lshl_b64 s[0:1], s[14:15], 3
	v_or_b32_e32 v9, 0x200, v0
	s_add_u32 s2, s8, s0
	s_addc_u32 s4, s9, s1
	s_lshl_b64 s[14:15], s[20:21], 3
	v_cmp_gt_u32_e64 s1, s17, v0
	v_cmp_le_u32_e64 s0, s17, v0
	s_add_u32 s8, s8, s14
	s_mov_b32 s5, 0
	s_addc_u32 s9, s9, s15
	s_and_not1_b32 vcc_lo, exec_lo, s18
	s_barrier
	buffer_gl0_inv
	s_cbranch_vccnz .LBB81_21
; %bb.20:
	v_subrev_nc_u32_e32 v1, s17, v0
	v_mov_b32_e32 v2, 0
	v_lshlrev_b32_e32 v14, 3, v0
	s_delay_alu instid0(VALU_DEP_2) | instskip(NEXT) | instid1(VALU_DEP_2)
	v_lshlrev_b64 v[3:4], 3, v[1:2]
	v_add_co_u32 v15, s5, s2, v14
	s_delay_alu instid0(VALU_DEP_1) | instskip(SKIP_1) | instid1(VALU_DEP_3)
	v_add_co_ci_u32_e64 v16, null, s4, 0, s5
	s_mov_b32 s5, -1
	v_add_co_u32 v1, vcc_lo, s8, v3
	s_delay_alu instid0(VALU_DEP_4) | instskip(NEXT) | instid1(VALU_DEP_1)
	v_add_co_ci_u32_e32 v3, vcc_lo, s9, v4, vcc_lo
	v_cndmask_b32_e64 v4, v3, v16, s1
	s_delay_alu instid0(VALU_DEP_3)
	v_cndmask_b32_e64 v3, v1, v15, s1
	v_subrev_nc_u32_e32 v1, s17, v9
	global_load_b64 v[12:13], v[3:4], off
	v_lshlrev_b64 v[1:2], 3, v[1:2]
	v_add_co_u32 v3, vcc_lo, 0x1000, v15
	v_add_co_ci_u32_e32 v4, vcc_lo, 0, v16, vcc_lo
	s_delay_alu instid0(VALU_DEP_3) | instskip(NEXT) | instid1(VALU_DEP_4)
	v_add_co_u32 v1, vcc_lo, s8, v1
	v_add_co_ci_u32_e32 v2, vcc_lo, s9, v2, vcc_lo
	v_cmp_gt_u32_e32 vcc_lo, s17, v9
	s_delay_alu instid0(VALU_DEP_2)
	v_dual_cndmask_b32 v1, v1, v3 :: v_dual_cndmask_b32 v2, v2, v4
	v_or_b32_e32 v4, 0x1000, v14
	s_waitcnt vmcnt(0)
	ds_store_b64 v14, v[12:13]
	s_cbranch_execz .LBB81_22
	s_branch .LBB81_33
.LBB81_21:
                                        ; implicit-def: $vgpr4
                                        ; implicit-def: $vgpr1_vgpr2
.LBB81_22:
	s_mov_b32 s1, 0
                                        ; implicit-def: $vgpr1_vgpr2
	s_and_saveexec_b32 s13, s0
	s_delay_alu instid0(SALU_CYCLE_1)
	s_xor_b32 s0, exec_lo, s13
	s_cbranch_execnz .LBB81_54
; %bb.23:
	s_and_not1_saveexec_b32 s0, s0
	s_cbranch_execnz .LBB81_57
.LBB81_24:
	s_or_b32 exec_lo, exec_lo, s0
	v_lshl_add_u32 v12, v0, 2, v5
	s_and_saveexec_b32 s0, s1
	s_cbranch_execz .LBB81_26
.LBB81_25:
	global_load_b64 v[1:2], v[1:2], off
	s_waitcnt vmcnt(0)
	ds_store_b64 v12, v[1:2]
.LBB81_26:
	s_or_b32 exec_lo, exec_lo, s0
	s_delay_alu instid0(SALU_CYCLE_1)
	s_mov_b32 s0, exec_lo
                                        ; implicit-def: $vgpr4
                                        ; implicit-def: $vgpr1_vgpr2
	v_cmpx_le_u32_e64 s17, v9
	s_xor_b32 s0, exec_lo, s0
	s_cbranch_execz .LBB81_30
; %bb.27:
	v_subrev_nc_u32_e32 v3, s17, v9
	s_mov_b32 s13, s5
	s_mov_b32 s1, exec_lo
                                        ; implicit-def: $vgpr4
                                        ; implicit-def: $vgpr1_vgpr2
	s_delay_alu instid0(VALU_DEP_1)
	v_cmpx_gt_u32_e64 s25, v3
; %bb.28:
	v_mov_b32_e32 v4, 0
	s_or_b32 s13, s5, exec_lo
	s_delay_alu instid0(VALU_DEP_1) | instskip(SKIP_1) | instid1(VALU_DEP_2)
	v_lshlrev_b64 v[1:2], 3, v[3:4]
	v_or_b32_e32 v4, 0x1000, v12
	v_add_co_u32 v1, vcc_lo, s8, v1
	s_delay_alu instid0(VALU_DEP_3)
	v_add_co_ci_u32_e32 v2, vcc_lo, s9, v2, vcc_lo
; %bb.29:
	s_or_b32 exec_lo, exec_lo, s1
	s_delay_alu instid0(SALU_CYCLE_1) | instskip(SKIP_1) | instid1(SALU_CYCLE_1)
	s_and_not1_b32 s1, s5, exec_lo
	s_and_b32 s5, s13, exec_lo
                                        ; implicit-def: $vgpr12
	s_or_b32 s5, s1, s5
.LBB81_30:
	s_and_not1_saveexec_b32 s0, s0
; %bb.31:
	v_lshlrev_b32_e32 v1, 3, v9
	v_or_b32_e32 v4, 0x1000, v12
	s_or_b32 s5, s5, exec_lo
	s_delay_alu instid0(VALU_DEP_2) | instskip(NEXT) | instid1(VALU_DEP_1)
	v_add_co_u32 v1, s1, s2, v1
	v_add_co_ci_u32_e64 v2, null, s4, 0, s1
; %bb.32:
	s_or_b32 exec_lo, exec_lo, s0
.LBB81_33:
	s_and_saveexec_b32 s0, s5
	s_cbranch_execz .LBB81_35
; %bb.34:
	global_load_b64 v[1:2], v[1:2], off
	s_waitcnt vmcnt(0)
	ds_store_b64 v4, v[1:2]
.LBB81_35:
	s_or_b32 exec_lo, exec_lo, s0
	v_add_nc_u32_e32 v1, s12, v7
	s_and_not1_b32 vcc_lo, exec_lo, s18
	s_waitcnt lgkmcnt(0)
	s_barrier
	buffer_gl0_inv
	s_cbranch_vccnz .LBB81_37
; %bb.36:
	v_lshlrev_b32_e32 v2, 3, v11
	s_mov_b32 s0, -1
	ds_load_b64 v[3:4], v2
	v_mov_b32_e32 v2, 0
	s_delay_alu instid0(VALU_DEP_1) | instskip(NEXT) | instid1(VALU_DEP_1)
	v_lshlrev_b64 v[12:13], 3, v[1:2]
	v_add_co_u32 v12, vcc_lo, s10, v12
	s_delay_alu instid0(VALU_DEP_2)
	v_add_co_ci_u32_e32 v13, vcc_lo, s11, v13, vcc_lo
	s_waitcnt lgkmcnt(0)
	global_store_b64 v[12:13], v[3:4], off
	s_cbranch_execz .LBB81_38
	s_branch .LBB81_43
.LBB81_37:
	s_mov_b32 s0, 0
.LBB81_38:
	s_mov_b32 s1, exec_lo
	v_cmpx_gt_u32_e64 s3, v7
	s_cbranch_execz .LBB81_40
; %bb.39:
	v_lshlrev_b32_e32 v2, 3, v11
	ds_load_b64 v[3:4], v2
	v_mov_b32_e32 v2, 0
	s_delay_alu instid0(VALU_DEP_1) | instskip(NEXT) | instid1(VALU_DEP_1)
	v_lshlrev_b64 v[11:12], 3, v[1:2]
	v_add_co_u32 v11, vcc_lo, s10, v11
	s_delay_alu instid0(VALU_DEP_2)
	v_add_co_ci_u32_e32 v12, vcc_lo, s11, v12, vcc_lo
	s_waitcnt lgkmcnt(0)
	global_store_b64 v[11:12], v[3:4], off
.LBB81_40:
	s_or_b32 exec_lo, exec_lo, s1
	v_or_b32_e32 v2, 1, v7
	s_mov_b32 s1, exec_lo
	s_delay_alu instid0(VALU_DEP_1)
	v_cmpx_gt_u32_e64 s3, v2
; %bb.41:
	v_mov_b32_e32 v2, 0
	s_or_b32 s0, s0, exec_lo
; %bb.42:
	s_or_b32 exec_lo, exec_lo, s1
.LBB81_43:
	s_and_saveexec_b32 s1, s0
	s_cbranch_execz .LBB81_45
; %bb.44:
	v_lshlrev_b32_e32 v3, 3, v10
	v_lshlrev_b64 v[1:2], 3, v[1:2]
	ds_load_b64 v[3:4], v3
	v_add_co_u32 v1, vcc_lo, s10, v1
	v_add_co_ci_u32_e32 v2, vcc_lo, s11, v2, vcc_lo
	s_waitcnt lgkmcnt(0)
	global_store_b64 v[1:2], v[3:4], off offset:8
.LBB81_45:
	s_or_b32 exec_lo, exec_lo, s1
	v_lshrrev_b32_e32 v1, 2, v0
	v_lshrrev_b32_e32 v2, 3, v0
	;; [unrolled: 1-line block ×3, first 2 shown]
	s_mov_b32 s13, 0
	s_waitcnt_vscnt null, 0x0
	v_and_b32_e32 v1, 0x7c, v1
	s_lshl_b64 s[0:1], s[12:13], 2
	v_and_b32_e32 v2, 60, v2
	v_and_b32_e32 v4, 0x7c, v3
	s_add_u32 s0, s6, s0
	v_lshl_add_u32 v1, v7, 2, v1
	s_barrier
	buffer_gl0_inv
	s_barrier
	buffer_gl0_inv
	s_addc_u32 s1, s7, s1
	ds_store_2addr_b32 v1, v6, v8 offset1:1
	v_add_co_u32 v1, s0, s0, v5
	v_add_nc_u32_e32 v3, v5, v2
	v_add_nc_u32_e32 v6, v5, v4
	v_add_co_ci_u32_e64 v2, null, s1, 0, s0
	s_and_b32 vcc_lo, exec_lo, s18
	s_waitcnt lgkmcnt(0)
	s_cbranch_vccz .LBB81_47
; %bb.46:
	s_barrier
	buffer_gl0_inv
	ds_load_b32 v5, v3
	ds_load_b32 v4, v6 offset:2048
	s_mov_b32 s13, -1
	s_waitcnt lgkmcnt(1)
	global_store_b32 v[1:2], v5, off
	s_cbranch_execz .LBB81_48
	s_branch .LBB81_51
.LBB81_47:
                                        ; implicit-def: $vgpr4
.LBB81_48:
	s_waitcnt lgkmcnt(0)
	s_waitcnt_vscnt null, 0x0
	s_barrier
	buffer_gl0_inv
	ds_load_b32 v4, v6 offset:2048
	s_sub_i32 s0, s16, s12
	s_mov_b32 s1, exec_lo
	v_cmpx_gt_u32_e64 s0, v0
	s_cbranch_execz .LBB81_50
; %bb.49:
	ds_load_b32 v0, v3
	s_waitcnt lgkmcnt(0)
	global_store_b32 v[1:2], v0, off
.LBB81_50:
	s_or_b32 exec_lo, exec_lo, s1
	v_cmp_gt_u32_e64 s13, s0, v9
.LBB81_51:
	s_delay_alu instid0(VALU_DEP_1)
	s_and_saveexec_b32 s0, s13
	s_cbranch_execz .LBB81_53
; %bb.52:
	s_waitcnt lgkmcnt(0)
	global_store_b32 v[1:2], v4, off offset:2048
.LBB81_53:
	s_nop 0
	s_sendmsg sendmsg(MSG_DEALLOC_VGPRS)
	s_endpgm
.LBB81_54:
	v_subrev_nc_u32_e32 v3, s17, v0
	s_mov_b32 s13, exec_lo
                                        ; implicit-def: $vgpr1_vgpr2
	s_delay_alu instid0(VALU_DEP_1)
	v_cmpx_gt_u32_e64 s25, v3
	s_xor_b32 s13, exec_lo, s13
; %bb.55:
	v_mov_b32_e32 v4, 0
	s_mov_b32 s1, exec_lo
	s_delay_alu instid0(VALU_DEP_1) | instskip(NEXT) | instid1(VALU_DEP_1)
	v_lshlrev_b64 v[1:2], 3, v[3:4]
	v_add_co_u32 v1, vcc_lo, s8, v1
	s_delay_alu instid0(VALU_DEP_2)
	v_add_co_ci_u32_e32 v2, vcc_lo, s9, v2, vcc_lo
; %bb.56:
	s_or_b32 exec_lo, exec_lo, s13
	s_delay_alu instid0(SALU_CYCLE_1)
	s_and_b32 s1, s1, exec_lo
	s_and_not1_saveexec_b32 s0, s0
	s_cbranch_execz .LBB81_24
.LBB81_57:
	v_lshlrev_b32_e32 v1, 3, v0
	s_or_b32 s1, s1, exec_lo
	s_delay_alu instid0(VALU_DEP_1) | instskip(NEXT) | instid1(VALU_DEP_1)
	v_add_co_u32 v1, s13, s2, v1
	v_add_co_ci_u32_e64 v2, null, s4, 0, s13
	s_or_b32 exec_lo, exec_lo, s0
	v_lshl_add_u32 v12, v0, 2, v5
	s_and_saveexec_b32 s0, s1
	s_cbranch_execnz .LBB81_25
	s_branch .LBB81_26
	.section	.rodata,"a",@progbits
	.p2align	6, 0x0
	.amdhsa_kernel _ZN7rocprim17ROCPRIM_304000_NS6detail35device_block_merge_mergepath_kernelINS1_37wrapped_merge_sort_block_merge_configINS0_14default_configEiN2at4cuda3cub6detail10OpaqueTypeILi8EEEEEPiSC_PSA_SD_jNS1_19radix_merge_compareILb1ELb1EiNS0_19identity_decomposerEEEEEvT0_T1_T2_T3_T4_SL_jT5_PKSL_NS1_7vsmem_tE
		.amdhsa_group_segment_fixed_size 8208
		.amdhsa_private_segment_fixed_size 0
		.amdhsa_kernarg_size 320
		.amdhsa_user_sgpr_count 13
		.amdhsa_user_sgpr_dispatch_ptr 0
		.amdhsa_user_sgpr_queue_ptr 0
		.amdhsa_user_sgpr_kernarg_segment_ptr 1
		.amdhsa_user_sgpr_dispatch_id 0
		.amdhsa_user_sgpr_private_segment_size 0
		.amdhsa_wavefront_size32 1
		.amdhsa_uses_dynamic_stack 0
		.amdhsa_enable_private_segment 0
		.amdhsa_system_sgpr_workgroup_id_x 1
		.amdhsa_system_sgpr_workgroup_id_y 1
		.amdhsa_system_sgpr_workgroup_id_z 1
		.amdhsa_system_sgpr_workgroup_info 0
		.amdhsa_system_vgpr_workitem_id 0
		.amdhsa_next_free_vgpr 17
		.amdhsa_next_free_sgpr 31
		.amdhsa_reserve_vcc 1
		.amdhsa_float_round_mode_32 0
		.amdhsa_float_round_mode_16_64 0
		.amdhsa_float_denorm_mode_32 3
		.amdhsa_float_denorm_mode_16_64 3
		.amdhsa_dx10_clamp 1
		.amdhsa_ieee_mode 1
		.amdhsa_fp16_overflow 0
		.amdhsa_workgroup_processor_mode 1
		.amdhsa_memory_ordered 1
		.amdhsa_forward_progress 0
		.amdhsa_shared_vgpr_count 0
		.amdhsa_exception_fp_ieee_invalid_op 0
		.amdhsa_exception_fp_denorm_src 0
		.amdhsa_exception_fp_ieee_div_zero 0
		.amdhsa_exception_fp_ieee_overflow 0
		.amdhsa_exception_fp_ieee_underflow 0
		.amdhsa_exception_fp_ieee_inexact 0
		.amdhsa_exception_int_div_zero 0
	.end_amdhsa_kernel
	.section	.text._ZN7rocprim17ROCPRIM_304000_NS6detail35device_block_merge_mergepath_kernelINS1_37wrapped_merge_sort_block_merge_configINS0_14default_configEiN2at4cuda3cub6detail10OpaqueTypeILi8EEEEEPiSC_PSA_SD_jNS1_19radix_merge_compareILb1ELb1EiNS0_19identity_decomposerEEEEEvT0_T1_T2_T3_T4_SL_jT5_PKSL_NS1_7vsmem_tE,"axG",@progbits,_ZN7rocprim17ROCPRIM_304000_NS6detail35device_block_merge_mergepath_kernelINS1_37wrapped_merge_sort_block_merge_configINS0_14default_configEiN2at4cuda3cub6detail10OpaqueTypeILi8EEEEEPiSC_PSA_SD_jNS1_19radix_merge_compareILb1ELb1EiNS0_19identity_decomposerEEEEEvT0_T1_T2_T3_T4_SL_jT5_PKSL_NS1_7vsmem_tE,comdat
.Lfunc_end81:
	.size	_ZN7rocprim17ROCPRIM_304000_NS6detail35device_block_merge_mergepath_kernelINS1_37wrapped_merge_sort_block_merge_configINS0_14default_configEiN2at4cuda3cub6detail10OpaqueTypeILi8EEEEEPiSC_PSA_SD_jNS1_19radix_merge_compareILb1ELb1EiNS0_19identity_decomposerEEEEEvT0_T1_T2_T3_T4_SL_jT5_PKSL_NS1_7vsmem_tE, .Lfunc_end81-_ZN7rocprim17ROCPRIM_304000_NS6detail35device_block_merge_mergepath_kernelINS1_37wrapped_merge_sort_block_merge_configINS0_14default_configEiN2at4cuda3cub6detail10OpaqueTypeILi8EEEEEPiSC_PSA_SD_jNS1_19radix_merge_compareILb1ELb1EiNS0_19identity_decomposerEEEEEvT0_T1_T2_T3_T4_SL_jT5_PKSL_NS1_7vsmem_tE
                                        ; -- End function
	.section	.AMDGPU.csdata,"",@progbits
; Kernel info:
; codeLenInByte = 2472
; NumSgprs: 33
; NumVgprs: 17
; ScratchSize: 0
; MemoryBound: 1
; FloatMode: 240
; IeeeMode: 1
; LDSByteSize: 8208 bytes/workgroup (compile time only)
; SGPRBlocks: 4
; VGPRBlocks: 2
; NumSGPRsForWavesPerEU: 33
; NumVGPRsForWavesPerEU: 17
; Occupancy: 16
; WaveLimiterHint : 1
; COMPUTE_PGM_RSRC2:SCRATCH_EN: 0
; COMPUTE_PGM_RSRC2:USER_SGPR: 13
; COMPUTE_PGM_RSRC2:TRAP_HANDLER: 0
; COMPUTE_PGM_RSRC2:TGID_X_EN: 1
; COMPUTE_PGM_RSRC2:TGID_Y_EN: 1
; COMPUTE_PGM_RSRC2:TGID_Z_EN: 1
; COMPUTE_PGM_RSRC2:TIDIG_COMP_CNT: 0
	.section	.text._ZN7rocprim17ROCPRIM_304000_NS6detail33device_block_merge_oddeven_kernelINS1_37wrapped_merge_sort_block_merge_configINS0_14default_configEiN2at4cuda3cub6detail10OpaqueTypeILi8EEEEEPiSC_PSA_SD_jNS1_19radix_merge_compareILb1ELb1EiNS0_19identity_decomposerEEEEEvT0_T1_T2_T3_T4_SL_T5_,"axG",@progbits,_ZN7rocprim17ROCPRIM_304000_NS6detail33device_block_merge_oddeven_kernelINS1_37wrapped_merge_sort_block_merge_configINS0_14default_configEiN2at4cuda3cub6detail10OpaqueTypeILi8EEEEEPiSC_PSA_SD_jNS1_19radix_merge_compareILb1ELb1EiNS0_19identity_decomposerEEEEEvT0_T1_T2_T3_T4_SL_T5_,comdat
	.protected	_ZN7rocprim17ROCPRIM_304000_NS6detail33device_block_merge_oddeven_kernelINS1_37wrapped_merge_sort_block_merge_configINS0_14default_configEiN2at4cuda3cub6detail10OpaqueTypeILi8EEEEEPiSC_PSA_SD_jNS1_19radix_merge_compareILb1ELb1EiNS0_19identity_decomposerEEEEEvT0_T1_T2_T3_T4_SL_T5_ ; -- Begin function _ZN7rocprim17ROCPRIM_304000_NS6detail33device_block_merge_oddeven_kernelINS1_37wrapped_merge_sort_block_merge_configINS0_14default_configEiN2at4cuda3cub6detail10OpaqueTypeILi8EEEEEPiSC_PSA_SD_jNS1_19radix_merge_compareILb1ELb1EiNS0_19identity_decomposerEEEEEvT0_T1_T2_T3_T4_SL_T5_
	.globl	_ZN7rocprim17ROCPRIM_304000_NS6detail33device_block_merge_oddeven_kernelINS1_37wrapped_merge_sort_block_merge_configINS0_14default_configEiN2at4cuda3cub6detail10OpaqueTypeILi8EEEEEPiSC_PSA_SD_jNS1_19radix_merge_compareILb1ELb1EiNS0_19identity_decomposerEEEEEvT0_T1_T2_T3_T4_SL_T5_
	.p2align	8
	.type	_ZN7rocprim17ROCPRIM_304000_NS6detail33device_block_merge_oddeven_kernelINS1_37wrapped_merge_sort_block_merge_configINS0_14default_configEiN2at4cuda3cub6detail10OpaqueTypeILi8EEEEEPiSC_PSA_SD_jNS1_19radix_merge_compareILb1ELb1EiNS0_19identity_decomposerEEEEEvT0_T1_T2_T3_T4_SL_T5_,@function
_ZN7rocprim17ROCPRIM_304000_NS6detail33device_block_merge_oddeven_kernelINS1_37wrapped_merge_sort_block_merge_configINS0_14default_configEiN2at4cuda3cub6detail10OpaqueTypeILi8EEEEEPiSC_PSA_SD_jNS1_19radix_merge_compareILb1ELb1EiNS0_19identity_decomposerEEEEEvT0_T1_T2_T3_T4_SL_T5_: ; @_ZN7rocprim17ROCPRIM_304000_NS6detail33device_block_merge_oddeven_kernelINS1_37wrapped_merge_sort_block_merge_configINS0_14default_configEiN2at4cuda3cub6detail10OpaqueTypeILi8EEEEEPiSC_PSA_SD_jNS1_19radix_merge_compareILb1ELb1EiNS0_19identity_decomposerEEEEEvT0_T1_T2_T3_T4_SL_T5_
; %bb.0:
	s_load_b128 s[16:19], s[0:1], 0x20
	s_waitcnt lgkmcnt(0)
	s_lshr_b32 s2, s16, 8
	s_delay_alu instid0(SALU_CYCLE_1) | instskip(SKIP_4) | instid1(SALU_CYCLE_1)
	s_cmp_lg_u32 s15, s2
	s_cselect_b32 s4, -1, 0
	s_cmp_eq_u32 s15, s2
	s_cselect_b32 s3, -1, 0
	s_lshl_b32 s12, s15, 8
	s_sub_i32 s2, s16, s12
	s_delay_alu instid0(SALU_CYCLE_1) | instskip(NEXT) | instid1(VALU_DEP_1)
	v_cmp_gt_u32_e64 s2, s2, v0
	s_or_b32 s4, s4, s2
	s_delay_alu instid0(SALU_CYCLE_1)
	s_and_saveexec_b32 s5, s4
	s_cbranch_execz .LBB82_26
; %bb.1:
	s_load_b256 s[4:11], s[0:1], 0x0
	s_mov_b32 s13, 0
	v_lshlrev_b32_e32 v1, 3, v0
	s_lshl_b64 s[0:1], s[12:13], 2
	v_lshlrev_b32_e32 v3, 2, v0
	v_add_nc_u32_e32 v5, s12, v0
	s_waitcnt lgkmcnt(0)
	s_add_u32 s0, s4, s0
	s_addc_u32 s1, s5, s1
	s_lshl_b64 s[20:21], s[12:13], 3
	s_delay_alu instid0(SALU_CYCLE_1) | instskip(SKIP_4) | instid1(SALU_CYCLE_1)
	s_add_u32 s8, s8, s20
	s_addc_u32 s9, s9, s21
	global_load_b64 v[1:2], v1, s[8:9]
	global_load_b32 v7, v3, s[0:1]
	s_lshr_b32 s0, s17, 8
	s_sub_i32 s1, 0, s0
	s_delay_alu instid0(SALU_CYCLE_1) | instskip(NEXT) | instid1(SALU_CYCLE_1)
	s_and_b32 s1, s15, s1
	s_and_b32 s0, s1, s0
	s_lshl_b32 s9, s1, 8
	s_sub_i32 s1, 0, s17
	s_cmp_eq_u32 s0, 0
	s_cselect_b32 s0, -1, 0
	s_delay_alu instid0(SALU_CYCLE_1) | instskip(SKIP_1) | instid1(SALU_CYCLE_1)
	s_and_b32 s8, s0, exec_lo
	s_cselect_b32 s1, s17, s1
	s_add_i32 s1, s1, s9
	s_delay_alu instid0(SALU_CYCLE_1)
	s_cmp_lt_u32 s1, s16
	s_cbranch_scc1 .LBB82_6
; %bb.2:
	s_and_b32 vcc_lo, exec_lo, s3
	s_cbranch_vccz .LBB82_7
; %bb.3:
	s_mov_b32 s8, 0
	s_mov_b32 s12, exec_lo
                                        ; implicit-def: $vgpr3_vgpr4
	v_cmpx_gt_u32_e64 s16, v5
	s_cbranch_execz .LBB82_5
; %bb.4:
	v_mov_b32_e32 v6, 0
	s_mov_b32 s13, exec_lo
	s_delay_alu instid0(VALU_DEP_1) | instskip(SKIP_1) | instid1(VALU_DEP_2)
	v_lshlrev_b64 v[3:4], 2, v[5:6]
	v_lshlrev_b64 v[8:9], 3, v[5:6]
	v_add_co_u32 v10, vcc_lo, s6, v3
	s_delay_alu instid0(VALU_DEP_3) | instskip(NEXT) | instid1(VALU_DEP_3)
	v_add_co_ci_u32_e32 v11, vcc_lo, s7, v4, vcc_lo
	v_add_co_u32 v3, vcc_lo, s10, v8
	s_delay_alu instid0(VALU_DEP_4)
	v_add_co_ci_u32_e32 v4, vcc_lo, s11, v9, vcc_lo
	s_waitcnt vmcnt(0)
	global_store_b32 v[10:11], v7, off
.LBB82_5:
	s_or_b32 exec_lo, exec_lo, s12
	s_delay_alu instid0(SALU_CYCLE_1)
	s_and_b32 vcc_lo, exec_lo, s8
	s_cbranch_vccnz .LBB82_8
	s_branch .LBB82_9
.LBB82_6:
                                        ; implicit-def: $vgpr3_vgpr4
	s_cbranch_execnz .LBB82_10
	s_branch .LBB82_24
.LBB82_7:
                                        ; implicit-def: $vgpr3_vgpr4
	s_cbranch_execz .LBB82_9
.LBB82_8:
	v_mov_b32_e32 v6, 0
	s_or_b32 s13, s13, exec_lo
	s_delay_alu instid0(VALU_DEP_1) | instskip(SKIP_1) | instid1(VALU_DEP_2)
	v_lshlrev_b64 v[3:4], 2, v[5:6]
	v_lshlrev_b64 v[8:9], 3, v[5:6]
	v_add_co_u32 v10, vcc_lo, s6, v3
	s_delay_alu instid0(VALU_DEP_3) | instskip(NEXT) | instid1(VALU_DEP_3)
	v_add_co_ci_u32_e32 v11, vcc_lo, s7, v4, vcc_lo
	v_add_co_u32 v3, vcc_lo, s10, v8
	s_delay_alu instid0(VALU_DEP_4)
	v_add_co_ci_u32_e32 v4, vcc_lo, s11, v9, vcc_lo
	s_waitcnt vmcnt(0)
	global_store_b32 v[10:11], v7, off
.LBB82_9:
	s_branch .LBB82_24
.LBB82_10:
	s_min_u32 s8, s1, s16
	s_and_b32 vcc_lo, exec_lo, s3
	s_add_i32 s12, s9, s8
	s_min_u32 s9, s9, s8
	v_subrev_nc_u32_e32 v0, s12, v5
	s_add_i32 s12, s8, s17
	s_delay_alu instid0(SALU_CYCLE_1) | instskip(NEXT) | instid1(VALU_DEP_1)
	s_min_u32 s3, s12, s16
	v_add_nc_u32_e32 v0, s9, v0
	s_cbranch_vccz .LBB82_18
; %bb.11:
                                        ; implicit-def: $vgpr3_vgpr4
	s_and_saveexec_b32 s9, s2
	s_cbranch_execz .LBB82_17
; %bb.12:
	v_mov_b32_e32 v5, s8
	s_cmp_ge_u32 s1, s3
	s_cbranch_scc1 .LBB82_16
; %bb.13:
	s_waitcnt vmcnt(0)
	v_dual_mov_b32 v5, s8 :: v_dual_and_b32 v6, s18, v7
	v_mov_b32_e32 v8, s3
	v_mov_b32_e32 v4, 0
	s_mov_b32 s2, 0
	.p2align	6
.LBB82_14:                              ; =>This Inner Loop Header: Depth=1
	s_delay_alu instid0(VALU_DEP_2) | instskip(NEXT) | instid1(VALU_DEP_1)
	v_add_nc_u32_e32 v3, v5, v8
	v_lshrrev_b32_e32 v3, 1, v3
	s_delay_alu instid0(VALU_DEP_1) | instskip(NEXT) | instid1(VALU_DEP_1)
	v_lshlrev_b64 v[9:10], 2, v[3:4]
	v_add_co_u32 v9, vcc_lo, s4, v9
	s_delay_alu instid0(VALU_DEP_2) | instskip(SKIP_3) | instid1(VALU_DEP_1)
	v_add_co_ci_u32_e32 v10, vcc_lo, s5, v10, vcc_lo
	global_load_b32 v9, v[9:10], off
	s_waitcnt vmcnt(0)
	v_and_b32_e32 v9, s18, v9
	v_cmp_gt_i32_e32 vcc_lo, v9, v6
	v_cndmask_b32_e64 v10, 0, 1, vcc_lo
	v_cmp_le_i32_e32 vcc_lo, v6, v9
	v_cndmask_b32_e64 v9, 0, 1, vcc_lo
	s_delay_alu instid0(VALU_DEP_1) | instskip(SKIP_1) | instid1(VALU_DEP_2)
	v_cndmask_b32_e64 v9, v9, v10, s0
	v_add_nc_u32_e32 v10, 1, v3
	v_and_b32_e32 v9, 1, v9
	s_delay_alu instid0(VALU_DEP_1) | instskip(NEXT) | instid1(VALU_DEP_3)
	v_cmp_eq_u32_e32 vcc_lo, 1, v9
	v_dual_cndmask_b32 v8, v3, v8 :: v_dual_cndmask_b32 v5, v5, v10
	s_delay_alu instid0(VALU_DEP_1) | instskip(SKIP_1) | instid1(SALU_CYCLE_1)
	v_cmp_ge_u32_e32 vcc_lo, v5, v8
	s_or_b32 s2, vcc_lo, s2
	s_and_not1_b32 exec_lo, exec_lo, s2
	s_cbranch_execnz .LBB82_14
; %bb.15:
	s_or_b32 exec_lo, exec_lo, s2
.LBB82_16:
	s_delay_alu instid0(VALU_DEP_1) | instskip(SKIP_1) | instid1(VALU_DEP_1)
	v_dual_mov_b32 v4, 0 :: v_dual_add_nc_u32 v3, v5, v0
	s_or_b32 s13, s13, exec_lo
	v_lshlrev_b64 v[5:6], 2, v[3:4]
	v_lshlrev_b64 v[3:4], 3, v[3:4]
	s_delay_alu instid0(VALU_DEP_2) | instskip(NEXT) | instid1(VALU_DEP_3)
	v_add_co_u32 v5, vcc_lo, s6, v5
	v_add_co_ci_u32_e32 v6, vcc_lo, s7, v6, vcc_lo
	s_delay_alu instid0(VALU_DEP_3) | instskip(NEXT) | instid1(VALU_DEP_4)
	v_add_co_u32 v3, vcc_lo, s10, v3
	v_add_co_ci_u32_e32 v4, vcc_lo, s11, v4, vcc_lo
	s_waitcnt vmcnt(0)
	global_store_b32 v[5:6], v7, off
.LBB82_17:
	s_or_b32 exec_lo, exec_lo, s9
	s_branch .LBB82_24
.LBB82_18:
                                        ; implicit-def: $vgpr3_vgpr4
	s_cbranch_execz .LBB82_24
; %bb.19:
	v_mov_b32_e32 v5, s8
	s_cmp_ge_u32 s1, s3
	s_cbranch_scc1 .LBB82_23
; %bb.20:
	s_waitcnt vmcnt(0)
	v_dual_mov_b32 v5, s8 :: v_dual_and_b32 v6, s18, v7
	v_mov_b32_e32 v8, s3
	v_mov_b32_e32 v4, 0
	s_mov_b32 s1, 0
	.p2align	6
.LBB82_21:                              ; =>This Inner Loop Header: Depth=1
	s_delay_alu instid0(VALU_DEP_2) | instskip(NEXT) | instid1(VALU_DEP_1)
	v_add_nc_u32_e32 v3, v5, v8
	v_lshrrev_b32_e32 v3, 1, v3
	s_delay_alu instid0(VALU_DEP_1) | instskip(NEXT) | instid1(VALU_DEP_1)
	v_lshlrev_b64 v[9:10], 2, v[3:4]
	v_add_co_u32 v9, vcc_lo, s4, v9
	s_delay_alu instid0(VALU_DEP_2) | instskip(SKIP_3) | instid1(VALU_DEP_1)
	v_add_co_ci_u32_e32 v10, vcc_lo, s5, v10, vcc_lo
	global_load_b32 v9, v[9:10], off
	s_waitcnt vmcnt(0)
	v_and_b32_e32 v9, s18, v9
	v_cmp_gt_i32_e32 vcc_lo, v9, v6
	v_cndmask_b32_e64 v10, 0, 1, vcc_lo
	v_cmp_le_i32_e32 vcc_lo, v6, v9
	v_cndmask_b32_e64 v9, 0, 1, vcc_lo
	s_delay_alu instid0(VALU_DEP_1) | instskip(SKIP_1) | instid1(VALU_DEP_2)
	v_cndmask_b32_e64 v9, v9, v10, s0
	v_add_nc_u32_e32 v10, 1, v3
	v_and_b32_e32 v9, 1, v9
	s_delay_alu instid0(VALU_DEP_1) | instskip(NEXT) | instid1(VALU_DEP_3)
	v_cmp_eq_u32_e32 vcc_lo, 1, v9
	v_dual_cndmask_b32 v8, v3, v8 :: v_dual_cndmask_b32 v5, v5, v10
	s_delay_alu instid0(VALU_DEP_1) | instskip(SKIP_1) | instid1(SALU_CYCLE_1)
	v_cmp_ge_u32_e32 vcc_lo, v5, v8
	s_or_b32 s1, vcc_lo, s1
	s_and_not1_b32 exec_lo, exec_lo, s1
	s_cbranch_execnz .LBB82_21
; %bb.22:
	s_or_b32 exec_lo, exec_lo, s1
.LBB82_23:
	s_delay_alu instid0(VALU_DEP_1) | instskip(SKIP_1) | instid1(VALU_DEP_1)
	v_dual_mov_b32 v4, 0 :: v_dual_add_nc_u32 v3, v5, v0
	s_mov_b32 s13, -1
	v_lshlrev_b64 v[5:6], 2, v[3:4]
	v_lshlrev_b64 v[3:4], 3, v[3:4]
	s_delay_alu instid0(VALU_DEP_2) | instskip(NEXT) | instid1(VALU_DEP_3)
	v_add_co_u32 v5, vcc_lo, s6, v5
	v_add_co_ci_u32_e32 v6, vcc_lo, s7, v6, vcc_lo
	s_delay_alu instid0(VALU_DEP_3) | instskip(NEXT) | instid1(VALU_DEP_4)
	v_add_co_u32 v3, vcc_lo, s10, v3
	v_add_co_ci_u32_e32 v4, vcc_lo, s11, v4, vcc_lo
	s_waitcnt vmcnt(0)
	global_store_b32 v[5:6], v7, off
.LBB82_24:
	s_and_b32 exec_lo, exec_lo, s13
	s_cbranch_execz .LBB82_26
; %bb.25:
	s_waitcnt vmcnt(1)
	global_store_b64 v[3:4], v[1:2], off
.LBB82_26:
	s_nop 0
	s_sendmsg sendmsg(MSG_DEALLOC_VGPRS)
	s_endpgm
	.section	.rodata,"a",@progbits
	.p2align	6, 0x0
	.amdhsa_kernel _ZN7rocprim17ROCPRIM_304000_NS6detail33device_block_merge_oddeven_kernelINS1_37wrapped_merge_sort_block_merge_configINS0_14default_configEiN2at4cuda3cub6detail10OpaqueTypeILi8EEEEEPiSC_PSA_SD_jNS1_19radix_merge_compareILb1ELb1EiNS0_19identity_decomposerEEEEEvT0_T1_T2_T3_T4_SL_T5_
		.amdhsa_group_segment_fixed_size 0
		.amdhsa_private_segment_fixed_size 0
		.amdhsa_kernarg_size 44
		.amdhsa_user_sgpr_count 15
		.amdhsa_user_sgpr_dispatch_ptr 0
		.amdhsa_user_sgpr_queue_ptr 0
		.amdhsa_user_sgpr_kernarg_segment_ptr 1
		.amdhsa_user_sgpr_dispatch_id 0
		.amdhsa_user_sgpr_private_segment_size 0
		.amdhsa_wavefront_size32 1
		.amdhsa_uses_dynamic_stack 0
		.amdhsa_enable_private_segment 0
		.amdhsa_system_sgpr_workgroup_id_x 1
		.amdhsa_system_sgpr_workgroup_id_y 0
		.amdhsa_system_sgpr_workgroup_id_z 0
		.amdhsa_system_sgpr_workgroup_info 0
		.amdhsa_system_vgpr_workitem_id 0
		.amdhsa_next_free_vgpr 12
		.amdhsa_next_free_sgpr 22
		.amdhsa_reserve_vcc 1
		.amdhsa_float_round_mode_32 0
		.amdhsa_float_round_mode_16_64 0
		.amdhsa_float_denorm_mode_32 3
		.amdhsa_float_denorm_mode_16_64 3
		.amdhsa_dx10_clamp 1
		.amdhsa_ieee_mode 1
		.amdhsa_fp16_overflow 0
		.amdhsa_workgroup_processor_mode 1
		.amdhsa_memory_ordered 1
		.amdhsa_forward_progress 0
		.amdhsa_shared_vgpr_count 0
		.amdhsa_exception_fp_ieee_invalid_op 0
		.amdhsa_exception_fp_denorm_src 0
		.amdhsa_exception_fp_ieee_div_zero 0
		.amdhsa_exception_fp_ieee_overflow 0
		.amdhsa_exception_fp_ieee_underflow 0
		.amdhsa_exception_fp_ieee_inexact 0
		.amdhsa_exception_int_div_zero 0
	.end_amdhsa_kernel
	.section	.text._ZN7rocprim17ROCPRIM_304000_NS6detail33device_block_merge_oddeven_kernelINS1_37wrapped_merge_sort_block_merge_configINS0_14default_configEiN2at4cuda3cub6detail10OpaqueTypeILi8EEEEEPiSC_PSA_SD_jNS1_19radix_merge_compareILb1ELb1EiNS0_19identity_decomposerEEEEEvT0_T1_T2_T3_T4_SL_T5_,"axG",@progbits,_ZN7rocprim17ROCPRIM_304000_NS6detail33device_block_merge_oddeven_kernelINS1_37wrapped_merge_sort_block_merge_configINS0_14default_configEiN2at4cuda3cub6detail10OpaqueTypeILi8EEEEEPiSC_PSA_SD_jNS1_19radix_merge_compareILb1ELb1EiNS0_19identity_decomposerEEEEEvT0_T1_T2_T3_T4_SL_T5_,comdat
.Lfunc_end82:
	.size	_ZN7rocprim17ROCPRIM_304000_NS6detail33device_block_merge_oddeven_kernelINS1_37wrapped_merge_sort_block_merge_configINS0_14default_configEiN2at4cuda3cub6detail10OpaqueTypeILi8EEEEEPiSC_PSA_SD_jNS1_19radix_merge_compareILb1ELb1EiNS0_19identity_decomposerEEEEEvT0_T1_T2_T3_T4_SL_T5_, .Lfunc_end82-_ZN7rocprim17ROCPRIM_304000_NS6detail33device_block_merge_oddeven_kernelINS1_37wrapped_merge_sort_block_merge_configINS0_14default_configEiN2at4cuda3cub6detail10OpaqueTypeILi8EEEEEPiSC_PSA_SD_jNS1_19radix_merge_compareILb1ELb1EiNS0_19identity_decomposerEEEEEvT0_T1_T2_T3_T4_SL_T5_
                                        ; -- End function
	.section	.AMDGPU.csdata,"",@progbits
; Kernel info:
; codeLenInByte = 1012
; NumSgprs: 24
; NumVgprs: 12
; ScratchSize: 0
; MemoryBound: 0
; FloatMode: 240
; IeeeMode: 1
; LDSByteSize: 0 bytes/workgroup (compile time only)
; SGPRBlocks: 2
; VGPRBlocks: 1
; NumSGPRsForWavesPerEU: 24
; NumVGPRsForWavesPerEU: 12
; Occupancy: 16
; WaveLimiterHint : 0
; COMPUTE_PGM_RSRC2:SCRATCH_EN: 0
; COMPUTE_PGM_RSRC2:USER_SGPR: 15
; COMPUTE_PGM_RSRC2:TRAP_HANDLER: 0
; COMPUTE_PGM_RSRC2:TGID_X_EN: 1
; COMPUTE_PGM_RSRC2:TGID_Y_EN: 0
; COMPUTE_PGM_RSRC2:TGID_Z_EN: 0
; COMPUTE_PGM_RSRC2:TIDIG_COMP_CNT: 0
	.section	.text._ZN7rocprim17ROCPRIM_304000_NS6detail26onesweep_histograms_kernelINS1_34wrapped_radix_sort_onesweep_configINS0_14default_configEiN2at4cuda3cub6detail10OpaqueTypeILi8EEEEELb1EPKimNS0_19identity_decomposerEEEvT1_PT2_SG_SG_T3_jj,"axG",@progbits,_ZN7rocprim17ROCPRIM_304000_NS6detail26onesweep_histograms_kernelINS1_34wrapped_radix_sort_onesweep_configINS0_14default_configEiN2at4cuda3cub6detail10OpaqueTypeILi8EEEEELb1EPKimNS0_19identity_decomposerEEEvT1_PT2_SG_SG_T3_jj,comdat
	.protected	_ZN7rocprim17ROCPRIM_304000_NS6detail26onesweep_histograms_kernelINS1_34wrapped_radix_sort_onesweep_configINS0_14default_configEiN2at4cuda3cub6detail10OpaqueTypeILi8EEEEELb1EPKimNS0_19identity_decomposerEEEvT1_PT2_SG_SG_T3_jj ; -- Begin function _ZN7rocprim17ROCPRIM_304000_NS6detail26onesweep_histograms_kernelINS1_34wrapped_radix_sort_onesweep_configINS0_14default_configEiN2at4cuda3cub6detail10OpaqueTypeILi8EEEEELb1EPKimNS0_19identity_decomposerEEEvT1_PT2_SG_SG_T3_jj
	.globl	_ZN7rocprim17ROCPRIM_304000_NS6detail26onesweep_histograms_kernelINS1_34wrapped_radix_sort_onesweep_configINS0_14default_configEiN2at4cuda3cub6detail10OpaqueTypeILi8EEEEELb1EPKimNS0_19identity_decomposerEEEvT1_PT2_SG_SG_T3_jj
	.p2align	8
	.type	_ZN7rocprim17ROCPRIM_304000_NS6detail26onesweep_histograms_kernelINS1_34wrapped_radix_sort_onesweep_configINS0_14default_configEiN2at4cuda3cub6detail10OpaqueTypeILi8EEEEELb1EPKimNS0_19identity_decomposerEEEvT1_PT2_SG_SG_T3_jj,@function
_ZN7rocprim17ROCPRIM_304000_NS6detail26onesweep_histograms_kernelINS1_34wrapped_radix_sort_onesweep_configINS0_14default_configEiN2at4cuda3cub6detail10OpaqueTypeILi8EEEEELb1EPKimNS0_19identity_decomposerEEEvT1_PT2_SG_SG_T3_jj: ; @_ZN7rocprim17ROCPRIM_304000_NS6detail26onesweep_histograms_kernelINS1_34wrapped_radix_sort_onesweep_configINS0_14default_configEiN2at4cuda3cub6detail10OpaqueTypeILi8EEEEELb1EPKimNS0_19identity_decomposerEEEvT1_PT2_SG_SG_T3_jj
; %bb.0:
	s_clause 0x1
	s_load_b256 s[4:11], s[0:1], 0x0
	s_load_b64 s[12:13], s[0:1], 0x24
	s_mov_b32 s2, s15
	s_mov_b32 s3, 0
	v_lshlrev_b32_e32 v7, 2, v0
	s_lshl_b64 s[0:1], s[2:3], 14
	s_waitcnt lgkmcnt(0)
	v_cmp_ge_u64_e64 s9, s[2:3], s[10:11]
	s_add_u32 s4, s4, s0
	s_addc_u32 s5, s5, s1
	s_mov_b32 s0, -1
	s_delay_alu instid0(VALU_DEP_1)
	s_and_b32 vcc_lo, exec_lo, s9
	s_cbranch_vccz .LBB83_34
; %bb.1:
	v_lshlrev_b32_e32 v8, 2, v0
	s_lshl_b32 s0, s10, 12
                                        ; implicit-def: $vgpr1_vgpr2_vgpr3_vgpr4
	s_delay_alu instid0(SALU_CYCLE_1) | instskip(NEXT) | instid1(SALU_CYCLE_1)
	s_sub_i32 s3, s8, s0
	v_cmp_gt_u32_e64 s2, s3, v0
	s_delay_alu instid0(VALU_DEP_2) | instskip(NEXT) | instid1(VALU_DEP_1)
	v_add_co_u32 v5, s0, s4, v8
	v_add_co_ci_u32_e64 v6, null, s5, 0, s0
	s_delay_alu instid0(VALU_DEP_3)
	s_and_saveexec_b32 s0, s2
	s_cbranch_execz .LBB83_3
; %bb.2:
	global_load_b32 v1, v[5:6], off
.LBB83_3:
	s_or_b32 exec_lo, exec_lo, s0
	v_or_b32_e32 v9, 0x400, v0
	s_delay_alu instid0(VALU_DEP_1) | instskip(NEXT) | instid1(VALU_DEP_1)
	v_cmp_gt_u32_e64 s1, s3, v9
	s_and_saveexec_b32 s0, s1
	s_cbranch_execz .LBB83_5
; %bb.4:
	v_add_co_u32 v9, vcc_lo, 0x1000, v5
	v_add_co_ci_u32_e32 v10, vcc_lo, 0, v6, vcc_lo
	global_load_b32 v2, v[9:10], off
.LBB83_5:
	s_or_b32 exec_lo, exec_lo, s0
	v_or_b32_e32 v9, 0x800, v0
	s_delay_alu instid0(VALU_DEP_1) | instskip(NEXT) | instid1(VALU_DEP_1)
	v_cmp_gt_u32_e64 s0, s3, v9
	s_and_saveexec_b32 s8, s0
	s_cbranch_execz .LBB83_7
; %bb.6:
	v_add_co_u32 v9, vcc_lo, 0x2000, v5
	v_add_co_ci_u32_e32 v10, vcc_lo, 0, v6, vcc_lo
	global_load_b32 v3, v[9:10], off
.LBB83_7:
	s_or_b32 exec_lo, exec_lo, s8
	v_or_b32_e32 v9, 0xc00, v0
	s_delay_alu instid0(VALU_DEP_1)
	v_cmp_gt_u32_e32 vcc_lo, s3, v9
	s_and_saveexec_b32 s8, vcc_lo
	s_cbranch_execz .LBB83_9
; %bb.8:
	v_add_co_u32 v4, s3, 0x3000, v5
	s_delay_alu instid0(VALU_DEP_1)
	v_add_co_ci_u32_e64 v5, s3, 0, v6, s3
	global_load_b32 v4, v[4:5], off
.LBB83_9:
	s_or_b32 exec_lo, exec_lo, s8
	v_or_b32_e32 v5, 0xfffffc00, v0
	v_mov_b32_e32 v6, 0
	s_mov_b32 s8, 0
.LBB83_10:                              ; =>This Inner Loop Header: Depth=1
	s_delay_alu instid0(VALU_DEP_2) | instskip(SKIP_3) | instid1(VALU_DEP_1)
	v_add_nc_u32_e32 v5, 0x400, v5
	ds_store_b32 v8, v6
	v_add_nc_u32_e32 v8, 0x1000, v8
	v_cmp_lt_u32_e64 s3, 0xbff, v5
	s_or_b32 s8, s3, s8
	s_delay_alu instid0(SALU_CYCLE_1)
	s_and_not1_b32 exec_lo, exec_lo, s8
	s_cbranch_execnz .LBB83_10
; %bb.11:
	s_or_b32 exec_lo, exec_lo, s8
	s_cmp_gt_u32 s13, s12
	s_waitcnt vmcnt(0) lgkmcnt(0)
	s_cselect_b32 s3, -1, 0
	s_cmp_le_u32 s13, s12
	s_barrier
	buffer_gl0_inv
	s_cbranch_scc1 .LBB83_28
; %bb.12:
	v_dual_mov_b32 v6, 1 :: v_dual_and_b32 v5, 3, v0
	v_xor_b32_e32 v1, 0x7fffffff, v1
	s_sub_i32 s8, s13, s12
	s_mov_b32 s10, s12
	s_delay_alu instid0(VALU_DEP_2) | instskip(SKIP_1) | instid1(VALU_DEP_1)
	v_lshlrev_b32_e32 v5, 2, v5
	s_mov_b32 s9, s8
	v_mov_b32_e32 v8, v5
	s_branch .LBB83_14
	.p2align	6
.LBB83_13:                              ;   in Loop: Header=BB83_14 Depth=1
	s_or_b32 exec_lo, exec_lo, s11
	v_add_nc_u32_e32 v8, 0x1000, v8
	s_add_i32 s10, s10, 8
	s_add_i32 s9, s9, -8
	s_cmp_lt_u32 s10, s13
	s_cbranch_scc0 .LBB83_16
.LBB83_14:                              ; =>This Inner Loop Header: Depth=1
	s_and_saveexec_b32 s11, s2
	s_cbranch_execz .LBB83_13
; %bb.15:                               ;   in Loop: Header=BB83_14 Depth=1
	v_lshrrev_b32_e32 v9, s10, v1
	s_min_u32 s14, s9, 8
	s_delay_alu instid0(VALU_DEP_1) | instid1(SALU_CYCLE_1)
	v_bfe_u32 v9, v9, 0, s14
	s_delay_alu instid0(VALU_DEP_1)
	v_lshl_add_u32 v9, v9, 4, v8
	ds_add_u32 v9, v6
	s_branch .LBB83_13
.LBB83_16:
	v_xor_b32_e32 v1, 0x7fffffff, v2
	v_mov_b32_e32 v2, 1
	v_mov_b32_e32 v6, v5
	s_mov_b32 s2, s8
	s_mov_b32 s9, s12
	s_branch .LBB83_18
	.p2align	6
.LBB83_17:                              ;   in Loop: Header=BB83_18 Depth=1
	s_or_b32 exec_lo, exec_lo, s10
	v_add_nc_u32_e32 v6, 0x1000, v6
	s_add_i32 s9, s9, 8
	s_add_i32 s2, s2, -8
	s_cmp_lt_u32 s9, s13
	s_cbranch_scc0 .LBB83_20
.LBB83_18:                              ; =>This Inner Loop Header: Depth=1
	s_and_saveexec_b32 s10, s1
	s_cbranch_execz .LBB83_17
; %bb.19:                               ;   in Loop: Header=BB83_18 Depth=1
	v_lshrrev_b32_e32 v8, s9, v1
	s_min_u32 s11, s2, 8
	s_delay_alu instid0(VALU_DEP_1) | instid1(SALU_CYCLE_1)
	v_bfe_u32 v8, v8, 0, s11
	s_delay_alu instid0(VALU_DEP_1)
	v_lshl_add_u32 v8, v8, 4, v6
	ds_add_u32 v8, v2
	s_branch .LBB83_17
.LBB83_20:
	v_xor_b32_e32 v1, 0x7fffffff, v3
	v_dual_mov_b32 v2, 1 :: v_dual_mov_b32 v3, v5
	s_mov_b32 s1, s8
	s_mov_b32 s2, s12
	s_branch .LBB83_22
	.p2align	6
.LBB83_21:                              ;   in Loop: Header=BB83_22 Depth=1
	s_or_b32 exec_lo, exec_lo, s9
	v_add_nc_u32_e32 v3, 0x1000, v3
	s_add_i32 s2, s2, 8
	s_add_i32 s1, s1, -8
	s_cmp_lt_u32 s2, s13
	s_cbranch_scc0 .LBB83_24
.LBB83_22:                              ; =>This Inner Loop Header: Depth=1
	s_and_saveexec_b32 s9, s0
	s_cbranch_execz .LBB83_21
; %bb.23:                               ;   in Loop: Header=BB83_22 Depth=1
	v_lshrrev_b32_e32 v6, s2, v1
	s_min_u32 s10, s1, 8
	s_delay_alu instid0(VALU_DEP_1) | instid1(SALU_CYCLE_1)
	v_bfe_u32 v6, v6, 0, s10
	s_delay_alu instid0(VALU_DEP_1)
	v_lshl_add_u32 v6, v6, 4, v3
	ds_add_u32 v6, v2
	s_branch .LBB83_21
.LBB83_24:
	v_xor_b32_e32 v1, 0x7fffffff, v4
	v_mov_b32_e32 v2, 1
	s_mov_b32 s0, s12
	s_branch .LBB83_26
	.p2align	6
.LBB83_25:                              ;   in Loop: Header=BB83_26 Depth=1
	s_or_b32 exec_lo, exec_lo, s1
	v_add_nc_u32_e32 v5, 0x1000, v5
	s_add_i32 s0, s0, 8
	s_add_i32 s8, s8, -8
	s_cmp_lt_u32 s0, s13
	s_cbranch_scc0 .LBB83_28
.LBB83_26:                              ; =>This Inner Loop Header: Depth=1
	s_and_saveexec_b32 s1, vcc_lo
	s_cbranch_execz .LBB83_25
; %bb.27:                               ;   in Loop: Header=BB83_26 Depth=1
	v_lshrrev_b32_e32 v3, s0, v1
	s_min_u32 s2, s8, 8
	s_delay_alu instid0(VALU_DEP_1) | instid1(SALU_CYCLE_1)
	v_bfe_u32 v3, v3, 0, s2
	s_delay_alu instid0(VALU_DEP_1)
	v_lshl_add_u32 v3, v3, 4, v5
	ds_add_u32 v3, v2
	s_branch .LBB83_25
.LBB83_28:
	s_and_b32 vcc_lo, exec_lo, s3
	s_waitcnt lgkmcnt(0)
	s_barrier
	buffer_gl0_inv
	s_cbranch_vccz .LBB83_33
; %bb.29:
	v_cmp_gt_u32_e32 vcc_lo, 0x100, v0
	v_dual_mov_b32 v2, 0 :: v_dual_lshlrev_b32 v3, 4, v0
	v_mov_b32_e32 v1, v0
	s_mov_b32 s1, s12
	s_set_inst_prefetch_distance 0x1
	s_branch .LBB83_31
	.p2align	6
.LBB83_30:                              ;   in Loop: Header=BB83_31 Depth=1
	s_or_b32 exec_lo, exec_lo, s2
	v_add_nc_u32_e32 v1, 0x100, v1
	v_add_nc_u32_e32 v3, 0x1000, v3
	s_add_i32 s1, s1, 8
	s_delay_alu instid0(SALU_CYCLE_1)
	s_cmp_lt_u32 s1, s13
	s_cbranch_scc0 .LBB83_33
.LBB83_31:                              ; =>This Inner Loop Header: Depth=1
	s_and_saveexec_b32 s2, vcc_lo
	s_cbranch_execz .LBB83_30
; %bb.32:                               ;   in Loop: Header=BB83_31 Depth=1
	ds_load_2addr_b32 v[4:5], v3 offset1:1
	ds_load_2addr_b32 v[8:9], v3 offset0:2 offset1:3
	v_lshlrev_b64 v[10:11], 3, v[1:2]
	s_waitcnt lgkmcnt(1)
	v_add_nc_u32_e32 v6, v5, v4
	s_delay_alu instid0(VALU_DEP_2) | instskip(NEXT) | instid1(VALU_DEP_1)
	v_add_co_u32 v4, s0, s6, v10
	v_add_co_ci_u32_e64 v5, s0, s7, v11, s0
	s_waitcnt lgkmcnt(0)
	s_delay_alu instid0(VALU_DEP_3)
	v_add3_u32 v8, v6, v8, v9
	v_mov_b32_e32 v9, v2
	global_atomic_add_u64 v[4:5], v[8:9], off
	s_branch .LBB83_30
.LBB83_33:
	s_set_inst_prefetch_distance 0x2
	s_mov_b32 s0, 0
.LBB83_34:
	s_delay_alu instid0(SALU_CYCLE_1)
	s_and_b32 vcc_lo, exec_lo, s0
	s_cbranch_vccz .LBB83_58
; %bb.35:
	v_add_co_u32 v3, s0, s4, v7
	s_delay_alu instid0(VALU_DEP_1) | instskip(SKIP_1) | instid1(VALU_DEP_2)
	v_add_co_ci_u32_e64 v4, null, s5, 0, s0
	s_cmp_eq_u32 s12, 0
	v_add_co_u32 v1, vcc_lo, v3, 0x2000
	s_delay_alu instid0(VALU_DEP_2)
	v_add_co_ci_u32_e32 v2, vcc_lo, 0, v4, vcc_lo
	v_add_co_u32 v8, vcc_lo, 0x3000, v3
	v_add_co_ci_u32_e32 v9, vcc_lo, 0, v4, vcc_lo
	s_clause 0x3
	global_load_b32 v6, v7, s[4:5]
	global_load_b32 v3, v[1:2], off
	global_load_b32 v4, v[1:2], off offset:-4096
	global_load_b32 v5, v[8:9], off
	s_cselect_b32 s0, -1, 0
	s_cmp_eq_u32 s13, 32
	v_or_b32_e32 v8, 0xfffffc00, v0
	s_cselect_b32 s1, -1, 0
	s_delay_alu instid0(SALU_CYCLE_1)
	s_and_b32 s1, s0, s1
	s_mov_b32 s0, 0
	s_and_b32 vcc_lo, exec_lo, s1
	s_mov_b32 s1, -1
	s_cbranch_vccnz .LBB83_53
; %bb.36:
	v_or_b32_e32 v1, 0xfffffc00, v0
	v_mov_b32_e32 v2, 0
.LBB83_37:                              ; =>This Inner Loop Header: Depth=1
	s_delay_alu instid0(VALU_DEP_2) | instskip(SKIP_4) | instid1(SALU_CYCLE_1)
	v_add_nc_u32_e32 v1, 0x400, v1
	ds_store_b32 v7, v2
	v_add_nc_u32_e32 v7, 0x1000, v7
	v_cmp_lt_u32_e32 vcc_lo, 0xbff, v1
	s_or_b32 s0, vcc_lo, s0
	s_and_not1_b32 exec_lo, exec_lo, s0
	s_cbranch_execnz .LBB83_37
; %bb.38:
	s_or_b32 exec_lo, exec_lo, s0
	s_cmp_gt_u32 s13, s12
	s_waitcnt vmcnt(0) lgkmcnt(0)
	s_waitcnt_vscnt null, 0x0
	s_cselect_b32 s0, -1, 0
	s_cmp_le_u32 s13, s12
	s_barrier
	buffer_gl0_inv
	s_cbranch_scc1 .LBB83_47
; %bb.39:
	v_and_b32_e32 v1, 3, v0
	v_xor_b32_e32 v2, 0x7fffffff, v6
	v_mov_b32_e32 v7, 1
	s_sub_i32 s1, s13, s12
	s_mov_b32 s3, s12
	v_lshlrev_b32_e32 v1, 2, v1
	s_mov_b32 s2, s1
	s_delay_alu instid0(VALU_DEP_1)
	v_mov_b32_e32 v9, v1
.LBB83_40:                              ; =>This Inner Loop Header: Depth=1
	v_lshrrev_b32_e32 v10, s3, v2
	s_min_u32 s4, s2, 8
	s_add_i32 s3, s3, 8
	s_add_i32 s2, s2, -8
	s_cmp_lt_u32 s3, s13
	v_bfe_u32 v10, v10, 0, s4
	s_delay_alu instid0(VALU_DEP_1)
	v_lshl_add_u32 v10, v10, 4, v9
	v_add_nc_u32_e32 v9, 0x1000, v9
	ds_add_u32 v10, v7
	s_cbranch_scc1 .LBB83_40
; %bb.41:
	v_xor_b32_e32 v2, 0x7fffffff, v4
	v_mov_b32_e32 v7, 1
	v_mov_b32_e32 v9, v1
	s_mov_b32 s2, s1
	s_mov_b32 s3, s12
.LBB83_42:                              ; =>This Inner Loop Header: Depth=1
	s_delay_alu instid0(SALU_CYCLE_1)
	v_lshrrev_b32_e32 v10, s3, v2
	s_min_u32 s4, s2, 8
	s_add_i32 s3, s3, 8
	s_add_i32 s2, s2, -8
	s_cmp_lt_u32 s3, s13
	v_bfe_u32 v10, v10, 0, s4
	s_delay_alu instid0(VALU_DEP_1)
	v_lshl_add_u32 v10, v10, 4, v9
	v_add_nc_u32_e32 v9, 0x1000, v9
	ds_add_u32 v10, v7
	s_cbranch_scc1 .LBB83_42
; %bb.43:
	v_xor_b32_e32 v2, 0x7fffffff, v3
	v_mov_b32_e32 v7, 1
	v_mov_b32_e32 v9, v1
	s_mov_b32 s2, s1
	s_mov_b32 s3, s12
.LBB83_44:                              ; =>This Inner Loop Header: Depth=1
	s_delay_alu instid0(SALU_CYCLE_1)
	v_lshrrev_b32_e32 v10, s3, v2
	s_min_u32 s4, s2, 8
	s_add_i32 s3, s3, 8
	s_add_i32 s2, s2, -8
	s_cmp_lt_u32 s3, s13
	v_bfe_u32 v10, v10, 0, s4
	s_delay_alu instid0(VALU_DEP_1)
	v_lshl_add_u32 v10, v10, 4, v9
	v_add_nc_u32_e32 v9, 0x1000, v9
	ds_add_u32 v10, v7
	s_cbranch_scc1 .LBB83_44
; %bb.45:
	v_xor_b32_e32 v2, 0x7fffffff, v5
	v_mov_b32_e32 v7, 1
	s_mov_b32 s2, s12
.LBB83_46:                              ; =>This Inner Loop Header: Depth=1
	s_delay_alu instid0(VALU_DEP_2) | instid1(SALU_CYCLE_1)
	v_lshrrev_b32_e32 v9, s2, v2
	s_min_u32 s3, s1, 8
	s_add_i32 s2, s2, 8
	s_add_i32 s1, s1, -8
	s_cmp_lt_u32 s2, s13
	v_bfe_u32 v9, v9, 0, s3
	s_delay_alu instid0(VALU_DEP_1)
	v_lshl_add_u32 v9, v9, 4, v1
	v_add_nc_u32_e32 v1, 0x1000, v1
	ds_add_u32 v9, v7
	s_cbranch_scc1 .LBB83_46
.LBB83_47:
	s_and_b32 vcc_lo, exec_lo, s0
	s_waitcnt lgkmcnt(0)
	s_barrier
	buffer_gl0_inv
	s_cbranch_vccz .LBB83_52
; %bb.48:
	v_cmp_gt_u32_e32 vcc_lo, 0x100, v0
	v_dual_mov_b32 v2, 0 :: v_dual_lshlrev_b32 v7, 4, v0
	v_mov_b32_e32 v1, v0
	s_set_inst_prefetch_distance 0x1
	s_branch .LBB83_50
	.p2align	6
.LBB83_49:                              ;   in Loop: Header=BB83_50 Depth=1
	s_or_b32 exec_lo, exec_lo, s1
	v_add_nc_u32_e32 v1, 0x100, v1
	v_add_nc_u32_e32 v7, 0x1000, v7
	s_add_i32 s12, s12, 8
	s_delay_alu instid0(SALU_CYCLE_1)
	s_cmp_ge_u32 s12, s13
	s_cbranch_scc1 .LBB83_52
.LBB83_50:                              ; =>This Inner Loop Header: Depth=1
	s_and_saveexec_b32 s1, vcc_lo
	s_cbranch_execz .LBB83_49
; %bb.51:                               ;   in Loop: Header=BB83_50 Depth=1
	ds_load_2addr_b32 v[9:10], v7 offset1:1
	ds_load_2addr_b32 v[11:12], v7 offset0:2 offset1:3
	v_lshlrev_b64 v[13:14], 3, v[1:2]
	s_waitcnt lgkmcnt(1)
	v_add_nc_u32_e32 v15, v10, v9
	s_delay_alu instid0(VALU_DEP_2) | instskip(NEXT) | instid1(VALU_DEP_1)
	v_add_co_u32 v9, s0, s6, v13
	v_add_co_ci_u32_e64 v10, s0, s7, v14, s0
	s_waitcnt lgkmcnt(0)
	s_delay_alu instid0(VALU_DEP_3)
	v_add3_u32 v11, v15, v11, v12
	v_mov_b32_e32 v12, v2
	global_atomic_add_u64 v[9:10], v[11:12], off
	s_branch .LBB83_49
.LBB83_52:
	s_set_inst_prefetch_distance 0x2
	s_mov_b32 s1, 0
.LBB83_53:
	s_delay_alu instid0(SALU_CYCLE_1)
	s_and_b32 vcc_lo, exec_lo, s1
	s_cbranch_vccz .LBB83_58
; %bb.54:
	v_dual_mov_b32 v2, 0 :: v_dual_lshlrev_b32 v1, 2, v0
	s_mov_b32 s0, 0
	s_delay_alu instid0(VALU_DEP_1)
	v_mov_b32_e32 v7, v1
.LBB83_55:                              ; =>This Inner Loop Header: Depth=1
	v_add_nc_u32_e32 v8, 0x400, v8
	ds_store_b32 v7, v2
	v_add_nc_u32_e32 v7, 0x1000, v7
	v_cmp_lt_u32_e32 vcc_lo, 0xbff, v8
	s_or_b32 s0, vcc_lo, s0
	s_delay_alu instid0(SALU_CYCLE_1)
	s_and_not1_b32 exec_lo, exec_lo, s0
	s_cbranch_execnz .LBB83_55
; %bb.56:
	s_or_b32 exec_lo, exec_lo, s0
	s_waitcnt vmcnt(3)
	v_xor_b32_e32 v2, 0x7fffffff, v6
	v_and_b32_e32 v6, 3, v0
	s_waitcnt vmcnt(1)
	v_xor_b32_e32 v4, 0x7fffffff, v4
	s_waitcnt vmcnt(0) lgkmcnt(0)
	s_waitcnt_vscnt null, 0x0
	s_barrier
	v_dual_mov_b32 v8, 1 :: v_dual_lshlrev_b32 v7, 2, v2
	v_lshrrev_b32_e32 v9, 6, v2
	v_lshrrev_b32_e32 v10, 14, v2
	;; [unrolled: 1-line block ×3, first 2 shown]
	s_delay_alu instid0(VALU_DEP_4)
	v_and_or_b32 v7, 0x3fc, v7, v6
	v_lshlrev_b32_e32 v11, 2, v4
	v_lshrrev_b32_e32 v12, 6, v4
	v_and_or_b32 v9, 0x3fc, v9, v6
	v_and_or_b32 v10, 0x3fc, v10, v6
	v_lshlrev_b32_e32 v7, 2, v7
	v_and_or_b32 v2, 0x3fc, v2, v6
	buffer_gl0_inv
	v_lshlrev_b32_e32 v9, 2, v9
	v_lshlrev_b32_e32 v10, 2, v10
	ds_add_u32 v7, v8
	v_and_or_b32 v7, 0x3fc, v11, v6
	v_and_or_b32 v11, 0x3fc, v12, v6
	v_xor_b32_e32 v3, 0x7fffffff, v3
	v_lshlrev_b32_e32 v2, 2, v2
	v_xor_b32_e32 v5, 0x7fffffff, v5
	v_lshlrev_b32_e32 v7, 2, v7
	v_lshlrev_b32_e32 v11, 2, v11
	ds_add_u32 v9, v8 offset:4096
	ds_add_u32 v10, v8 offset:8192
	ds_add_u32 v2, v8 offset:12288
	ds_add_u32 v7, v8
	ds_add_u32 v11, v8 offset:4096
	v_lshrrev_b32_e32 v2, 14, v4
	v_lshrrev_b32_e32 v4, 22, v4
	v_lshlrev_b32_e32 v7, 2, v3
	v_lshrrev_b32_e32 v9, 6, v3
	v_lshrrev_b32_e32 v10, 14, v3
	v_and_or_b32 v2, 0x3fc, v2, v6
	v_and_or_b32 v4, 0x3fc, v4, v6
	;; [unrolled: 1-line block ×5, first 2 shown]
	v_lshlrev_b32_e32 v2, 2, v2
	v_lshlrev_b32_e32 v4, 2, v4
	;; [unrolled: 1-line block ×5, first 2 shown]
	ds_add_u32 v2, v8 offset:8192
	ds_add_u32 v4, v8 offset:12288
	ds_add_u32 v7, v8
	ds_add_u32 v9, v8 offset:4096
	ds_add_u32 v10, v8 offset:8192
	v_lshrrev_b32_e32 v2, 22, v3
	v_lshlrev_b32_e32 v3, 2, v5
	v_lshrrev_b32_e32 v4, 6, v5
	v_lshrrev_b32_e32 v7, 14, v5
	;; [unrolled: 1-line block ×3, first 2 shown]
	v_and_or_b32 v2, 0x3fc, v2, v6
	v_and_or_b32 v3, 0x3fc, v3, v6
	;; [unrolled: 1-line block ×5, first 2 shown]
	v_lshlrev_b32_e32 v2, 2, v2
	v_lshlrev_b32_e32 v3, 2, v3
	;; [unrolled: 1-line block ×5, first 2 shown]
	ds_add_u32 v2, v8 offset:12288
	ds_add_u32 v3, v8
	ds_add_u32 v4, v8 offset:4096
	ds_add_u32 v6, v8 offset:8192
	;; [unrolled: 1-line block ×3, first 2 shown]
	s_waitcnt lgkmcnt(0)
	s_barrier
	buffer_gl0_inv
	s_mov_b32 s0, exec_lo
	v_cmpx_gt_u32_e32 0x100, v0
	s_cbranch_execz .LBB83_58
; %bb.57:
	v_lshlrev_b32_e32 v6, 2, v1
	v_lshlrev_b32_e32 v7, 3, v0
	ds_load_2addr_b32 v[1:2], v6 offset1:1
	ds_load_2addr_b32 v[3:4], v6 offset0:2 offset1:3
	s_waitcnt lgkmcnt(1)
	v_dual_mov_b32 v1, 0 :: v_dual_add_nc_u32 v2, v2, v1
	s_waitcnt lgkmcnt(0)
	s_delay_alu instid0(VALU_DEP_1)
	v_add3_u32 v0, v2, v3, v4
	v_add_nc_u32_e32 v2, 0x1000, v6
	v_add_nc_u32_e32 v4, 0x1008, v6
	global_atomic_add_u64 v7, v[0:1], s[6:7]
	ds_load_2addr_b32 v[2:3], v2 offset1:1
	ds_load_2addr_b32 v[4:5], v4 offset1:1
	s_waitcnt lgkmcnt(1)
	v_add_nc_u32_e32 v0, v3, v2
	v_add_nc_u32_e32 v2, 0x2000, v6
	s_waitcnt lgkmcnt(0)
	s_delay_alu instid0(VALU_DEP_2)
	v_add3_u32 v0, v0, v4, v5
	v_add_nc_u32_e32 v4, 0x2008, v6
	global_atomic_add_u64 v7, v[0:1], s[6:7] offset:2048
	ds_load_2addr_b32 v[2:3], v2 offset1:1
	ds_load_2addr_b32 v[4:5], v4 offset1:1
	s_waitcnt lgkmcnt(1)
	v_add_nc_u32_e32 v0, v3, v2
	v_or_b32_e32 v2, 0x1000, v7
	v_add_nc_u32_e32 v3, 0x3000, v6
	s_waitcnt lgkmcnt(0)
	s_delay_alu instid0(VALU_DEP_3)
	v_add3_u32 v0, v0, v4, v5
	v_add_nc_u32_e32 v4, 0x3008, v6
	global_atomic_add_u64 v2, v[0:1], s[6:7]
	ds_load_2addr_b32 v[2:3], v3 offset1:1
	ds_load_2addr_b32 v[4:5], v4 offset1:1
	s_waitcnt lgkmcnt(1)
	v_add_nc_u32_e32 v0, v3, v2
	v_or_b32_e32 v2, 0x1800, v7
	s_waitcnt lgkmcnt(0)
	s_delay_alu instid0(VALU_DEP_2)
	v_add3_u32 v0, v0, v4, v5
	global_atomic_add_u64 v2, v[0:1], s[6:7]
.LBB83_58:
	s_nop 0
	s_sendmsg sendmsg(MSG_DEALLOC_VGPRS)
	s_endpgm
	.section	.rodata,"a",@progbits
	.p2align	6, 0x0
	.amdhsa_kernel _ZN7rocprim17ROCPRIM_304000_NS6detail26onesweep_histograms_kernelINS1_34wrapped_radix_sort_onesweep_configINS0_14default_configEiN2at4cuda3cub6detail10OpaqueTypeILi8EEEEELb1EPKimNS0_19identity_decomposerEEEvT1_PT2_SG_SG_T3_jj
		.amdhsa_group_segment_fixed_size 16384
		.amdhsa_private_segment_fixed_size 0
		.amdhsa_kernarg_size 44
		.amdhsa_user_sgpr_count 15
		.amdhsa_user_sgpr_dispatch_ptr 0
		.amdhsa_user_sgpr_queue_ptr 0
		.amdhsa_user_sgpr_kernarg_segment_ptr 1
		.amdhsa_user_sgpr_dispatch_id 0
		.amdhsa_user_sgpr_private_segment_size 0
		.amdhsa_wavefront_size32 1
		.amdhsa_uses_dynamic_stack 0
		.amdhsa_enable_private_segment 0
		.amdhsa_system_sgpr_workgroup_id_x 1
		.amdhsa_system_sgpr_workgroup_id_y 0
		.amdhsa_system_sgpr_workgroup_id_z 0
		.amdhsa_system_sgpr_workgroup_info 0
		.amdhsa_system_vgpr_workitem_id 0
		.amdhsa_next_free_vgpr 16
		.amdhsa_next_free_sgpr 16
		.amdhsa_reserve_vcc 1
		.amdhsa_float_round_mode_32 0
		.amdhsa_float_round_mode_16_64 0
		.amdhsa_float_denorm_mode_32 3
		.amdhsa_float_denorm_mode_16_64 3
		.amdhsa_dx10_clamp 1
		.amdhsa_ieee_mode 1
		.amdhsa_fp16_overflow 0
		.amdhsa_workgroup_processor_mode 1
		.amdhsa_memory_ordered 1
		.amdhsa_forward_progress 0
		.amdhsa_shared_vgpr_count 0
		.amdhsa_exception_fp_ieee_invalid_op 0
		.amdhsa_exception_fp_denorm_src 0
		.amdhsa_exception_fp_ieee_div_zero 0
		.amdhsa_exception_fp_ieee_overflow 0
		.amdhsa_exception_fp_ieee_underflow 0
		.amdhsa_exception_fp_ieee_inexact 0
		.amdhsa_exception_int_div_zero 0
	.end_amdhsa_kernel
	.section	.text._ZN7rocprim17ROCPRIM_304000_NS6detail26onesweep_histograms_kernelINS1_34wrapped_radix_sort_onesweep_configINS0_14default_configEiN2at4cuda3cub6detail10OpaqueTypeILi8EEEEELb1EPKimNS0_19identity_decomposerEEEvT1_PT2_SG_SG_T3_jj,"axG",@progbits,_ZN7rocprim17ROCPRIM_304000_NS6detail26onesweep_histograms_kernelINS1_34wrapped_radix_sort_onesweep_configINS0_14default_configEiN2at4cuda3cub6detail10OpaqueTypeILi8EEEEELb1EPKimNS0_19identity_decomposerEEEvT1_PT2_SG_SG_T3_jj,comdat
.Lfunc_end83:
	.size	_ZN7rocprim17ROCPRIM_304000_NS6detail26onesweep_histograms_kernelINS1_34wrapped_radix_sort_onesweep_configINS0_14default_configEiN2at4cuda3cub6detail10OpaqueTypeILi8EEEEELb1EPKimNS0_19identity_decomposerEEEvT1_PT2_SG_SG_T3_jj, .Lfunc_end83-_ZN7rocprim17ROCPRIM_304000_NS6detail26onesweep_histograms_kernelINS1_34wrapped_radix_sort_onesweep_configINS0_14default_configEiN2at4cuda3cub6detail10OpaqueTypeILi8EEEEELb1EPKimNS0_19identity_decomposerEEEvT1_PT2_SG_SG_T3_jj
                                        ; -- End function
	.section	.AMDGPU.csdata,"",@progbits
; Kernel info:
; codeLenInByte = 2764
; NumSgprs: 18
; NumVgprs: 16
; ScratchSize: 0
; MemoryBound: 0
; FloatMode: 240
; IeeeMode: 1
; LDSByteSize: 16384 bytes/workgroup (compile time only)
; SGPRBlocks: 2
; VGPRBlocks: 1
; NumSGPRsForWavesPerEU: 18
; NumVGPRsForWavesPerEU: 16
; Occupancy: 16
; WaveLimiterHint : 1
; COMPUTE_PGM_RSRC2:SCRATCH_EN: 0
; COMPUTE_PGM_RSRC2:USER_SGPR: 15
; COMPUTE_PGM_RSRC2:TRAP_HANDLER: 0
; COMPUTE_PGM_RSRC2:TGID_X_EN: 1
; COMPUTE_PGM_RSRC2:TGID_Y_EN: 0
; COMPUTE_PGM_RSRC2:TGID_Z_EN: 0
; COMPUTE_PGM_RSRC2:TIDIG_COMP_CNT: 0
	.section	.text._ZN7rocprim17ROCPRIM_304000_NS6detail31onesweep_scan_histograms_kernelINS1_34wrapped_radix_sort_onesweep_configINS0_14default_configEiN2at4cuda3cub6detail10OpaqueTypeILi8EEEEEmEEvPT0_,"axG",@progbits,_ZN7rocprim17ROCPRIM_304000_NS6detail31onesweep_scan_histograms_kernelINS1_34wrapped_radix_sort_onesweep_configINS0_14default_configEiN2at4cuda3cub6detail10OpaqueTypeILi8EEEEEmEEvPT0_,comdat
	.protected	_ZN7rocprim17ROCPRIM_304000_NS6detail31onesweep_scan_histograms_kernelINS1_34wrapped_radix_sort_onesweep_configINS0_14default_configEiN2at4cuda3cub6detail10OpaqueTypeILi8EEEEEmEEvPT0_ ; -- Begin function _ZN7rocprim17ROCPRIM_304000_NS6detail31onesweep_scan_histograms_kernelINS1_34wrapped_radix_sort_onesweep_configINS0_14default_configEiN2at4cuda3cub6detail10OpaqueTypeILi8EEEEEmEEvPT0_
	.globl	_ZN7rocprim17ROCPRIM_304000_NS6detail31onesweep_scan_histograms_kernelINS1_34wrapped_radix_sort_onesweep_configINS0_14default_configEiN2at4cuda3cub6detail10OpaqueTypeILi8EEEEEmEEvPT0_
	.p2align	8
	.type	_ZN7rocprim17ROCPRIM_304000_NS6detail31onesweep_scan_histograms_kernelINS1_34wrapped_radix_sort_onesweep_configINS0_14default_configEiN2at4cuda3cub6detail10OpaqueTypeILi8EEEEEmEEvPT0_,@function
_ZN7rocprim17ROCPRIM_304000_NS6detail31onesweep_scan_histograms_kernelINS1_34wrapped_radix_sort_onesweep_configINS0_14default_configEiN2at4cuda3cub6detail10OpaqueTypeILi8EEEEEmEEvPT0_: ; @_ZN7rocprim17ROCPRIM_304000_NS6detail31onesweep_scan_histograms_kernelINS1_34wrapped_radix_sort_onesweep_configINS0_14default_configEiN2at4cuda3cub6detail10OpaqueTypeILi8EEEEEmEEvPT0_
; %bb.0:
	s_load_b64 s[0:1], s[0:1], 0x0
	s_lshl_b32 s2, s15, 8
	s_mov_b32 s3, 0
	v_cmp_gt_u32_e32 vcc_lo, 0x100, v0
	s_lshl_b64 s[2:3], s[2:3], 3
	v_lshlrev_b32_e32 v5, 3, v0
                                        ; implicit-def: $vgpr1_vgpr2
	s_waitcnt lgkmcnt(0)
	s_add_u32 s8, s0, s2
	s_addc_u32 s9, s1, s3
	s_and_saveexec_b32 s0, vcc_lo
	s_cbranch_execz .LBB84_2
; %bb.1:
	global_load_b64 v[1:2], v5, s[8:9]
.LBB84_2:
	s_or_b32 exec_lo, exec_lo, s0
	v_mbcnt_lo_u32_b32 v6, -1, 0
	s_waitcnt vmcnt(0)
	v_mov_b32_dpp v8, v1 row_shr:1 row_mask:0xf bank_mask:0xf
	v_mov_b32_dpp v7, v2 row_shr:1 row_mask:0xf bank_mask:0xf
	s_delay_alu instid0(VALU_DEP_3) | instskip(NEXT) | instid1(VALU_DEP_1)
	v_dual_mov_b32 v3, v1 :: v_dual_and_b32 v4, 15, v6
	v_cmp_ne_u32_e64 s0, 0, v4
	s_delay_alu instid0(VALU_DEP_1)
	s_and_saveexec_b32 s2, s0
; %bb.3:
	v_add_co_u32 v3, s1, v1, v8
	s_delay_alu instid0(VALU_DEP_1) | instskip(NEXT) | instid1(VALU_DEP_2)
	v_add_co_ci_u32_e64 v2, s1, 0, v2, s1
	v_add_co_u32 v1, s1, 0, v3
	s_delay_alu instid0(VALU_DEP_1)
	v_add_co_ci_u32_e64 v2, s1, v7, v2, s1
; %bb.4:
	s_or_b32 exec_lo, exec_lo, s2
	v_mov_b32_dpp v8, v3 row_shr:2 row_mask:0xf bank_mask:0xf
	s_delay_alu instid0(VALU_DEP_2) | instskip(SKIP_1) | instid1(VALU_DEP_1)
	v_mov_b32_dpp v7, v2 row_shr:2 row_mask:0xf bank_mask:0xf
	v_cmp_lt_u32_e64 s1, 1, v4
	s_and_saveexec_b32 s3, s1
; %bb.5:
	s_delay_alu instid0(VALU_DEP_3) | instskip(NEXT) | instid1(VALU_DEP_1)
	v_add_co_u32 v3, s2, v1, v8
	v_add_co_ci_u32_e64 v2, s2, 0, v2, s2
	s_delay_alu instid0(VALU_DEP_2) | instskip(NEXT) | instid1(VALU_DEP_1)
	v_add_co_u32 v1, s2, 0, v3
	v_add_co_ci_u32_e64 v2, s2, v7, v2, s2
; %bb.6:
	s_or_b32 exec_lo, exec_lo, s3
	v_mov_b32_dpp v8, v3 row_shr:4 row_mask:0xf bank_mask:0xf
	s_delay_alu instid0(VALU_DEP_2) | instskip(SKIP_1) | instid1(VALU_DEP_1)
	v_mov_b32_dpp v7, v2 row_shr:4 row_mask:0xf bank_mask:0xf
	v_cmp_lt_u32_e64 s2, 3, v4
	s_and_saveexec_b32 s4, s2
; %bb.7:
	s_delay_alu instid0(VALU_DEP_3) | instskip(NEXT) | instid1(VALU_DEP_1)
	v_add_co_u32 v3, s3, v1, v8
	v_add_co_ci_u32_e64 v2, s3, 0, v2, s3
	s_delay_alu instid0(VALU_DEP_2) | instskip(NEXT) | instid1(VALU_DEP_1)
	v_add_co_u32 v1, s3, 0, v3
	v_add_co_ci_u32_e64 v2, s3, v7, v2, s3
; %bb.8:
	s_or_b32 exec_lo, exec_lo, s4
	v_mov_b32_dpp v8, v3 row_shr:8 row_mask:0xf bank_mask:0xf
	s_delay_alu instid0(VALU_DEP_2) | instskip(SKIP_1) | instid1(VALU_DEP_1)
	v_mov_b32_dpp v7, v2 row_shr:8 row_mask:0xf bank_mask:0xf
	v_cmp_lt_u32_e64 s3, 7, v4
	s_and_saveexec_b32 s5, s3
; %bb.9:
	s_delay_alu instid0(VALU_DEP_3) | instskip(NEXT) | instid1(VALU_DEP_1)
	v_add_co_u32 v3, s4, v1, v8
	v_add_co_ci_u32_e64 v2, s4, 0, v2, s4
	s_delay_alu instid0(VALU_DEP_2) | instskip(NEXT) | instid1(VALU_DEP_1)
	v_add_co_u32 v1, s4, 0, v3
	v_add_co_ci_u32_e64 v2, s4, v7, v2, s4
; %bb.10:
	s_or_b32 exec_lo, exec_lo, s5
	ds_swizzle_b32 v4, v3 offset:swizzle(BROADCAST,32,15)
	ds_swizzle_b32 v3, v2 offset:swizzle(BROADCAST,32,15)
	v_and_b32_e32 v7, 16, v6
	s_delay_alu instid0(VALU_DEP_1) | instskip(NEXT) | instid1(VALU_DEP_1)
	v_cmp_ne_u32_e64 s4, 0, v7
	s_and_saveexec_b32 s6, s4
	s_cbranch_execz .LBB84_12
; %bb.11:
	s_waitcnt lgkmcnt(1)
	v_add_co_u32 v1, s5, v1, v4
	s_delay_alu instid0(VALU_DEP_1) | instskip(NEXT) | instid1(VALU_DEP_2)
	v_add_co_ci_u32_e64 v2, s5, 0, v2, s5
	v_add_co_u32 v1, s5, v1, 0
	s_waitcnt lgkmcnt(0)
	s_delay_alu instid0(VALU_DEP_2)
	v_add_co_ci_u32_e64 v2, s5, v2, v3, s5
.LBB84_12:
	s_or_b32 exec_lo, exec_lo, s6
	s_waitcnt lgkmcnt(0)
	v_and_b32_e32 v3, 31, v0
	v_lshrrev_b32_e32 v7, 5, v0
	s_mov_b32 s6, exec_lo
	s_delay_alu instid0(VALU_DEP_2)
	v_cmpx_eq_u32_e32 31, v3
	s_cbranch_execz .LBB84_14
; %bb.13:
	s_delay_alu instid0(VALU_DEP_2)
	v_lshlrev_b32_e32 v3, 3, v7
	ds_store_b64 v3, v[1:2]
.LBB84_14:
	s_or_b32 exec_lo, exec_lo, s6
	v_cmp_lt_u32_e64 s5, 31, v0
	s_mov_b32 s7, exec_lo
	s_waitcnt lgkmcnt(0)
	s_barrier
	buffer_gl0_inv
	v_cmpx_gt_u32_e32 32, v0
	s_cbranch_execz .LBB84_26
; %bb.15:
	ds_load_b64 v[3:4], v5
	s_waitcnt lgkmcnt(0)
	v_mov_b32_dpp v9, v3 row_shr:1 row_mask:0xf bank_mask:0xf
	v_mov_b32_dpp v8, v4 row_shr:1 row_mask:0xf bank_mask:0xf
	v_mov_b32_e32 v0, v3
	s_and_saveexec_b32 s6, s0
; %bb.16:
	s_delay_alu instid0(VALU_DEP_3) | instskip(NEXT) | instid1(VALU_DEP_1)
	v_add_co_u32 v0, s0, v3, v9
	v_add_co_ci_u32_e64 v4, s0, 0, v4, s0
	s_delay_alu instid0(VALU_DEP_2) | instskip(NEXT) | instid1(VALU_DEP_1)
	v_add_co_u32 v3, s0, 0, v0
	v_add_co_ci_u32_e64 v4, s0, v8, v4, s0
; %bb.17:
	s_or_b32 exec_lo, exec_lo, s6
	v_mov_b32_dpp v9, v0 row_shr:2 row_mask:0xf bank_mask:0xf
	s_delay_alu instid0(VALU_DEP_2)
	v_mov_b32_dpp v8, v4 row_shr:2 row_mask:0xf bank_mask:0xf
	s_and_saveexec_b32 s6, s1
; %bb.18:
	s_delay_alu instid0(VALU_DEP_2) | instskip(NEXT) | instid1(VALU_DEP_1)
	v_add_co_u32 v0, s0, v3, v9
	v_add_co_ci_u32_e64 v4, s0, 0, v4, s0
	s_delay_alu instid0(VALU_DEP_2) | instskip(NEXT) | instid1(VALU_DEP_1)
	v_add_co_u32 v3, s0, 0, v0
	v_add_co_ci_u32_e64 v4, s0, v8, v4, s0
; %bb.19:
	s_or_b32 exec_lo, exec_lo, s6
	v_mov_b32_dpp v9, v0 row_shr:4 row_mask:0xf bank_mask:0xf
	s_delay_alu instid0(VALU_DEP_2)
	v_mov_b32_dpp v8, v4 row_shr:4 row_mask:0xf bank_mask:0xf
	s_and_saveexec_b32 s1, s2
; %bb.20:
	s_delay_alu instid0(VALU_DEP_2) | instskip(NEXT) | instid1(VALU_DEP_1)
	;; [unrolled: 13-line block ×3, first 2 shown]
	v_add_co_u32 v0, s0, v3, v9
	v_add_co_ci_u32_e64 v4, s0, 0, v4, s0
	s_delay_alu instid0(VALU_DEP_2) | instskip(NEXT) | instid1(VALU_DEP_1)
	v_add_co_u32 v3, s0, 0, v0
	v_add_co_ci_u32_e64 v4, s0, v8, v4, s0
; %bb.23:
	s_or_b32 exec_lo, exec_lo, s1
	ds_swizzle_b32 v8, v0 offset:swizzle(BROADCAST,32,15)
	ds_swizzle_b32 v0, v4 offset:swizzle(BROADCAST,32,15)
	s_and_saveexec_b32 s1, s4
	s_cbranch_execz .LBB84_25
; %bb.24:
	s_waitcnt lgkmcnt(1)
	v_add_co_u32 v3, s0, v3, v8
	s_delay_alu instid0(VALU_DEP_1) | instskip(NEXT) | instid1(VALU_DEP_2)
	v_add_co_ci_u32_e64 v4, s0, 0, v4, s0
	v_add_co_u32 v3, s0, v3, 0
	s_waitcnt lgkmcnt(0)
	s_delay_alu instid0(VALU_DEP_2)
	v_add_co_ci_u32_e64 v4, s0, v4, v0, s0
.LBB84_25:
	s_or_b32 exec_lo, exec_lo, s1
	ds_store_b64 v5, v[3:4]
.LBB84_26:
	s_or_b32 exec_lo, exec_lo, s7
	v_mov_b32_e32 v3, 0
	v_mov_b32_e32 v4, 0
	s_waitcnt lgkmcnt(0)
	s_barrier
	buffer_gl0_inv
	s_and_saveexec_b32 s0, s5
	s_cbranch_execz .LBB84_28
; %bb.27:
	v_lshl_add_u32 v0, v7, 3, -8
	ds_load_b64 v[3:4], v0
.LBB84_28:
	s_or_b32 exec_lo, exec_lo, s0
	v_add_nc_u32_e32 v0, -1, v6
	s_delay_alu instid0(VALU_DEP_1) | instskip(NEXT) | instid1(VALU_DEP_1)
	v_cmp_gt_i32_e64 s0, 0, v0
	v_cndmask_b32_e64 v0, v0, v6, s0
	s_delay_alu instid0(VALU_DEP_1) | instskip(SKIP_2) | instid1(VALU_DEP_1)
	v_lshlrev_b32_e32 v7, 2, v0
	s_waitcnt lgkmcnt(0)
	v_add_co_u32 v0, s0, v3, v1
	v_add_co_ci_u32_e64 v1, s0, v4, v2, s0
	ds_bpermute_b32 v0, v7, v0
	ds_bpermute_b32 v1, v7, v1
	s_and_saveexec_b32 s0, vcc_lo
	s_cbranch_execz .LBB84_30
; %bb.29:
	v_cmp_eq_u32_e32 vcc_lo, 0, v6
	s_waitcnt lgkmcnt(0)
	v_dual_cndmask_b32 v1, v1, v4 :: v_dual_cndmask_b32 v0, v0, v3
	global_store_b64 v5, v[0:1], s[8:9]
.LBB84_30:
	s_nop 0
	s_sendmsg sendmsg(MSG_DEALLOC_VGPRS)
	s_endpgm
	.section	.rodata,"a",@progbits
	.p2align	6, 0x0
	.amdhsa_kernel _ZN7rocprim17ROCPRIM_304000_NS6detail31onesweep_scan_histograms_kernelINS1_34wrapped_radix_sort_onesweep_configINS0_14default_configEiN2at4cuda3cub6detail10OpaqueTypeILi8EEEEEmEEvPT0_
		.amdhsa_group_segment_fixed_size 256
		.amdhsa_private_segment_fixed_size 0
		.amdhsa_kernarg_size 8
		.amdhsa_user_sgpr_count 15
		.amdhsa_user_sgpr_dispatch_ptr 0
		.amdhsa_user_sgpr_queue_ptr 0
		.amdhsa_user_sgpr_kernarg_segment_ptr 1
		.amdhsa_user_sgpr_dispatch_id 0
		.amdhsa_user_sgpr_private_segment_size 0
		.amdhsa_wavefront_size32 1
		.amdhsa_uses_dynamic_stack 0
		.amdhsa_enable_private_segment 0
		.amdhsa_system_sgpr_workgroup_id_x 1
		.amdhsa_system_sgpr_workgroup_id_y 0
		.amdhsa_system_sgpr_workgroup_id_z 0
		.amdhsa_system_sgpr_workgroup_info 0
		.amdhsa_system_vgpr_workitem_id 0
		.amdhsa_next_free_vgpr 10
		.amdhsa_next_free_sgpr 16
		.amdhsa_reserve_vcc 1
		.amdhsa_float_round_mode_32 0
		.amdhsa_float_round_mode_16_64 0
		.amdhsa_float_denorm_mode_32 3
		.amdhsa_float_denorm_mode_16_64 3
		.amdhsa_dx10_clamp 1
		.amdhsa_ieee_mode 1
		.amdhsa_fp16_overflow 0
		.amdhsa_workgroup_processor_mode 1
		.amdhsa_memory_ordered 1
		.amdhsa_forward_progress 0
		.amdhsa_shared_vgpr_count 0
		.amdhsa_exception_fp_ieee_invalid_op 0
		.amdhsa_exception_fp_denorm_src 0
		.amdhsa_exception_fp_ieee_div_zero 0
		.amdhsa_exception_fp_ieee_overflow 0
		.amdhsa_exception_fp_ieee_underflow 0
		.amdhsa_exception_fp_ieee_inexact 0
		.amdhsa_exception_int_div_zero 0
	.end_amdhsa_kernel
	.section	.text._ZN7rocprim17ROCPRIM_304000_NS6detail31onesweep_scan_histograms_kernelINS1_34wrapped_radix_sort_onesweep_configINS0_14default_configEiN2at4cuda3cub6detail10OpaqueTypeILi8EEEEEmEEvPT0_,"axG",@progbits,_ZN7rocprim17ROCPRIM_304000_NS6detail31onesweep_scan_histograms_kernelINS1_34wrapped_radix_sort_onesweep_configINS0_14default_configEiN2at4cuda3cub6detail10OpaqueTypeILi8EEEEEmEEvPT0_,comdat
.Lfunc_end84:
	.size	_ZN7rocprim17ROCPRIM_304000_NS6detail31onesweep_scan_histograms_kernelINS1_34wrapped_radix_sort_onesweep_configINS0_14default_configEiN2at4cuda3cub6detail10OpaqueTypeILi8EEEEEmEEvPT0_, .Lfunc_end84-_ZN7rocprim17ROCPRIM_304000_NS6detail31onesweep_scan_histograms_kernelINS1_34wrapped_radix_sort_onesweep_configINS0_14default_configEiN2at4cuda3cub6detail10OpaqueTypeILi8EEEEEmEEvPT0_
                                        ; -- End function
	.section	.AMDGPU.csdata,"",@progbits
; Kernel info:
; codeLenInByte = 1104
; NumSgprs: 18
; NumVgprs: 10
; ScratchSize: 0
; MemoryBound: 0
; FloatMode: 240
; IeeeMode: 1
; LDSByteSize: 256 bytes/workgroup (compile time only)
; SGPRBlocks: 2
; VGPRBlocks: 1
; NumSGPRsForWavesPerEU: 18
; NumVGPRsForWavesPerEU: 10
; Occupancy: 16
; WaveLimiterHint : 0
; COMPUTE_PGM_RSRC2:SCRATCH_EN: 0
; COMPUTE_PGM_RSRC2:USER_SGPR: 15
; COMPUTE_PGM_RSRC2:TRAP_HANDLER: 0
; COMPUTE_PGM_RSRC2:TGID_X_EN: 1
; COMPUTE_PGM_RSRC2:TGID_Y_EN: 0
; COMPUTE_PGM_RSRC2:TGID_Z_EN: 0
; COMPUTE_PGM_RSRC2:TIDIG_COMP_CNT: 0
	.section	.text._ZN7rocprim17ROCPRIM_304000_NS6detail16transform_kernelINS1_24wrapped_transform_configINS0_14default_configEiEEiPKiPiNS0_8identityIiEEEEvT1_mT2_T3_,"axG",@progbits,_ZN7rocprim17ROCPRIM_304000_NS6detail16transform_kernelINS1_24wrapped_transform_configINS0_14default_configEiEEiPKiPiNS0_8identityIiEEEEvT1_mT2_T3_,comdat
	.protected	_ZN7rocprim17ROCPRIM_304000_NS6detail16transform_kernelINS1_24wrapped_transform_configINS0_14default_configEiEEiPKiPiNS0_8identityIiEEEEvT1_mT2_T3_ ; -- Begin function _ZN7rocprim17ROCPRIM_304000_NS6detail16transform_kernelINS1_24wrapped_transform_configINS0_14default_configEiEEiPKiPiNS0_8identityIiEEEEvT1_mT2_T3_
	.globl	_ZN7rocprim17ROCPRIM_304000_NS6detail16transform_kernelINS1_24wrapped_transform_configINS0_14default_configEiEEiPKiPiNS0_8identityIiEEEEvT1_mT2_T3_
	.p2align	8
	.type	_ZN7rocprim17ROCPRIM_304000_NS6detail16transform_kernelINS1_24wrapped_transform_configINS0_14default_configEiEEiPKiPiNS0_8identityIiEEEEvT1_mT2_T3_,@function
_ZN7rocprim17ROCPRIM_304000_NS6detail16transform_kernelINS1_24wrapped_transform_configINS0_14default_configEiEEiPKiPiNS0_8identityIiEEEEvT1_mT2_T3_: ; @_ZN7rocprim17ROCPRIM_304000_NS6detail16transform_kernelINS1_24wrapped_transform_configINS0_14default_configEiEEiPKiPiNS0_8identityIiEEEEvT1_mT2_T3_
; %bb.0:
	s_clause 0x2
	s_load_b32 s2, s[0:1], 0x20
	s_load_b128 s[4:7], s[0:1], 0x0
	s_load_b64 s[16:17], s[0:1], 0x10
	s_mov_b32 s21, 0
	s_lshl_b32 s20, s15, 12
	v_lshlrev_b32_e32 v3, 2, v0
	s_lshl_b64 s[18:19], s[20:21], 2
	s_waitcnt lgkmcnt(0)
	s_add_i32 s2, s2, -1
	s_add_u32 s0, s4, s18
	s_addc_u32 s1, s5, s19
	v_add_co_u32 v1, s0, s0, v3
	s_delay_alu instid0(VALU_DEP_1)
	v_add_co_ci_u32_e64 v2, null, s1, 0, s0
	s_cmp_lg_u32 s15, s2
	s_mov_b32 s0, -1
	s_cbranch_scc0 .LBB85_2
; %bb.1:
	v_add_co_u32 v4, vcc_lo, 0x1000, v1
	v_add_co_ci_u32_e32 v5, vcc_lo, 0, v2, vcc_lo
	v_add_co_u32 v6, vcc_lo, v1, 0x2000
	v_add_co_ci_u32_e32 v7, vcc_lo, 0, v2, vcc_lo
	v_add_co_u32 v8, vcc_lo, 0x2000, v1
	v_add_co_ci_u32_e32 v9, vcc_lo, 0, v2, vcc_lo
	v_add_co_u32 v10, vcc_lo, 0x3000, v1
	global_load_b32 v13, v[6:7], off
	v_add_co_ci_u32_e32 v11, vcc_lo, 0, v2, vcc_lo
	s_clause 0xe
	global_load_b32 v14, v[1:2], off
	global_load_b32 v15, v[1:2], off offset:1024
	global_load_b32 v16, v[1:2], off offset:2048
	;; [unrolled: 1-line block ×9, first 2 shown]
	global_load_b32 v24, v[10:11], off
	global_load_b32 v25, v[10:11], off offset:1024
	global_load_b32 v26, v[6:7], off offset:-4096
	global_load_b32 v27, v[10:11], off offset:2048
	global_load_b32 v4, v[10:11], off offset:3072
	s_add_u32 s2, s16, s18
	s_addc_u32 s3, s17, s19
	v_add_co_u32 v11, s1, s2, v3
	s_delay_alu instid0(VALU_DEP_1) | instskip(NEXT) | instid1(VALU_DEP_2)
	v_add_co_ci_u32_e64 v12, null, s3, 0, s1
	v_add_co_u32 v5, vcc_lo, 0x1000, v11
	s_delay_alu instid0(VALU_DEP_2)
	v_add_co_ci_u32_e32 v6, vcc_lo, 0, v12, vcc_lo
	v_add_co_u32 v7, vcc_lo, v11, 0x2000
	v_add_co_ci_u32_e32 v8, vcc_lo, 0, v12, vcc_lo
	v_add_co_u32 v9, vcc_lo, 0x2000, v11
	;; [unrolled: 2-line block ×3, first 2 shown]
	s_mov_b32 s21, -1
	v_add_co_ci_u32_e32 v12, vcc_lo, 0, v12, vcc_lo
	s_waitcnt vmcnt(15)
	global_store_b32 v[7:8], v13, off
	s_waitcnt vmcnt(14)
	global_store_b32 v3, v14, s[2:3]
	s_waitcnt vmcnt(13)
	global_store_b32 v3, v15, s[2:3] offset:1024
	s_waitcnt vmcnt(12)
	global_store_b32 v3, v16, s[2:3] offset:2048
	;; [unrolled: 2-line block ×3, first 2 shown]
	s_waitcnt vmcnt(10)
	global_store_b32 v[5:6], v18, off offset:1024
	s_waitcnt vmcnt(9)
	global_store_b32 v[5:6], v19, off offset:2048
	;; [unrolled: 2-line block ×6, first 2 shown]
	s_waitcnt vmcnt(4)
	global_store_b32 v[11:12], v24, off
	s_waitcnt vmcnt(3)
	global_store_b32 v[11:12], v25, off offset:1024
	s_waitcnt vmcnt(2)
	global_store_b32 v[7:8], v26, off offset:-4096
	s_waitcnt vmcnt(1)
	global_store_b32 v[11:12], v27, off offset:2048
	s_cbranch_execz .LBB85_3
	s_branch .LBB85_52
.LBB85_2:
                                        ; implicit-def: $vgpr4
	s_and_not1_b32 vcc_lo, exec_lo, s0
	s_cbranch_vccnz .LBB85_52
.LBB85_3:
	s_sub_i32 s15, s6, s20
                                        ; implicit-def: $vgpr5
	s_delay_alu instid0(SALU_CYCLE_1)
	v_cmp_gt_u32_e32 vcc_lo, s15, v0
	s_and_saveexec_b32 s0, vcc_lo
	s_cbranch_execz .LBB85_5
; %bb.4:
	global_load_b32 v5, v[1:2], off
.LBB85_5:
	s_or_b32 exec_lo, exec_lo, s0
	s_waitcnt vmcnt(0)
	v_or_b32_e32 v4, 0x100, v0
                                        ; implicit-def: $vgpr6
	s_delay_alu instid0(VALU_DEP_1) | instskip(NEXT) | instid1(VALU_DEP_1)
	v_cmp_gt_u32_e64 s0, s15, v4
	s_and_saveexec_b32 s1, s0
	s_cbranch_execz .LBB85_7
; %bb.6:
	global_load_b32 v6, v[1:2], off offset:1024
.LBB85_7:
	s_or_b32 exec_lo, exec_lo, s1
	v_or_b32_e32 v4, 0x200, v0
                                        ; implicit-def: $vgpr7
	s_delay_alu instid0(VALU_DEP_1) | instskip(NEXT) | instid1(VALU_DEP_1)
	v_cmp_gt_u32_e64 s1, s15, v4
	s_and_saveexec_b32 s2, s1
	s_cbranch_execz .LBB85_9
; %bb.8:
	global_load_b32 v7, v[1:2], off offset:2048
.LBB85_9:
	s_or_b32 exec_lo, exec_lo, s2
	v_or_b32_e32 v4, 0x300, v0
                                        ; implicit-def: $vgpr8
	s_delay_alu instid0(VALU_DEP_1) | instskip(NEXT) | instid1(VALU_DEP_1)
	v_cmp_gt_u32_e64 s2, s15, v4
	s_and_saveexec_b32 s3, s2
	s_cbranch_execz .LBB85_11
; %bb.10:
	global_load_b32 v8, v[1:2], off offset:3072
.LBB85_11:
	s_or_b32 exec_lo, exec_lo, s3
	v_or_b32_e32 v4, 0x400, v0
                                        ; implicit-def: $vgpr9
	s_delay_alu instid0(VALU_DEP_1) | instskip(NEXT) | instid1(VALU_DEP_1)
	v_cmp_gt_u32_e64 s3, s15, v4
	s_and_saveexec_b32 s5, s3
	s_cbranch_execz .LBB85_13
; %bb.12:
	v_add_co_u32 v9, s4, 0x1000, v1
	s_delay_alu instid0(VALU_DEP_1)
	v_add_co_ci_u32_e64 v10, s4, 0, v2, s4
	global_load_b32 v9, v[9:10], off
.LBB85_13:
	s_or_b32 exec_lo, exec_lo, s5
	v_or_b32_e32 v4, 0x500, v0
                                        ; implicit-def: $vgpr10
	s_delay_alu instid0(VALU_DEP_1) | instskip(NEXT) | instid1(VALU_DEP_1)
	v_cmp_gt_u32_e64 s4, s15, v4
	s_and_saveexec_b32 s6, s4
	s_cbranch_execz .LBB85_15
; %bb.14:
	v_add_co_u32 v10, s5, 0x1000, v1
	s_delay_alu instid0(VALU_DEP_1)
	v_add_co_ci_u32_e64 v11, s5, 0, v2, s5
	global_load_b32 v10, v[10:11], off offset:1024
.LBB85_15:
	s_or_b32 exec_lo, exec_lo, s6
	v_or_b32_e32 v4, 0x600, v0
                                        ; implicit-def: $vgpr11
	s_delay_alu instid0(VALU_DEP_1) | instskip(NEXT) | instid1(VALU_DEP_1)
	v_cmp_gt_u32_e64 s5, s15, v4
	s_and_saveexec_b32 s7, s5
	s_cbranch_execz .LBB85_17
; %bb.16:
	v_add_co_u32 v11, s6, 0x1000, v1
	s_delay_alu instid0(VALU_DEP_1)
	v_add_co_ci_u32_e64 v12, s6, 0, v2, s6
	global_load_b32 v11, v[11:12], off offset:2048
.LBB85_17:
	s_or_b32 exec_lo, exec_lo, s7
	v_or_b32_e32 v4, 0x700, v0
                                        ; implicit-def: $vgpr12
	s_delay_alu instid0(VALU_DEP_1) | instskip(NEXT) | instid1(VALU_DEP_1)
	v_cmp_gt_u32_e64 s6, s15, v4
	s_and_saveexec_b32 s8, s6
	s_cbranch_execz .LBB85_19
; %bb.18:
	v_add_co_u32 v12, s7, 0x1000, v1
	s_delay_alu instid0(VALU_DEP_1)
	v_add_co_ci_u32_e64 v13, s7, 0, v2, s7
	global_load_b32 v12, v[12:13], off offset:3072
.LBB85_19:
	s_or_b32 exec_lo, exec_lo, s8
	v_or_b32_e32 v4, 0x800, v0
                                        ; implicit-def: $vgpr13
	s_delay_alu instid0(VALU_DEP_1) | instskip(NEXT) | instid1(VALU_DEP_1)
	v_cmp_gt_u32_e64 s7, s15, v4
	s_and_saveexec_b32 s9, s7
	s_cbranch_execz .LBB85_21
; %bb.20:
	v_add_co_u32 v13, s8, 0x2000, v1
	s_delay_alu instid0(VALU_DEP_1)
	v_add_co_ci_u32_e64 v14, s8, 0, v2, s8
	global_load_b32 v13, v[13:14], off
.LBB85_21:
	s_or_b32 exec_lo, exec_lo, s9
	v_or_b32_e32 v4, 0x900, v0
                                        ; implicit-def: $vgpr14
	s_delay_alu instid0(VALU_DEP_1) | instskip(NEXT) | instid1(VALU_DEP_1)
	v_cmp_gt_u32_e64 s8, s15, v4
	s_and_saveexec_b32 s10, s8
	s_cbranch_execz .LBB85_23
; %bb.22:
	v_add_co_u32 v14, s9, 0x2000, v1
	s_delay_alu instid0(VALU_DEP_1)
	v_add_co_ci_u32_e64 v15, s9, 0, v2, s9
	global_load_b32 v14, v[14:15], off offset:1024
.LBB85_23:
	s_or_b32 exec_lo, exec_lo, s10
	v_or_b32_e32 v4, 0xa00, v0
                                        ; implicit-def: $vgpr15
	s_delay_alu instid0(VALU_DEP_1) | instskip(NEXT) | instid1(VALU_DEP_1)
	v_cmp_gt_u32_e64 s9, s15, v4
	s_and_saveexec_b32 s11, s9
	s_cbranch_execz .LBB85_25
; %bb.24:
	v_add_co_u32 v15, s10, 0x2000, v1
	s_delay_alu instid0(VALU_DEP_1)
	v_add_co_ci_u32_e64 v16, s10, 0, v2, s10
	global_load_b32 v15, v[15:16], off offset:2048
.LBB85_25:
	s_or_b32 exec_lo, exec_lo, s11
	v_or_b32_e32 v4, 0xb00, v0
                                        ; implicit-def: $vgpr16
	s_delay_alu instid0(VALU_DEP_1) | instskip(NEXT) | instid1(VALU_DEP_1)
	v_cmp_gt_u32_e64 s10, s15, v4
	s_and_saveexec_b32 s12, s10
	s_cbranch_execz .LBB85_27
; %bb.26:
	v_add_co_u32 v16, s11, 0x2000, v1
	s_delay_alu instid0(VALU_DEP_1)
	v_add_co_ci_u32_e64 v17, s11, 0, v2, s11
	global_load_b32 v16, v[16:17], off offset:3072
.LBB85_27:
	s_or_b32 exec_lo, exec_lo, s12
	v_or_b32_e32 v4, 0xc00, v0
                                        ; implicit-def: $vgpr17
	s_delay_alu instid0(VALU_DEP_1) | instskip(NEXT) | instid1(VALU_DEP_1)
	v_cmp_gt_u32_e64 s11, s15, v4
	s_and_saveexec_b32 s13, s11
	s_cbranch_execz .LBB85_29
; %bb.28:
	v_add_co_u32 v17, s12, 0x3000, v1
	s_delay_alu instid0(VALU_DEP_1)
	v_add_co_ci_u32_e64 v18, s12, 0, v2, s12
	global_load_b32 v17, v[17:18], off
.LBB85_29:
	s_or_b32 exec_lo, exec_lo, s13
	v_or_b32_e32 v4, 0xd00, v0
                                        ; implicit-def: $vgpr18
	s_delay_alu instid0(VALU_DEP_1) | instskip(NEXT) | instid1(VALU_DEP_1)
	v_cmp_gt_u32_e64 s12, s15, v4
	s_and_saveexec_b32 s14, s12
	s_cbranch_execz .LBB85_31
; %bb.30:
	v_add_co_u32 v18, s13, 0x3000, v1
	s_delay_alu instid0(VALU_DEP_1)
	v_add_co_ci_u32_e64 v19, s13, 0, v2, s13
	global_load_b32 v18, v[18:19], off offset:1024
.LBB85_31:
	s_or_b32 exec_lo, exec_lo, s14
	v_or_b32_e32 v4, 0xe00, v0
                                        ; implicit-def: $vgpr19
	s_delay_alu instid0(VALU_DEP_1) | instskip(NEXT) | instid1(VALU_DEP_1)
	v_cmp_gt_u32_e64 s13, s15, v4
	s_and_saveexec_b32 s20, s13
	s_cbranch_execz .LBB85_33
; %bb.32:
	v_add_co_u32 v19, s14, 0x3000, v1
	s_delay_alu instid0(VALU_DEP_1)
	v_add_co_ci_u32_e64 v20, s14, 0, v2, s14
	global_load_b32 v19, v[19:20], off offset:2048
.LBB85_33:
	s_or_b32 exec_lo, exec_lo, s20
	v_or_b32_e32 v0, 0xf00, v0
                                        ; implicit-def: $vgpr4
	s_delay_alu instid0(VALU_DEP_1) | instskip(NEXT) | instid1(VALU_DEP_1)
	v_cmp_gt_u32_e64 s21, s15, v0
	s_and_saveexec_b32 s15, s21
	s_cbranch_execz .LBB85_35
; %bb.34:
	v_add_co_u32 v0, s14, 0x3000, v1
	s_delay_alu instid0(VALU_DEP_1)
	v_add_co_ci_u32_e64 v1, s14, 0, v2, s14
	global_load_b32 v4, v[0:1], off offset:3072
.LBB85_35:
	s_or_b32 exec_lo, exec_lo, s15
	s_add_u32 s14, s16, s18
	s_addc_u32 s15, s17, s19
	v_add_co_u32 v0, s14, s14, v3
	s_delay_alu instid0(VALU_DEP_1) | instskip(SKIP_1) | instid1(SALU_CYCLE_1)
	v_add_co_ci_u32_e64 v1, null, s15, 0, s14
	s_and_saveexec_b32 s14, vcc_lo
	s_xor_b32 s14, exec_lo, s14
	s_cbranch_execnz .LBB85_55
; %bb.36:
	s_or_b32 exec_lo, exec_lo, s14
	s_and_saveexec_b32 s14, s0
	s_cbranch_execnz .LBB85_56
.LBB85_37:
	s_or_b32 exec_lo, exec_lo, s14
	s_and_saveexec_b32 s0, s1
	s_cbranch_execnz .LBB85_57
.LBB85_38:
	s_or_b32 exec_lo, exec_lo, s0
	s_and_saveexec_b32 s0, s2
	s_cbranch_execnz .LBB85_58
.LBB85_39:
	s_or_b32 exec_lo, exec_lo, s0
	s_and_saveexec_b32 s0, s3
	s_cbranch_execnz .LBB85_59
.LBB85_40:
	s_or_b32 exec_lo, exec_lo, s0
	s_and_saveexec_b32 s0, s4
	s_cbranch_execnz .LBB85_60
.LBB85_41:
	s_or_b32 exec_lo, exec_lo, s0
	s_and_saveexec_b32 s0, s5
	s_cbranch_execnz .LBB85_61
.LBB85_42:
	s_or_b32 exec_lo, exec_lo, s0
	s_and_saveexec_b32 s0, s6
	s_cbranch_execnz .LBB85_62
.LBB85_43:
	s_or_b32 exec_lo, exec_lo, s0
	s_and_saveexec_b32 s0, s7
	s_cbranch_execnz .LBB85_63
.LBB85_44:
	s_or_b32 exec_lo, exec_lo, s0
	s_and_saveexec_b32 s0, s8
	s_cbranch_execnz .LBB85_64
.LBB85_45:
	s_or_b32 exec_lo, exec_lo, s0
	s_and_saveexec_b32 s0, s9
	s_cbranch_execnz .LBB85_65
.LBB85_46:
	s_or_b32 exec_lo, exec_lo, s0
	s_and_saveexec_b32 s0, s10
	s_cbranch_execnz .LBB85_66
.LBB85_47:
	s_or_b32 exec_lo, exec_lo, s0
	s_and_saveexec_b32 s0, s11
	s_cbranch_execnz .LBB85_67
.LBB85_48:
	s_or_b32 exec_lo, exec_lo, s0
	s_and_saveexec_b32 s0, s12
	s_cbranch_execnz .LBB85_68
.LBB85_49:
	s_or_b32 exec_lo, exec_lo, s0
	s_and_saveexec_b32 s0, s13
	s_cbranch_execz .LBB85_51
.LBB85_50:
	v_add_co_u32 v0, vcc_lo, 0x3000, v0
	v_add_co_ci_u32_e32 v1, vcc_lo, 0, v1, vcc_lo
	s_waitcnt vmcnt(0)
	global_store_b32 v[0:1], v19, off offset:2048
.LBB85_51:
	s_or_b32 exec_lo, exec_lo, s0
.LBB85_52:
	s_and_saveexec_b32 s0, s21
	s_cbranch_execnz .LBB85_54
; %bb.53:
	s_nop 0
	s_sendmsg sendmsg(MSG_DEALLOC_VGPRS)
	s_endpgm
.LBB85_54:
	s_add_u32 s0, s16, s18
	s_addc_u32 s1, s17, s19
	v_add_co_u32 v0, s0, s0, v3
	s_delay_alu instid0(VALU_DEP_1) | instskip(NEXT) | instid1(VALU_DEP_2)
	v_add_co_ci_u32_e64 v1, null, s1, 0, s0
	v_add_co_u32 v0, vcc_lo, 0x3000, v0
	s_delay_alu instid0(VALU_DEP_2)
	v_add_co_ci_u32_e32 v1, vcc_lo, 0, v1, vcc_lo
	s_waitcnt vmcnt(0)
	global_store_b32 v[0:1], v4, off offset:3072
	s_nop 0
	s_sendmsg sendmsg(MSG_DEALLOC_VGPRS)
	s_endpgm
.LBB85_55:
	global_store_b32 v[0:1], v5, off
	s_or_b32 exec_lo, exec_lo, s14
	s_and_saveexec_b32 s14, s0
	s_cbranch_execz .LBB85_37
.LBB85_56:
	s_waitcnt vmcnt(0)
	global_store_b32 v[0:1], v6, off offset:1024
	s_or_b32 exec_lo, exec_lo, s14
	s_and_saveexec_b32 s0, s1
	s_cbranch_execz .LBB85_38
.LBB85_57:
	s_waitcnt vmcnt(0)
	global_store_b32 v[0:1], v7, off offset:2048
	s_or_b32 exec_lo, exec_lo, s0
	s_and_saveexec_b32 s0, s2
	s_cbranch_execz .LBB85_39
.LBB85_58:
	s_waitcnt vmcnt(0)
	global_store_b32 v[0:1], v8, off offset:3072
	s_or_b32 exec_lo, exec_lo, s0
	s_and_saveexec_b32 s0, s3
	s_cbranch_execz .LBB85_40
.LBB85_59:
	v_add_co_u32 v5, vcc_lo, 0x1000, v0
	s_waitcnt vmcnt(0)
	v_add_co_ci_u32_e32 v6, vcc_lo, 0, v1, vcc_lo
	global_store_b32 v[5:6], v9, off
	s_or_b32 exec_lo, exec_lo, s0
	s_and_saveexec_b32 s0, s4
	s_cbranch_execz .LBB85_41
.LBB85_60:
	v_add_co_u32 v5, vcc_lo, 0x1000, v0
	s_waitcnt vmcnt(0)
	v_add_co_ci_u32_e32 v6, vcc_lo, 0, v1, vcc_lo
	global_store_b32 v[5:6], v10, off offset:1024
	s_or_b32 exec_lo, exec_lo, s0
	s_and_saveexec_b32 s0, s5
	s_cbranch_execz .LBB85_42
.LBB85_61:
	v_add_co_u32 v5, vcc_lo, 0x1000, v0
	s_waitcnt vmcnt(0)
	v_add_co_ci_u32_e32 v6, vcc_lo, 0, v1, vcc_lo
	global_store_b32 v[5:6], v11, off offset:2048
	s_or_b32 exec_lo, exec_lo, s0
	s_and_saveexec_b32 s0, s6
	s_cbranch_execz .LBB85_43
.LBB85_62:
	v_add_co_u32 v5, vcc_lo, 0x1000, v0
	s_waitcnt vmcnt(0)
	v_add_co_ci_u32_e32 v6, vcc_lo, 0, v1, vcc_lo
	global_store_b32 v[5:6], v12, off offset:3072
	s_or_b32 exec_lo, exec_lo, s0
	s_and_saveexec_b32 s0, s7
	s_cbranch_execz .LBB85_44
.LBB85_63:
	v_add_co_u32 v5, vcc_lo, 0x2000, v0
	s_waitcnt vmcnt(0)
	v_add_co_ci_u32_e32 v6, vcc_lo, 0, v1, vcc_lo
	global_store_b32 v[5:6], v13, off
	s_or_b32 exec_lo, exec_lo, s0
	s_and_saveexec_b32 s0, s8
	s_cbranch_execz .LBB85_45
.LBB85_64:
	v_add_co_u32 v5, vcc_lo, 0x2000, v0
	s_waitcnt vmcnt(0)
	v_add_co_ci_u32_e32 v6, vcc_lo, 0, v1, vcc_lo
	global_store_b32 v[5:6], v14, off offset:1024
	s_or_b32 exec_lo, exec_lo, s0
	s_and_saveexec_b32 s0, s9
	s_cbranch_execz .LBB85_46
.LBB85_65:
	v_add_co_u32 v5, vcc_lo, 0x2000, v0
	s_waitcnt vmcnt(0)
	v_add_co_ci_u32_e32 v6, vcc_lo, 0, v1, vcc_lo
	global_store_b32 v[5:6], v15, off offset:2048
	s_or_b32 exec_lo, exec_lo, s0
	s_and_saveexec_b32 s0, s10
	s_cbranch_execz .LBB85_47
.LBB85_66:
	v_add_co_u32 v5, vcc_lo, 0x2000, v0
	s_waitcnt vmcnt(0)
	v_add_co_ci_u32_e32 v6, vcc_lo, 0, v1, vcc_lo
	global_store_b32 v[5:6], v16, off offset:3072
	s_or_b32 exec_lo, exec_lo, s0
	s_and_saveexec_b32 s0, s11
	s_cbranch_execz .LBB85_48
.LBB85_67:
	v_add_co_u32 v5, vcc_lo, 0x3000, v0
	s_waitcnt vmcnt(0)
	v_add_co_ci_u32_e32 v6, vcc_lo, 0, v1, vcc_lo
	global_store_b32 v[5:6], v17, off
	s_or_b32 exec_lo, exec_lo, s0
	s_and_saveexec_b32 s0, s12
	s_cbranch_execz .LBB85_49
.LBB85_68:
	v_add_co_u32 v5, vcc_lo, 0x3000, v0
	s_waitcnt vmcnt(0)
	v_add_co_ci_u32_e32 v6, vcc_lo, 0, v1, vcc_lo
	global_store_b32 v[5:6], v18, off offset:1024
	s_or_b32 exec_lo, exec_lo, s0
	s_and_saveexec_b32 s0, s13
	s_cbranch_execnz .LBB85_50
	s_branch .LBB85_51
	.section	.rodata,"a",@progbits
	.p2align	6, 0x0
	.amdhsa_kernel _ZN7rocprim17ROCPRIM_304000_NS6detail16transform_kernelINS1_24wrapped_transform_configINS0_14default_configEiEEiPKiPiNS0_8identityIiEEEEvT1_mT2_T3_
		.amdhsa_group_segment_fixed_size 0
		.amdhsa_private_segment_fixed_size 0
		.amdhsa_kernarg_size 288
		.amdhsa_user_sgpr_count 15
		.amdhsa_user_sgpr_dispatch_ptr 0
		.amdhsa_user_sgpr_queue_ptr 0
		.amdhsa_user_sgpr_kernarg_segment_ptr 1
		.amdhsa_user_sgpr_dispatch_id 0
		.amdhsa_user_sgpr_private_segment_size 0
		.amdhsa_wavefront_size32 1
		.amdhsa_uses_dynamic_stack 0
		.amdhsa_enable_private_segment 0
		.amdhsa_system_sgpr_workgroup_id_x 1
		.amdhsa_system_sgpr_workgroup_id_y 0
		.amdhsa_system_sgpr_workgroup_id_z 0
		.amdhsa_system_sgpr_workgroup_info 0
		.amdhsa_system_vgpr_workitem_id 0
		.amdhsa_next_free_vgpr 28
		.amdhsa_next_free_sgpr 22
		.amdhsa_reserve_vcc 1
		.amdhsa_float_round_mode_32 0
		.amdhsa_float_round_mode_16_64 0
		.amdhsa_float_denorm_mode_32 3
		.amdhsa_float_denorm_mode_16_64 3
		.amdhsa_dx10_clamp 1
		.amdhsa_ieee_mode 1
		.amdhsa_fp16_overflow 0
		.amdhsa_workgroup_processor_mode 1
		.amdhsa_memory_ordered 1
		.amdhsa_forward_progress 0
		.amdhsa_shared_vgpr_count 0
		.amdhsa_exception_fp_ieee_invalid_op 0
		.amdhsa_exception_fp_denorm_src 0
		.amdhsa_exception_fp_ieee_div_zero 0
		.amdhsa_exception_fp_ieee_overflow 0
		.amdhsa_exception_fp_ieee_underflow 0
		.amdhsa_exception_fp_ieee_inexact 0
		.amdhsa_exception_int_div_zero 0
	.end_amdhsa_kernel
	.section	.text._ZN7rocprim17ROCPRIM_304000_NS6detail16transform_kernelINS1_24wrapped_transform_configINS0_14default_configEiEEiPKiPiNS0_8identityIiEEEEvT1_mT2_T3_,"axG",@progbits,_ZN7rocprim17ROCPRIM_304000_NS6detail16transform_kernelINS1_24wrapped_transform_configINS0_14default_configEiEEiPKiPiNS0_8identityIiEEEEvT1_mT2_T3_,comdat
.Lfunc_end85:
	.size	_ZN7rocprim17ROCPRIM_304000_NS6detail16transform_kernelINS1_24wrapped_transform_configINS0_14default_configEiEEiPKiPiNS0_8identityIiEEEEvT1_mT2_T3_, .Lfunc_end85-_ZN7rocprim17ROCPRIM_304000_NS6detail16transform_kernelINS1_24wrapped_transform_configINS0_14default_configEiEEiPKiPiNS0_8identityIiEEEEvT1_mT2_T3_
                                        ; -- End function
	.section	.AMDGPU.csdata,"",@progbits
; Kernel info:
; codeLenInByte = 2336
; NumSgprs: 24
; NumVgprs: 28
; ScratchSize: 0
; MemoryBound: 0
; FloatMode: 240
; IeeeMode: 1
; LDSByteSize: 0 bytes/workgroup (compile time only)
; SGPRBlocks: 2
; VGPRBlocks: 3
; NumSGPRsForWavesPerEU: 24
; NumVGPRsForWavesPerEU: 28
; Occupancy: 16
; WaveLimiterHint : 1
; COMPUTE_PGM_RSRC2:SCRATCH_EN: 0
; COMPUTE_PGM_RSRC2:USER_SGPR: 15
; COMPUTE_PGM_RSRC2:TRAP_HANDLER: 0
; COMPUTE_PGM_RSRC2:TGID_X_EN: 1
; COMPUTE_PGM_RSRC2:TGID_Y_EN: 0
; COMPUTE_PGM_RSRC2:TGID_Z_EN: 0
; COMPUTE_PGM_RSRC2:TIDIG_COMP_CNT: 0
	.section	.text._ZN7rocprim17ROCPRIM_304000_NS6detail25onesweep_iteration_kernelINS1_34wrapped_radix_sort_onesweep_configINS0_14default_configEiN2at4cuda3cub6detail10OpaqueTypeILi8EEEEELb1EPKiPiPKSA_PSA_mNS0_19identity_decomposerEEEvT1_T2_T3_T4_jPT5_SO_PNS1_23onesweep_lookback_stateET6_jjj,"axG",@progbits,_ZN7rocprim17ROCPRIM_304000_NS6detail25onesweep_iteration_kernelINS1_34wrapped_radix_sort_onesweep_configINS0_14default_configEiN2at4cuda3cub6detail10OpaqueTypeILi8EEEEELb1EPKiPiPKSA_PSA_mNS0_19identity_decomposerEEEvT1_T2_T3_T4_jPT5_SO_PNS1_23onesweep_lookback_stateET6_jjj,comdat
	.protected	_ZN7rocprim17ROCPRIM_304000_NS6detail25onesweep_iteration_kernelINS1_34wrapped_radix_sort_onesweep_configINS0_14default_configEiN2at4cuda3cub6detail10OpaqueTypeILi8EEEEELb1EPKiPiPKSA_PSA_mNS0_19identity_decomposerEEEvT1_T2_T3_T4_jPT5_SO_PNS1_23onesweep_lookback_stateET6_jjj ; -- Begin function _ZN7rocprim17ROCPRIM_304000_NS6detail25onesweep_iteration_kernelINS1_34wrapped_radix_sort_onesweep_configINS0_14default_configEiN2at4cuda3cub6detail10OpaqueTypeILi8EEEEELb1EPKiPiPKSA_PSA_mNS0_19identity_decomposerEEEvT1_T2_T3_T4_jPT5_SO_PNS1_23onesweep_lookback_stateET6_jjj
	.globl	_ZN7rocprim17ROCPRIM_304000_NS6detail25onesweep_iteration_kernelINS1_34wrapped_radix_sort_onesweep_configINS0_14default_configEiN2at4cuda3cub6detail10OpaqueTypeILi8EEEEELb1EPKiPiPKSA_PSA_mNS0_19identity_decomposerEEEvT1_T2_T3_T4_jPT5_SO_PNS1_23onesweep_lookback_stateET6_jjj
	.p2align	8
	.type	_ZN7rocprim17ROCPRIM_304000_NS6detail25onesweep_iteration_kernelINS1_34wrapped_radix_sort_onesweep_configINS0_14default_configEiN2at4cuda3cub6detail10OpaqueTypeILi8EEEEELb1EPKiPiPKSA_PSA_mNS0_19identity_decomposerEEEvT1_T2_T3_T4_jPT5_SO_PNS1_23onesweep_lookback_stateET6_jjj,@function
_ZN7rocprim17ROCPRIM_304000_NS6detail25onesweep_iteration_kernelINS1_34wrapped_radix_sort_onesweep_configINS0_14default_configEiN2at4cuda3cub6detail10OpaqueTypeILi8EEEEELb1EPKiPiPKSA_PSA_mNS0_19identity_decomposerEEEvT1_T2_T3_T4_jPT5_SO_PNS1_23onesweep_lookback_stateET6_jjj: ; @_ZN7rocprim17ROCPRIM_304000_NS6detail25onesweep_iteration_kernelINS1_34wrapped_radix_sort_onesweep_configINS0_14default_configEiN2at4cuda3cub6detail10OpaqueTypeILi8EEEEELb1EPKiPiPKSA_PSA_mNS0_19identity_decomposerEEEvT1_T2_T3_T4_jPT5_SO_PNS1_23onesweep_lookback_stateET6_jjj
; %bb.0:
	s_clause 0x3
	s_load_b128 s[28:31], s[0:1], 0x44
	s_load_b256 s[16:23], s[0:1], 0x0
	s_load_b128 s[24:27], s[0:1], 0x28
	s_load_b64 s[12:13], s[0:1], 0x38
	v_and_b32_e32 v5, 0x3ff, v0
	v_mbcnt_lo_u32_b32 v12, -1, 0
	s_waitcnt lgkmcnt(0)
	s_cmp_ge_u32 s15, s30
	s_cbranch_scc0 .LBB86_66
; %bb.1:
	s_load_b32 s8, s[0:1], 0x20
	s_brev_b32 s4, 1
	s_lshl_b32 s9, s30, 12
	s_mov_b32 s5, s4
	s_mov_b32 s6, s4
	;; [unrolled: 1-line block ×3, first 2 shown]
	v_lshlrev_b32_e32 v13, 2, v5
	s_lshl_b32 s30, s15, 12
	s_mov_b32 s31, 0
	v_lshlrev_b32_e32 v1, 2, v12
	s_lshl_b64 s[2:3], s[30:31], 2
	v_and_b32_e32 v10, 0xf80, v13
	s_delay_alu instid0(VALU_DEP_1)
	v_lshlrev_b32_e32 v2, 2, v10
	s_waitcnt lgkmcnt(0)
	s_sub_i32 s34, s8, s9
	s_add_u32 s2, s16, s2
	s_addc_u32 s3, s17, s3
	v_add_co_u32 v1, s2, s2, v1
	s_delay_alu instid0(VALU_DEP_1) | instskip(NEXT) | instid1(VALU_DEP_2)
	v_add_co_ci_u32_e64 v3, null, s3, 0, s2
	v_add_co_u32 v6, s2, v1, v2
	s_delay_alu instid0(VALU_DEP_1)
	v_add_co_ci_u32_e64 v7, s2, 0, v3, s2
	v_mov_b32_e32 v1, s4
	v_mov_b32_e32 v3, s6
	v_or_b32_e32 v8, v12, v10
	v_mov_b32_e32 v2, s5
	v_mov_b32_e32 v4, s7
	s_delay_alu instid0(VALU_DEP_3)
	v_cmp_gt_u32_e32 vcc_lo, s34, v8
	s_and_saveexec_b32 s2, vcc_lo
	s_cbranch_execz .LBB86_3
; %bb.2:
	global_load_b32 v1, v[6:7], off
	v_bfrev_b32_e32 v2, 1
	s_delay_alu instid0(VALU_DEP_1)
	v_mov_b32_e32 v3, v2
	v_mov_b32_e32 v4, v2
.LBB86_3:
	s_or_b32 exec_lo, exec_lo, s2
	v_add_nc_u32_e32 v9, 32, v8
	s_delay_alu instid0(VALU_DEP_1) | instskip(NEXT) | instid1(VALU_DEP_1)
	v_cmp_gt_u32_e64 s2, s34, v9
	s_and_saveexec_b32 s3, s2
	s_cbranch_execz .LBB86_5
; %bb.4:
	global_load_b32 v2, v[6:7], off offset:128
.LBB86_5:
	s_or_b32 exec_lo, exec_lo, s3
	v_add_nc_u32_e32 v9, 64, v8
	s_delay_alu instid0(VALU_DEP_1) | instskip(NEXT) | instid1(VALU_DEP_1)
	v_cmp_gt_u32_e64 s3, s34, v9
	s_and_saveexec_b32 s4, s3
	s_cbranch_execz .LBB86_7
; %bb.6:
	global_load_b32 v3, v[6:7], off offset:256
.LBB86_7:
	s_or_b32 exec_lo, exec_lo, s4
	v_add_nc_u32_e32 v8, 0x60, v8
	s_delay_alu instid0(VALU_DEP_1) | instskip(NEXT) | instid1(VALU_DEP_1)
	v_cmp_gt_u32_e64 s4, s34, v8
	s_and_saveexec_b32 s5, s4
	s_cbranch_execz .LBB86_9
; %bb.8:
	global_load_b32 v4, v[6:7], off offset:384
.LBB86_9:
	s_or_b32 exec_lo, exec_lo, s5
	s_clause 0x1
	s_load_b32 s5, s[0:1], 0x5c
	s_load_b32 s14, s[0:1], 0x50
	s_add_u32 s6, s0, 0x50
	s_addc_u32 s7, s1, 0
	s_waitcnt vmcnt(0)
	v_xor_b32_e32 v11, 0x7fffffff, v1
	s_delay_alu instid0(VALU_DEP_1) | instskip(SKIP_4) | instid1(SALU_CYCLE_1)
	v_lshrrev_b32_e32 v1, s28, v11
	s_waitcnt lgkmcnt(0)
	s_lshr_b32 s8, s5, 16
	s_cmp_lt_u32 s15, s14
	s_cselect_b32 s5, 12, 18
	s_add_u32 s6, s6, s5
	s_addc_u32 s7, s7, 0
	s_lshl_b32 s5, -1, s29
	s_delay_alu instid0(SALU_CYCLE_1) | instskip(NEXT) | instid1(SALU_CYCLE_1)
	s_not_b32 s33, s5
	v_and_b32_e32 v15, s33, v1
	v_mov_b32_e32 v9, 0
	v_bfe_u32 v1, v0, 10, 10
	s_delay_alu instid0(VALU_DEP_3)
	v_lshlrev_b32_e32 v8, 30, v15
	global_load_u16 v6, v9, s[6:7]
	v_and_b32_e32 v7, 1, v15
	v_lshlrev_b32_e32 v14, 29, v15
	v_lshlrev_b32_e32 v16, 28, v15
	v_not_b32_e32 v21, v8
	v_cmp_gt_i32_e64 s6, 0, v8
	v_add_co_u32 v7, s5, v7, -1
	s_delay_alu instid0(VALU_DEP_1)
	v_cndmask_b32_e64 v17, 0, 1, s5
	v_not_b32_e32 v8, v14
	v_ashrrev_i32_e32 v21, 31, v21
	v_lshlrev_b32_e32 v18, 27, v15
	v_lshlrev_b32_e32 v19, 26, v15
	v_cmp_ne_u32_e64 s5, 0, v17
	v_ashrrev_i32_e32 v8, 31, v8
	v_xor_b32_e32 v21, s6, v21
	v_cmp_gt_i32_e64 s6, 0, v16
	v_lshlrev_b32_e32 v20, 25, v15
	v_xor_b32_e32 v7, s5, v7
	v_cmp_gt_i32_e64 s5, 0, v14
	v_not_b32_e32 v14, v16
	v_not_b32_e32 v16, v18
	v_lshlrev_b32_e32 v17, 24, v15
	v_and_b32_e32 v7, exec_lo, v7
	v_xor_b32_e32 v8, s5, v8
	v_ashrrev_i32_e32 v14, 31, v14
	v_cmp_gt_i32_e64 s5, 0, v18
	v_not_b32_e32 v18, v19
	v_and_b32_e32 v7, v7, v21
	v_ashrrev_i32_e32 v16, 31, v16
	v_xor_b32_e32 v14, s6, v14
	v_cmp_gt_i32_e64 s6, 0, v19
	v_ashrrev_i32_e32 v18, 31, v18
	v_and_b32_e32 v7, v7, v8
	v_not_b32_e32 v8, v20
	v_xor_b32_e32 v16, s5, v16
	v_cmp_gt_i32_e64 s5, 0, v20
	v_xor_b32_e32 v18, s6, v18
	v_and_b32_e32 v7, v7, v14
	v_not_b32_e32 v14, v17
	v_ashrrev_i32_e32 v8, 31, v8
	v_cmp_gt_i32_e64 s6, 0, v17
	v_mul_u32_u24_e32 v17, 9, v5
	v_and_b32_e32 v7, v7, v16
	v_bfe_u32 v16, v0, 20, 10
	v_ashrrev_i32_e32 v14, 31, v14
	v_xor_b32_e32 v8, s5, v8
	s_delay_alu instid0(VALU_DEP_4) | instskip(NEXT) | instid1(VALU_DEP_4)
	v_and_b32_e32 v7, v7, v18
	v_mad_u32_u24 v1, v16, s8, v1
	s_delay_alu instid0(VALU_DEP_4)
	v_xor_b32_e32 v14, s6, v14
	v_lshlrev_b32_e32 v16, 2, v17
	ds_store_2addr_b32 v16, v9, v9 offset0:32 offset1:33
	ds_store_2addr_b32 v16, v9, v9 offset0:34 offset1:35
	;; [unrolled: 1-line block ×4, first 2 shown]
	v_and_b32_e32 v18, v7, v8
	ds_store_b32 v16, v9 offset:160
	s_waitcnt vmcnt(0) lgkmcnt(0)
	s_barrier
	buffer_gl0_inv
	; wave barrier
	v_mad_u64_u32 v[7:8], null, v1, v6, v[5:6]
	v_and_b32_e32 v6, v18, v14
	s_delay_alu instid0(VALU_DEP_1) | instskip(NEXT) | instid1(VALU_DEP_3)
	v_mbcnt_lo_u32_b32 v14, v6, 0
	v_lshrrev_b32_e32 v1, 5, v7
	v_lshl_add_u32 v7, v15, 5, v15
	v_cmp_ne_u32_e64 s6, 0, v6
	s_delay_alu instid0(VALU_DEP_4) | instskip(NEXT) | instid1(VALU_DEP_3)
	v_cmp_eq_u32_e64 s5, 0, v14
	v_add_lshl_u32 v17, v1, v7, 2
	s_delay_alu instid0(VALU_DEP_2) | instskip(NEXT) | instid1(SALU_CYCLE_1)
	s_and_b32 s6, s6, s5
	s_and_saveexec_b32 s5, s6
	s_cbranch_execz .LBB86_11
; %bb.10:
	v_bcnt_u32_b32 v6, v6, 0
	ds_store_b32 v17, v6 offset:128
.LBB86_11:
	s_or_b32 exec_lo, exec_lo, s5
	v_xor_b32_e32 v15, 0x7fffffff, v2
	; wave barrier
	s_delay_alu instid0(VALU_DEP_1) | instskip(NEXT) | instid1(VALU_DEP_1)
	v_lshrrev_b32_e32 v2, s28, v15
	v_and_b32_e32 v2, s33, v2
	s_delay_alu instid0(VALU_DEP_1)
	v_and_b32_e32 v6, 1, v2
	v_lshlrev_b32_e32 v7, 30, v2
	v_lshlrev_b32_e32 v8, 29, v2
	v_lshlrev_b32_e32 v9, 28, v2
	v_lshlrev_b32_e32 v19, 27, v2
	v_add_co_u32 v6, s5, v6, -1
	s_delay_alu instid0(VALU_DEP_1)
	v_cndmask_b32_e64 v18, 0, 1, s5
	v_not_b32_e32 v22, v7
	v_cmp_gt_i32_e64 s6, 0, v7
	v_not_b32_e32 v7, v8
	v_lshlrev_b32_e32 v20, 26, v2
	v_cmp_ne_u32_e64 s5, 0, v18
	v_ashrrev_i32_e32 v22, 31, v22
	v_lshlrev_b32_e32 v21, 25, v2
	v_ashrrev_i32_e32 v7, 31, v7
	v_lshlrev_b32_e32 v18, 24, v2
	v_xor_b32_e32 v6, s5, v6
	v_cmp_gt_i32_e64 s5, 0, v8
	v_not_b32_e32 v8, v9
	v_xor_b32_e32 v22, s6, v22
	v_cmp_gt_i32_e64 s6, 0, v9
	v_and_b32_e32 v6, exec_lo, v6
	v_not_b32_e32 v9, v19
	v_ashrrev_i32_e32 v8, 31, v8
	v_xor_b32_e32 v7, s5, v7
	v_cmp_gt_i32_e64 s5, 0, v19
	v_and_b32_e32 v6, v6, v22
	v_not_b32_e32 v19, v20
	v_ashrrev_i32_e32 v9, 31, v9
	v_xor_b32_e32 v8, s6, v8
	v_cmp_gt_i32_e64 s6, 0, v20
	v_and_b32_e32 v6, v6, v7
	;; [unrolled: 5-line block ×3, first 2 shown]
	v_not_b32_e32 v8, v18
	v_ashrrev_i32_e32 v7, 31, v7
	v_xor_b32_e32 v19, s6, v19
	v_lshl_add_u32 v2, v2, 5, v2
	v_and_b32_e32 v6, v6, v9
	v_cmp_gt_i32_e64 s6, 0, v18
	v_ashrrev_i32_e32 v8, 31, v8
	v_xor_b32_e32 v7, s5, v7
	v_add_lshl_u32 v21, v1, v2, 2
	v_and_b32_e32 v6, v6, v19
	s_delay_alu instid0(VALU_DEP_4) | instskip(SKIP_2) | instid1(VALU_DEP_1)
	v_xor_b32_e32 v2, s6, v8
	ds_load_b32 v18, v21 offset:128
	v_and_b32_e32 v6, v6, v7
	; wave barrier
	v_and_b32_e32 v2, v6, v2
	s_delay_alu instid0(VALU_DEP_1) | instskip(SKIP_1) | instid1(VALU_DEP_2)
	v_mbcnt_lo_u32_b32 v19, v2, 0
	v_cmp_ne_u32_e64 s6, 0, v2
	v_cmp_eq_u32_e64 s5, 0, v19
	s_delay_alu instid0(VALU_DEP_1) | instskip(NEXT) | instid1(SALU_CYCLE_1)
	s_and_b32 s6, s6, s5
	s_and_saveexec_b32 s5, s6
	s_cbranch_execz .LBB86_13
; %bb.12:
	s_waitcnt lgkmcnt(0)
	v_bcnt_u32_b32 v2, v2, v18
	ds_store_b32 v21, v2 offset:128
.LBB86_13:
	s_or_b32 exec_lo, exec_lo, s5
	v_xor_b32_e32 v20, 0x7fffffff, v3
	; wave barrier
	s_delay_alu instid0(VALU_DEP_1) | instskip(NEXT) | instid1(VALU_DEP_1)
	v_lshrrev_b32_e32 v2, s28, v20
	v_and_b32_e32 v2, s33, v2
	s_delay_alu instid0(VALU_DEP_1)
	v_and_b32_e32 v3, 1, v2
	v_lshlrev_b32_e32 v6, 30, v2
	v_lshlrev_b32_e32 v7, 29, v2
	;; [unrolled: 1-line block ×4, first 2 shown]
	v_add_co_u32 v3, s5, v3, -1
	s_delay_alu instid0(VALU_DEP_1)
	v_cndmask_b32_e64 v9, 0, 1, s5
	v_not_b32_e32 v25, v6
	v_cmp_gt_i32_e64 s6, 0, v6
	v_not_b32_e32 v6, v7
	v_lshlrev_b32_e32 v23, 26, v2
	v_cmp_ne_u32_e64 s5, 0, v9
	v_ashrrev_i32_e32 v25, 31, v25
	v_lshlrev_b32_e32 v24, 25, v2
	v_ashrrev_i32_e32 v6, 31, v6
	v_lshlrev_b32_e32 v9, 24, v2
	v_xor_b32_e32 v3, s5, v3
	v_cmp_gt_i32_e64 s5, 0, v7
	v_not_b32_e32 v7, v8
	v_xor_b32_e32 v25, s6, v25
	v_cmp_gt_i32_e64 s6, 0, v8
	v_and_b32_e32 v3, exec_lo, v3
	v_not_b32_e32 v8, v22
	v_ashrrev_i32_e32 v7, 31, v7
	v_xor_b32_e32 v6, s5, v6
	v_cmp_gt_i32_e64 s5, 0, v22
	v_and_b32_e32 v3, v3, v25
	v_not_b32_e32 v22, v23
	v_ashrrev_i32_e32 v8, 31, v8
	v_xor_b32_e32 v7, s6, v7
	v_cmp_gt_i32_e64 s6, 0, v23
	v_and_b32_e32 v3, v3, v6
	;; [unrolled: 5-line block ×3, first 2 shown]
	v_not_b32_e32 v7, v9
	v_ashrrev_i32_e32 v6, 31, v6
	v_xor_b32_e32 v22, s6, v22
	v_lshl_add_u32 v2, v2, 5, v2
	v_and_b32_e32 v3, v3, v8
	v_cmp_gt_i32_e64 s6, 0, v9
	v_ashrrev_i32_e32 v7, 31, v7
	v_xor_b32_e32 v6, s5, v6
	v_add_lshl_u32 v25, v1, v2, 2
	v_and_b32_e32 v3, v3, v22
	s_delay_alu instid0(VALU_DEP_4) | instskip(SKIP_2) | instid1(VALU_DEP_1)
	v_xor_b32_e32 v2, s6, v7
	ds_load_b32 v22, v25 offset:128
	v_and_b32_e32 v3, v3, v6
	; wave barrier
	v_and_b32_e32 v2, v3, v2
	s_delay_alu instid0(VALU_DEP_1) | instskip(SKIP_1) | instid1(VALU_DEP_2)
	v_mbcnt_lo_u32_b32 v23, v2, 0
	v_cmp_ne_u32_e64 s6, 0, v2
	v_cmp_eq_u32_e64 s5, 0, v23
	s_delay_alu instid0(VALU_DEP_1) | instskip(NEXT) | instid1(SALU_CYCLE_1)
	s_and_b32 s6, s6, s5
	s_and_saveexec_b32 s5, s6
	s_cbranch_execz .LBB86_15
; %bb.14:
	s_waitcnt lgkmcnt(0)
	v_bcnt_u32_b32 v2, v2, v22
	ds_store_b32 v25, v2 offset:128
.LBB86_15:
	s_or_b32 exec_lo, exec_lo, s5
	v_xor_b32_e32 v24, 0x7fffffff, v4
	; wave barrier
	v_add_nc_u32_e32 v29, 0x80, v16
	s_delay_alu instid0(VALU_DEP_2) | instskip(NEXT) | instid1(VALU_DEP_1)
	v_lshrrev_b32_e32 v2, s28, v24
	v_and_b32_e32 v2, s33, v2
	s_delay_alu instid0(VALU_DEP_1)
	v_and_b32_e32 v3, 1, v2
	v_lshlrev_b32_e32 v4, 30, v2
	v_lshlrev_b32_e32 v6, 29, v2
	;; [unrolled: 1-line block ×4, first 2 shown]
	v_add_co_u32 v3, s5, v3, -1
	s_delay_alu instid0(VALU_DEP_1)
	v_cndmask_b32_e64 v8, 0, 1, s5
	v_not_b32_e32 v28, v4
	v_cmp_gt_i32_e64 s6, 0, v4
	v_not_b32_e32 v4, v6
	v_lshlrev_b32_e32 v26, 26, v2
	v_cmp_ne_u32_e64 s5, 0, v8
	v_ashrrev_i32_e32 v28, 31, v28
	v_lshlrev_b32_e32 v27, 25, v2
	v_ashrrev_i32_e32 v4, 31, v4
	v_lshlrev_b32_e32 v8, 24, v2
	v_xor_b32_e32 v3, s5, v3
	v_cmp_gt_i32_e64 s5, 0, v6
	v_not_b32_e32 v6, v7
	v_xor_b32_e32 v28, s6, v28
	v_cmp_gt_i32_e64 s6, 0, v7
	v_and_b32_e32 v3, exec_lo, v3
	v_not_b32_e32 v7, v9
	v_ashrrev_i32_e32 v6, 31, v6
	v_xor_b32_e32 v4, s5, v4
	v_cmp_gt_i32_e64 s5, 0, v9
	v_and_b32_e32 v3, v3, v28
	v_not_b32_e32 v9, v26
	v_ashrrev_i32_e32 v7, 31, v7
	v_xor_b32_e32 v6, s6, v6
	v_cmp_gt_i32_e64 s6, 0, v26
	v_and_b32_e32 v3, v3, v4
	;; [unrolled: 5-line block ×3, first 2 shown]
	v_not_b32_e32 v6, v8
	v_ashrrev_i32_e32 v4, 31, v4
	v_xor_b32_e32 v9, s6, v9
	v_lshl_add_u32 v2, v2, 5, v2
	v_and_b32_e32 v3, v3, v7
	v_cmp_gt_i32_e64 s6, 0, v8
	v_ashrrev_i32_e32 v6, 31, v6
	v_xor_b32_e32 v4, s5, v4
	v_add_lshl_u32 v28, v1, v2, 2
	v_and_b32_e32 v3, v3, v9
	s_delay_alu instid0(VALU_DEP_4) | instskip(SKIP_2) | instid1(VALU_DEP_1)
	v_xor_b32_e32 v1, s6, v6
	ds_load_b32 v26, v28 offset:128
	v_and_b32_e32 v2, v3, v4
	; wave barrier
	v_and_b32_e32 v1, v2, v1
	s_delay_alu instid0(VALU_DEP_1) | instskip(SKIP_1) | instid1(VALU_DEP_2)
	v_mbcnt_lo_u32_b32 v27, v1, 0
	v_cmp_ne_u32_e64 s6, 0, v1
	v_cmp_eq_u32_e64 s5, 0, v27
	s_delay_alu instid0(VALU_DEP_1) | instskip(NEXT) | instid1(SALU_CYCLE_1)
	s_and_b32 s6, s6, s5
	s_and_saveexec_b32 s5, s6
	s_cbranch_execz .LBB86_17
; %bb.16:
	s_waitcnt lgkmcnt(0)
	v_bcnt_u32_b32 v1, v1, v26
	ds_store_b32 v28, v1 offset:128
.LBB86_17:
	s_or_b32 exec_lo, exec_lo, s5
	; wave barrier
	s_waitcnt lgkmcnt(0)
	s_barrier
	buffer_gl0_inv
	ds_load_2addr_b32 v[8:9], v16 offset0:32 offset1:33
	ds_load_2addr_b32 v[6:7], v29 offset0:2 offset1:3
	;; [unrolled: 1-line block ×4, first 2 shown]
	ds_load_b32 v30, v29 offset:32
	v_and_b32_e32 v33, 16, v12
	v_and_b32_e32 v34, 31, v5
	s_mov_b32 s11, exec_lo
	s_delay_alu instid0(VALU_DEP_2) | instskip(SKIP_3) | instid1(VALU_DEP_1)
	v_cmp_eq_u32_e64 s9, 0, v33
	s_waitcnt lgkmcnt(3)
	v_add3_u32 v31, v9, v8, v6
	s_waitcnt lgkmcnt(2)
	v_add3_u32 v31, v31, v7, v3
	s_waitcnt lgkmcnt(1)
	s_delay_alu instid0(VALU_DEP_1) | instskip(SKIP_1) | instid1(VALU_DEP_1)
	v_add3_u32 v31, v31, v4, v1
	s_waitcnt lgkmcnt(0)
	v_add3_u32 v30, v31, v2, v30
	v_and_b32_e32 v31, 15, v12
	s_delay_alu instid0(VALU_DEP_2) | instskip(NEXT) | instid1(VALU_DEP_2)
	v_mov_b32_dpp v32, v30 row_shr:1 row_mask:0xf bank_mask:0xf
	v_cmp_eq_u32_e64 s5, 0, v31
	v_cmp_lt_u32_e64 s6, 1, v31
	v_cmp_lt_u32_e64 s7, 3, v31
	;; [unrolled: 1-line block ×3, first 2 shown]
	s_delay_alu instid0(VALU_DEP_4) | instskip(NEXT) | instid1(VALU_DEP_1)
	v_cndmask_b32_e64 v32, v32, 0, s5
	v_add_nc_u32_e32 v30, v32, v30
	s_delay_alu instid0(VALU_DEP_1) | instskip(NEXT) | instid1(VALU_DEP_1)
	v_mov_b32_dpp v32, v30 row_shr:2 row_mask:0xf bank_mask:0xf
	v_cndmask_b32_e64 v32, 0, v32, s6
	s_delay_alu instid0(VALU_DEP_1) | instskip(NEXT) | instid1(VALU_DEP_1)
	v_add_nc_u32_e32 v30, v30, v32
	v_mov_b32_dpp v32, v30 row_shr:4 row_mask:0xf bank_mask:0xf
	s_delay_alu instid0(VALU_DEP_1) | instskip(NEXT) | instid1(VALU_DEP_1)
	v_cndmask_b32_e64 v32, 0, v32, s7
	v_add_nc_u32_e32 v30, v30, v32
	s_delay_alu instid0(VALU_DEP_1) | instskip(NEXT) | instid1(VALU_DEP_1)
	v_mov_b32_dpp v32, v30 row_shr:8 row_mask:0xf bank_mask:0xf
	v_cndmask_b32_e64 v31, 0, v32, s8
	v_bfe_i32 v32, v12, 4, 1
	s_delay_alu instid0(VALU_DEP_2) | instskip(SKIP_4) | instid1(VALU_DEP_2)
	v_add_nc_u32_e32 v30, v30, v31
	ds_swizzle_b32 v31, v30 offset:swizzle(BROADCAST,32,15)
	s_waitcnt lgkmcnt(0)
	v_and_b32_e32 v32, v32, v31
	v_lshrrev_b32_e32 v31, 5, v5
	v_add_nc_u32_e32 v30, v30, v32
	v_cmpx_eq_u32_e32 31, v34
	s_cbranch_execz .LBB86_19
; %bb.18:
	s_delay_alu instid0(VALU_DEP_3)
	v_lshlrev_b32_e32 v32, 2, v31
	ds_store_b32 v32, v30
.LBB86_19:
	s_or_b32 exec_lo, exec_lo, s11
	v_cmp_lt_u32_e64 s10, 31, v5
	s_mov_b32 s35, exec_lo
	s_waitcnt lgkmcnt(0)
	s_barrier
	buffer_gl0_inv
	v_cmpx_gt_u32_e32 32, v5
	s_cbranch_execz .LBB86_21
; %bb.20:
	ds_load_b32 v32, v13
	s_waitcnt lgkmcnt(0)
	v_mov_b32_dpp v33, v32 row_shr:1 row_mask:0xf bank_mask:0xf
	s_delay_alu instid0(VALU_DEP_1) | instskip(NEXT) | instid1(VALU_DEP_1)
	v_cndmask_b32_e64 v33, v33, 0, s5
	v_add_nc_u32_e32 v32, v33, v32
	s_delay_alu instid0(VALU_DEP_1) | instskip(NEXT) | instid1(VALU_DEP_1)
	v_mov_b32_dpp v33, v32 row_shr:2 row_mask:0xf bank_mask:0xf
	v_cndmask_b32_e64 v33, 0, v33, s6
	s_delay_alu instid0(VALU_DEP_1) | instskip(NEXT) | instid1(VALU_DEP_1)
	v_add_nc_u32_e32 v32, v32, v33
	v_mov_b32_dpp v33, v32 row_shr:4 row_mask:0xf bank_mask:0xf
	s_delay_alu instid0(VALU_DEP_1) | instskip(NEXT) | instid1(VALU_DEP_1)
	v_cndmask_b32_e64 v33, 0, v33, s7
	v_add_nc_u32_e32 v32, v32, v33
	s_delay_alu instid0(VALU_DEP_1) | instskip(NEXT) | instid1(VALU_DEP_1)
	v_mov_b32_dpp v33, v32 row_shr:8 row_mask:0xf bank_mask:0xf
	v_cndmask_b32_e64 v33, 0, v33, s8
	s_delay_alu instid0(VALU_DEP_1) | instskip(SKIP_3) | instid1(VALU_DEP_1)
	v_add_nc_u32_e32 v32, v32, v33
	ds_swizzle_b32 v33, v32 offset:swizzle(BROADCAST,32,15)
	s_waitcnt lgkmcnt(0)
	v_cndmask_b32_e64 v33, v33, 0, s9
	v_add_nc_u32_e32 v32, v32, v33
	ds_store_b32 v13, v32
.LBB86_21:
	s_or_b32 exec_lo, exec_lo, s35
	v_mov_b32_e32 v32, 0
	s_waitcnt lgkmcnt(0)
	s_barrier
	buffer_gl0_inv
	s_and_saveexec_b32 s5, s10
	s_cbranch_execz .LBB86_23
; %bb.22:
	v_lshl_add_u32 v31, v31, 2, -4
	ds_load_b32 v32, v31
.LBB86_23:
	s_or_b32 exec_lo, exec_lo, s5
	v_add_nc_u32_e32 v31, -1, v12
	s_waitcnt lgkmcnt(0)
	v_add_nc_u32_e32 v30, v32, v30
	s_delay_alu instid0(VALU_DEP_2) | instskip(NEXT) | instid1(VALU_DEP_1)
	v_cmp_gt_i32_e64 s5, 0, v31
	v_cndmask_b32_e64 v31, v31, v12, s5
	v_cmp_eq_u32_e64 s5, 0, v12
	s_delay_alu instid0(VALU_DEP_2) | instskip(SKIP_4) | instid1(VALU_DEP_1)
	v_lshlrev_b32_e32 v31, 2, v31
	ds_bpermute_b32 v30, v31, v30
	s_waitcnt lgkmcnt(0)
	v_cndmask_b32_e64 v30, v30, v32, s5
	v_cmp_ne_u32_e64 s5, 0, v5
	v_cndmask_b32_e64 v30, 0, v30, s5
	v_cmp_gt_u32_e64 s5, 0x100, v5
	s_delay_alu instid0(VALU_DEP_2) | instskip(NEXT) | instid1(VALU_DEP_1)
	v_add_nc_u32_e32 v8, v30, v8
	v_add_nc_u32_e32 v9, v8, v9
	s_delay_alu instid0(VALU_DEP_1) | instskip(NEXT) | instid1(VALU_DEP_1)
	v_add_nc_u32_e32 v6, v9, v6
	v_add_nc_u32_e32 v7, v6, v7
	s_delay_alu instid0(VALU_DEP_1) | instskip(NEXT) | instid1(VALU_DEP_1)
	;; [unrolled: 3-line block ×3, first 2 shown]
	v_add_nc_u32_e32 v1, v4, v1
	v_add_nc_u32_e32 v2, v1, v2
	ds_store_2addr_b32 v16, v30, v8 offset0:32 offset1:33
	ds_store_2addr_b32 v29, v9, v6 offset0:2 offset1:3
	;; [unrolled: 1-line block ×4, first 2 shown]
	ds_store_b32 v29, v2 offset:32
	s_waitcnt lgkmcnt(0)
	s_barrier
	buffer_gl0_inv
	ds_load_b32 v1, v17 offset:128
	ds_load_b32 v2, v21 offset:128
	;; [unrolled: 1-line block ×4, first 2 shown]
                                        ; implicit-def: $vgpr16
                                        ; implicit-def: $vgpr17
	s_and_saveexec_b32 s7, s5
	s_cbranch_execz .LBB86_27
; %bb.24:
	v_mul_u32_u24_e32 v6, 33, v5
	s_mov_b32 s8, exec_lo
	s_delay_alu instid0(VALU_DEP_1)
	v_dual_mov_b32 v6, 0x1000 :: v_dual_lshlrev_b32 v7, 2, v6
	ds_load_b32 v16, v7 offset:128
	v_cmpx_ne_u32_e32 0xff, v5
	s_cbranch_execz .LBB86_26
; %bb.25:
	ds_load_b32 v6, v7 offset:260
.LBB86_26:
	s_or_b32 exec_lo, exec_lo, s8
	s_waitcnt lgkmcnt(0)
	v_sub_nc_u32_e32 v17, v6, v16
.LBB86_27:
	s_or_b32 exec_lo, exec_lo, s7
	s_waitcnt lgkmcnt(3)
	v_add_nc_u32_e32 v21, v1, v14
	s_waitcnt lgkmcnt(2)
	v_add3_u32 v19, v19, v18, v2
	s_waitcnt lgkmcnt(1)
	v_add3_u32 v18, v23, v22, v3
	;; [unrolled: 2-line block ×3, first 2 shown]
	v_lshlrev_b32_e32 v1, 2, v21
	v_lshlrev_b32_e32 v2, 2, v19
	;; [unrolled: 1-line block ×3, first 2 shown]
	s_delay_alu instid0(VALU_DEP_4)
	v_lshlrev_b32_e32 v4, 2, v14
	s_barrier
	buffer_gl0_inv
	ds_store_b32 v1, v11 offset:2048
	ds_store_b32 v2, v15 offset:2048
	;; [unrolled: 1-line block ×4, first 2 shown]
	s_waitcnt lgkmcnt(0)
	s_barrier
	buffer_gl0_inv
	s_and_saveexec_b32 s7, s5
	s_cbranch_execz .LBB86_37
; %bb.28:
	v_lshl_or_b32 v3, s15, 8, v5
	v_mov_b32_e32 v4, 0
	v_mov_b32_e32 v8, 0
	s_mov_b32 s8, 0
	s_mov_b32 s9, s15
	s_delay_alu instid0(VALU_DEP_2) | instskip(SKIP_1) | instid1(VALU_DEP_2)
	v_lshlrev_b64 v[1:2], 2, v[3:4]
	v_or_b32_e32 v3, 2.0, v17
	v_add_co_u32 v1, s6, s12, v1
	s_delay_alu instid0(VALU_DEP_1)
	v_add_co_ci_u32_e64 v2, s6, s13, v2, s6
                                        ; implicit-def: $sgpr6
	global_store_b32 v[1:2], v3, off
	s_branch .LBB86_30
	.p2align	6
.LBB86_29:                              ;   in Loop: Header=BB86_30 Depth=1
	s_or_b32 exec_lo, exec_lo, s10
	v_and_b32_e32 v6, 0x3fffffff, v9
	v_cmp_eq_u32_e64 s6, 0x80000000, v3
	s_delay_alu instid0(VALU_DEP_2) | instskip(NEXT) | instid1(VALU_DEP_2)
	v_add_nc_u32_e32 v8, v6, v8
	s_and_b32 s10, exec_lo, s6
	s_delay_alu instid0(SALU_CYCLE_1) | instskip(NEXT) | instid1(SALU_CYCLE_1)
	s_or_b32 s8, s10, s8
	s_and_not1_b32 exec_lo, exec_lo, s8
	s_cbranch_execz .LBB86_36
.LBB86_30:                              ; =>This Loop Header: Depth=1
                                        ;     Child Loop BB86_33 Depth 2
	s_or_b32 s6, s6, exec_lo
	s_cmp_eq_u32 s9, 0
	s_cbranch_scc1 .LBB86_35
; %bb.31:                               ;   in Loop: Header=BB86_30 Depth=1
	s_add_i32 s9, s9, -1
	s_mov_b32 s10, exec_lo
	v_lshl_or_b32 v3, s9, 8, v5
	s_delay_alu instid0(VALU_DEP_1) | instskip(NEXT) | instid1(VALU_DEP_1)
	v_lshlrev_b64 v[6:7], 2, v[3:4]
	v_add_co_u32 v6, s6, s12, v6
	s_delay_alu instid0(VALU_DEP_1) | instskip(SKIP_3) | instid1(VALU_DEP_1)
	v_add_co_ci_u32_e64 v7, s6, s13, v7, s6
	global_load_b32 v9, v[6:7], off glc
	s_waitcnt vmcnt(0)
	v_and_b32_e32 v3, -2.0, v9
	v_cmpx_eq_u32_e32 0, v3
	s_cbranch_execz .LBB86_29
; %bb.32:                               ;   in Loop: Header=BB86_30 Depth=1
	s_mov_b32 s11, 0
.LBB86_33:                              ;   Parent Loop BB86_30 Depth=1
                                        ; =>  This Inner Loop Header: Depth=2
	global_load_b32 v9, v[6:7], off glc
	s_waitcnt vmcnt(0)
	v_and_b32_e32 v3, -2.0, v9
	s_delay_alu instid0(VALU_DEP_1) | instskip(NEXT) | instid1(VALU_DEP_1)
	v_cmp_ne_u32_e64 s6, 0, v3
	s_or_b32 s11, s6, s11
	s_delay_alu instid0(SALU_CYCLE_1)
	s_and_not1_b32 exec_lo, exec_lo, s11
	s_cbranch_execnz .LBB86_33
; %bb.34:                               ;   in Loop: Header=BB86_30 Depth=1
	s_or_b32 exec_lo, exec_lo, s11
	s_branch .LBB86_29
.LBB86_35:                              ;   in Loop: Header=BB86_30 Depth=1
                                        ; implicit-def: $sgpr9
	s_and_b32 s10, exec_lo, s6
	s_delay_alu instid0(SALU_CYCLE_1) | instskip(NEXT) | instid1(SALU_CYCLE_1)
	s_or_b32 s8, s10, s8
	s_and_not1_b32 exec_lo, exec_lo, s8
	s_cbranch_execnz .LBB86_30
.LBB86_36:
	s_or_b32 exec_lo, exec_lo, s8
	v_add_nc_u32_e32 v3, v8, v17
	v_lshlrev_b32_e32 v4, 3, v5
	s_delay_alu instid0(VALU_DEP_2) | instskip(SKIP_3) | instid1(VALU_DEP_1)
	v_or_b32_e32 v3, 0x80000000, v3
	global_store_b32 v[1:2], v3, off
	global_load_b64 v[1:2], v4, s[24:25]
	v_sub_co_u32 v3, s6, v8, v16
	v_sub_co_ci_u32_e64 v6, null, 0, 0, s6
	s_waitcnt vmcnt(0)
	s_delay_alu instid0(VALU_DEP_2) | instskip(NEXT) | instid1(VALU_DEP_1)
	v_add_co_u32 v1, s6, v3, v1
	v_add_co_ci_u32_e64 v2, s6, v6, v2, s6
	ds_store_b64 v4, v[1:2]
.LBB86_37:
	s_or_b32 exec_lo, exec_lo, s7
	v_cmp_gt_u32_e64 s6, s34, v5
	s_waitcnt lgkmcnt(0)
	s_waitcnt_vscnt null, 0x0
	s_barrier
	buffer_gl0_inv
	s_and_saveexec_b32 s8, s6
	s_cbranch_execz .LBB86_39
; %bb.38:
	ds_load_b32 v3, v13 offset:2048
	s_waitcnt lgkmcnt(0)
	v_lshrrev_b32_e32 v1, s28, v3
	v_xor_b32_e32 v3, 0x7fffffff, v3
	s_delay_alu instid0(VALU_DEP_2) | instskip(NEXT) | instid1(VALU_DEP_1)
	v_and_b32_e32 v1, s33, v1
	v_lshlrev_b32_e32 v1, 3, v1
	ds_load_b64 v[1:2], v1
	s_waitcnt lgkmcnt(0)
	v_lshlrev_b64 v[1:2], 2, v[1:2]
	s_delay_alu instid0(VALU_DEP_1) | instskip(NEXT) | instid1(VALU_DEP_1)
	v_add_co_u32 v1, s7, s18, v1
	v_add_co_ci_u32_e64 v2, s7, s19, v2, s7
	s_delay_alu instid0(VALU_DEP_2) | instskip(NEXT) | instid1(VALU_DEP_1)
	v_add_co_u32 v1, s7, v1, v13
	v_add_co_ci_u32_e64 v2, s7, 0, v2, s7
	global_store_b32 v[1:2], v3, off
.LBB86_39:
	s_or_b32 exec_lo, exec_lo, s8
	v_or_b32_e32 v15, 0x400, v5
	s_delay_alu instid0(VALU_DEP_1) | instskip(NEXT) | instid1(VALU_DEP_1)
	v_cmp_gt_u32_e64 s7, s34, v15
	s_and_saveexec_b32 s9, s7
	s_cbranch_execz .LBB86_41
; %bb.40:
	ds_load_b32 v3, v13 offset:6144
	v_lshlrev_b32_e32 v4, 2, v15
	s_waitcnt lgkmcnt(0)
	v_lshrrev_b32_e32 v1, s28, v3
	v_xor_b32_e32 v3, 0x7fffffff, v3
	s_delay_alu instid0(VALU_DEP_2) | instskip(NEXT) | instid1(VALU_DEP_1)
	v_and_b32_e32 v1, s33, v1
	v_lshlrev_b32_e32 v1, 3, v1
	ds_load_b64 v[1:2], v1
	s_waitcnt lgkmcnt(0)
	v_lshlrev_b64 v[1:2], 2, v[1:2]
	s_delay_alu instid0(VALU_DEP_1) | instskip(NEXT) | instid1(VALU_DEP_1)
	v_add_co_u32 v1, s8, s18, v1
	v_add_co_ci_u32_e64 v2, s8, s19, v2, s8
	s_delay_alu instid0(VALU_DEP_2) | instskip(NEXT) | instid1(VALU_DEP_1)
	v_add_co_u32 v1, s8, v1, v4
	v_add_co_ci_u32_e64 v2, s8, 0, v2, s8
	global_store_b32 v[1:2], v3, off
.LBB86_41:
	s_or_b32 exec_lo, exec_lo, s9
	v_or_b32_e32 v20, 0x800, v5
	s_delay_alu instid0(VALU_DEP_1) | instskip(NEXT) | instid1(VALU_DEP_1)
	v_cmp_gt_u32_e64 s8, s34, v20
	s_and_saveexec_b32 s10, s8
	s_cbranch_execz .LBB86_43
; %bb.42:
	ds_load_b32 v3, v13 offset:10240
	v_lshlrev_b32_e32 v4, 2, v20
	s_waitcnt lgkmcnt(0)
	v_lshrrev_b32_e32 v1, s28, v3
	v_xor_b32_e32 v3, 0x7fffffff, v3
	s_delay_alu instid0(VALU_DEP_2) | instskip(NEXT) | instid1(VALU_DEP_1)
	v_and_b32_e32 v1, s33, v1
	v_lshlrev_b32_e32 v1, 3, v1
	ds_load_b64 v[1:2], v1
	s_waitcnt lgkmcnt(0)
	v_lshlrev_b64 v[1:2], 2, v[1:2]
	s_delay_alu instid0(VALU_DEP_1) | instskip(NEXT) | instid1(VALU_DEP_1)
	v_add_co_u32 v1, s9, s18, v1
	v_add_co_ci_u32_e64 v2, s9, s19, v2, s9
	s_delay_alu instid0(VALU_DEP_2) | instskip(NEXT) | instid1(VALU_DEP_1)
	v_add_co_u32 v1, s9, v1, v4
	v_add_co_ci_u32_e64 v2, s9, 0, v2, s9
	global_store_b32 v[1:2], v3, off
.LBB86_43:
	;; [unrolled: 26-line block ×3, first 2 shown]
	s_or_b32 exec_lo, exec_lo, s11
	v_lshlrev_b32_e32 v1, 3, v12
	s_lshl_b64 s[10:11], s[30:31], 3
	v_lshlrev_b32_e32 v2, 3, v10
	s_add_u32 s10, s20, s10
	s_addc_u32 s11, s21, s11
	v_add_co_u32 v1, s10, s10, v1
	s_delay_alu instid0(VALU_DEP_1) | instskip(NEXT) | instid1(VALU_DEP_2)
	v_add_co_ci_u32_e64 v3, null, s11, 0, s10
	v_add_co_u32 v10, s10, v1, v2
	s_delay_alu instid0(VALU_DEP_1) | instskip(SKIP_1) | instid1(SALU_CYCLE_1)
	v_add_co_ci_u32_e64 v11, s10, 0, v3, s10
                                        ; implicit-def: $vgpr1_vgpr2
	s_and_saveexec_b32 s10, vcc_lo
	s_xor_b32 s10, exec_lo, s10
	s_cbranch_execnz .LBB86_103
; %bb.46:
	s_or_b32 exec_lo, exec_lo, s10
                                        ; implicit-def: $vgpr3_vgpr4
	s_and_saveexec_b32 s10, s2
	s_cbranch_execnz .LBB86_104
.LBB86_47:
	s_or_b32 exec_lo, exec_lo, s10
                                        ; implicit-def: $vgpr6_vgpr7
	s_and_saveexec_b32 s2, s3
	s_cbranch_execnz .LBB86_105
.LBB86_48:
	s_or_b32 exec_lo, exec_lo, s2
                                        ; implicit-def: $vgpr8_vgpr9
	s_and_saveexec_b32 s2, s4
	s_cbranch_execz .LBB86_50
.LBB86_49:
	global_load_b64 v[8:9], v[10:11], off offset:768
.LBB86_50:
	s_or_b32 exec_lo, exec_lo, s2
	v_dual_mov_b32 v11, 0 :: v_dual_mov_b32 v24, 0
	s_and_saveexec_b32 s2, s6
	s_cbranch_execz .LBB86_52
; %bb.51:
	ds_load_b32 v10, v13 offset:2048
	s_waitcnt lgkmcnt(0)
	v_lshrrev_b32_e32 v10, s28, v10
	s_delay_alu instid0(VALU_DEP_1)
	v_and_b32_e32 v24, s33, v10
.LBB86_52:
	s_or_b32 exec_lo, exec_lo, s2
	s_and_saveexec_b32 s2, s7
	s_cbranch_execz .LBB86_54
; %bb.53:
	ds_load_b32 v10, v13 offset:6144
	s_waitcnt lgkmcnt(0)
	v_lshrrev_b32_e32 v10, s28, v10
	s_delay_alu instid0(VALU_DEP_1)
	v_and_b32_e32 v11, s33, v10
.LBB86_54:
	s_or_b32 exec_lo, exec_lo, s2
	v_dual_mov_b32 v10, 0 :: v_dual_mov_b32 v23, 0
	s_and_saveexec_b32 s2, s8
	s_cbranch_execz .LBB86_56
; %bb.55:
	ds_load_b32 v23, v13 offset:10240
	s_waitcnt lgkmcnt(0)
	v_lshrrev_b32_e32 v23, s28, v23
	s_delay_alu instid0(VALU_DEP_1)
	v_and_b32_e32 v23, s33, v23
.LBB86_56:
	s_or_b32 exec_lo, exec_lo, s2
	s_and_saveexec_b32 s2, s9
	s_cbranch_execz .LBB86_58
; %bb.57:
	ds_load_b32 v10, v13 offset:14336
	s_waitcnt lgkmcnt(0)
	v_lshrrev_b32_e32 v10, s28, v10
	s_delay_alu instid0(VALU_DEP_1)
	v_and_b32_e32 v10, s33, v10
.LBB86_58:
	s_or_b32 exec_lo, exec_lo, s2
	v_lshlrev_b32_e32 v13, 3, v21
	v_lshlrev_b32_e32 v19, 3, v19
	;; [unrolled: 1-line block ×3, first 2 shown]
	s_waitcnt vmcnt(0)
	s_waitcnt_vscnt null, 0x0
	s_barrier
	buffer_gl0_inv
	v_lshlrev_b32_e32 v14, 3, v14
	ds_store_b64 v13, v[1:2] offset:2048
	ds_store_b64 v19, v[3:4] offset:2048
	;; [unrolled: 1-line block ×3, first 2 shown]
	v_lshlrev_b32_e32 v1, 3, v5
	ds_store_b64 v14, v[8:9] offset:2048
	s_waitcnt lgkmcnt(0)
	s_barrier
	buffer_gl0_inv
	s_and_saveexec_b32 s2, s6
	s_cbranch_execnz .LBB86_106
; %bb.59:
	s_or_b32 exec_lo, exec_lo, s2
	s_and_saveexec_b32 s2, s7
	s_cbranch_execnz .LBB86_107
.LBB86_60:
	s_or_b32 exec_lo, exec_lo, s2
	s_and_saveexec_b32 s2, s8
	s_cbranch_execnz .LBB86_108
.LBB86_61:
	s_or_b32 exec_lo, exec_lo, s2
	s_and_saveexec_b32 s2, s9
	s_cbranch_execz .LBB86_63
.LBB86_62:
	v_lshlrev_b32_e32 v2, 3, v10
	ds_load_b64 v[2:3], v2
	ds_load_b64 v[6:7], v1 offset:26624
	s_waitcnt lgkmcnt(1)
	v_lshlrev_b64 v[1:2], 3, v[2:3]
	v_lshlrev_b32_e32 v3, 3, v22
	s_delay_alu instid0(VALU_DEP_2) | instskip(NEXT) | instid1(VALU_DEP_3)
	v_add_co_u32 v1, vcc_lo, s22, v1
	v_add_co_ci_u32_e32 v2, vcc_lo, s23, v2, vcc_lo
	s_delay_alu instid0(VALU_DEP_2) | instskip(NEXT) | instid1(VALU_DEP_2)
	v_add_co_u32 v1, vcc_lo, v1, v3
	v_add_co_ci_u32_e32 v2, vcc_lo, 0, v2, vcc_lo
	s_waitcnt lgkmcnt(0)
	global_store_b64 v[1:2], v[6:7], off
.LBB86_63:
	s_or_b32 exec_lo, exec_lo, s2
	s_add_i32 s14, s14, -1
	s_mov_b32 s2, 0
	s_cmp_eq_u32 s15, s14
	s_mov_b32 s8, 0
	s_cselect_b32 s3, -1, 0
                                        ; implicit-def: $vgpr2_vgpr3
	s_delay_alu instid0(SALU_CYCLE_1) | instskip(NEXT) | instid1(SALU_CYCLE_1)
	s_and_b32 s3, s5, s3
	s_and_saveexec_b32 s4, s3
	s_delay_alu instid0(SALU_CYCLE_1)
	s_xor_b32 s3, exec_lo, s4
; %bb.64:
	v_add_co_u32 v2, s4, v16, v17
	v_mov_b32_e32 v6, 0
	v_add_co_ci_u32_e64 v3, null, 0, 0, s4
	s_mov_b32 s8, exec_lo
; %bb.65:
	s_or_b32 exec_lo, exec_lo, s3
	s_delay_alu instid0(SALU_CYCLE_1)
	s_and_b32 vcc_lo, exec_lo, s2
	s_cbranch_vccnz .LBB86_67
	s_branch .LBB86_100
.LBB86_66:
	s_mov_b32 s8, 0
                                        ; implicit-def: $vgpr2_vgpr3
	s_cbranch_execz .LBB86_100
.LBB86_67:
	v_dual_mov_b32 v9, 0 :: v_dual_lshlrev_b32 v4, 2, v5
	s_lshl_b32 s6, s15, 12
	s_mov_b32 s7, 0
	v_lshlrev_b32_e32 v1, 2, v12
	s_delay_alu instid0(VALU_DEP_2) | instskip(SKIP_1) | instid1(SALU_CYCLE_1)
	v_and_b32_e32 v10, 0xf80, v4
	s_lshl_b64 s[2:3], s[6:7], 2
	s_add_u32 s2, s16, s2
	s_addc_u32 s3, s17, s3
	s_delay_alu instid0(VALU_DEP_1) | instskip(SKIP_1) | instid1(VALU_DEP_1)
	v_lshlrev_b32_e32 v2, 2, v10
	v_add_co_u32 v1, s2, s2, v1
	v_add_co_ci_u32_e64 v3, null, s3, 0, s2
	s_delay_alu instid0(VALU_DEP_2) | instskip(NEXT) | instid1(VALU_DEP_2)
	v_add_co_u32 v6, vcc_lo, v1, v2
	v_add_co_ci_u32_e32 v7, vcc_lo, 0, v3, vcc_lo
	global_load_b32 v8, v[6:7], off
	s_clause 0x1
	s_load_b32 s2, s[0:1], 0x5c
	s_load_b32 s9, s[0:1], 0x50
	s_add_u32 s0, s0, 0x50
	s_addc_u32 s1, s1, 0
	s_waitcnt lgkmcnt(0)
	s_lshr_b32 s2, s2, 16
	s_cmp_lt_u32 s15, s9
	s_cselect_b32 s3, 12, 18
	s_delay_alu instid0(SALU_CYCLE_1)
	s_add_u32 s0, s0, s3
	s_addc_u32 s1, s1, 0
	global_load_u16 v13, v9, s[0:1]
	s_clause 0x2
	global_load_b32 v3, v[6:7], off offset:128
	global_load_b32 v2, v[6:7], off offset:256
	;; [unrolled: 1-line block ×3, first 2 shown]
	s_lshl_b32 s0, -1, s29
	s_delay_alu instid0(SALU_CYCLE_1) | instskip(SKIP_2) | instid1(VALU_DEP_1)
	s_not_b32 s10, s0
	s_waitcnt vmcnt(4)
	v_xor_b32_e32 v11, 0x7fffffff, v8
	v_lshrrev_b32_e32 v6, s28, v11
	s_delay_alu instid0(VALU_DEP_1) | instskip(SKIP_2) | instid1(VALU_DEP_3)
	v_and_b32_e32 v14, s10, v6
	v_bfe_u32 v6, v0, 10, 10
	v_bfe_u32 v0, v0, 20, 10
	v_and_b32_e32 v7, 1, v14
	v_lshlrev_b32_e32 v8, 30, v14
	v_lshlrev_b32_e32 v15, 29, v14
	;; [unrolled: 1-line block ×4, first 2 shown]
	v_add_co_u32 v7, s0, v7, -1
	s_delay_alu instid0(VALU_DEP_1)
	v_cndmask_b32_e64 v17, 0, 1, s0
	v_not_b32_e32 v21, v8
	v_cmp_gt_i32_e64 s0, 0, v8
	v_not_b32_e32 v8, v15
	v_lshlrev_b32_e32 v19, 26, v14
	v_cmp_ne_u32_e32 vcc_lo, 0, v17
	v_ashrrev_i32_e32 v21, 31, v21
	v_lshlrev_b32_e32 v20, 25, v14
	v_ashrrev_i32_e32 v8, 31, v8
	v_lshlrev_b32_e32 v17, 24, v14
	v_xor_b32_e32 v7, vcc_lo, v7
	v_cmp_gt_i32_e32 vcc_lo, 0, v15
	v_not_b32_e32 v15, v16
	v_xor_b32_e32 v21, s0, v21
	v_cmp_gt_i32_e64 s0, 0, v16
	v_and_b32_e32 v7, exec_lo, v7
	v_not_b32_e32 v16, v18
	v_ashrrev_i32_e32 v15, 31, v15
	v_xor_b32_e32 v8, vcc_lo, v8
	v_cmp_gt_i32_e32 vcc_lo, 0, v18
	v_and_b32_e32 v7, v7, v21
	v_not_b32_e32 v18, v19
	v_ashrrev_i32_e32 v16, 31, v16
	v_xor_b32_e32 v15, s0, v15
	v_cmp_gt_i32_e64 s0, 0, v19
	v_and_b32_e32 v7, v7, v8
	v_not_b32_e32 v8, v20
	v_ashrrev_i32_e32 v18, 31, v18
	v_xor_b32_e32 v16, vcc_lo, v16
	v_cmp_gt_i32_e32 vcc_lo, 0, v20
	v_and_b32_e32 v7, v7, v15
	v_not_b32_e32 v15, v17
	v_ashrrev_i32_e32 v8, 31, v8
	v_xor_b32_e32 v18, s0, v18
	v_cmp_gt_i32_e64 s0, 0, v17
	v_and_b32_e32 v7, v7, v16
	v_ashrrev_i32_e32 v15, 31, v15
	v_xor_b32_e32 v8, vcc_lo, v8
	v_mad_u32_u24 v0, v0, s2, v6
	v_mul_u32_u24_e32 v16, 9, v5
	v_and_b32_e32 v7, v7, v18
	v_xor_b32_e32 v6, s0, v15
	s_delay_alu instid0(VALU_DEP_3) | instskip(NEXT) | instid1(VALU_DEP_3)
	v_lshlrev_b32_e32 v15, 2, v16
	v_and_b32_e32 v17, v7, v8
	s_waitcnt vmcnt(3)
	s_delay_alu instid0(VALU_DEP_3)
	v_mad_u64_u32 v[7:8], null, v0, v13, v[5:6]
	v_lshl_add_u32 v8, v14, 5, v14
	ds_store_2addr_b32 v15, v9, v9 offset0:32 offset1:33
	ds_store_2addr_b32 v15, v9, v9 offset0:34 offset1:35
	;; [unrolled: 1-line block ×4, first 2 shown]
	v_and_b32_e32 v6, v17, v6
	ds_store_b32 v15, v9 offset:160
	s_waitcnt vmcnt(0) lgkmcnt(0)
	s_waitcnt_vscnt null, 0x0
	s_barrier
	v_lshrrev_b32_e32 v0, 5, v7
	v_mbcnt_lo_u32_b32 v13, v6, 0
	v_cmp_ne_u32_e64 s0, 0, v6
	buffer_gl0_inv
	v_add_lshl_u32 v16, v0, v8, 2
	v_cmp_eq_u32_e32 vcc_lo, 0, v13
	; wave barrier
	s_and_b32 s1, s0, vcc_lo
	s_delay_alu instid0(SALU_CYCLE_1)
	s_and_saveexec_b32 s0, s1
	s_cbranch_execz .LBB86_69
; %bb.68:
	v_bcnt_u32_b32 v6, v6, 0
	ds_store_b32 v16, v6 offset:128
.LBB86_69:
	s_or_b32 exec_lo, exec_lo, s0
	v_xor_b32_e32 v14, 0x7fffffff, v3
	; wave barrier
	s_delay_alu instid0(VALU_DEP_1) | instskip(NEXT) | instid1(VALU_DEP_1)
	v_lshrrev_b32_e32 v3, s28, v14
	v_and_b32_e32 v3, s10, v3
	s_delay_alu instid0(VALU_DEP_1)
	v_and_b32_e32 v6, 1, v3
	v_lshlrev_b32_e32 v7, 30, v3
	v_lshlrev_b32_e32 v8, 29, v3
	;; [unrolled: 1-line block ×4, first 2 shown]
	v_add_co_u32 v6, s0, v6, -1
	s_delay_alu instid0(VALU_DEP_1)
	v_cndmask_b32_e64 v17, 0, 1, s0
	v_not_b32_e32 v21, v7
	v_cmp_gt_i32_e64 s0, 0, v7
	v_not_b32_e32 v7, v8
	v_lshlrev_b32_e32 v19, 26, v3
	v_cmp_ne_u32_e32 vcc_lo, 0, v17
	v_ashrrev_i32_e32 v21, 31, v21
	v_lshlrev_b32_e32 v20, 25, v3
	v_ashrrev_i32_e32 v7, 31, v7
	v_lshlrev_b32_e32 v17, 24, v3
	v_xor_b32_e32 v6, vcc_lo, v6
	v_cmp_gt_i32_e32 vcc_lo, 0, v8
	v_not_b32_e32 v8, v9
	v_xor_b32_e32 v21, s0, v21
	v_cmp_gt_i32_e64 s0, 0, v9
	v_and_b32_e32 v6, exec_lo, v6
	v_not_b32_e32 v9, v18
	v_ashrrev_i32_e32 v8, 31, v8
	v_xor_b32_e32 v7, vcc_lo, v7
	v_cmp_gt_i32_e32 vcc_lo, 0, v18
	v_and_b32_e32 v6, v6, v21
	v_not_b32_e32 v18, v19
	v_ashrrev_i32_e32 v9, 31, v9
	v_xor_b32_e32 v8, s0, v8
	v_cmp_gt_i32_e64 s0, 0, v19
	v_and_b32_e32 v6, v6, v7
	v_not_b32_e32 v7, v20
	v_ashrrev_i32_e32 v18, 31, v18
	v_xor_b32_e32 v9, vcc_lo, v9
	v_cmp_gt_i32_e32 vcc_lo, 0, v20
	v_and_b32_e32 v6, v6, v8
	v_not_b32_e32 v8, v17
	v_ashrrev_i32_e32 v7, 31, v7
	v_xor_b32_e32 v18, s0, v18
	v_lshl_add_u32 v3, v3, 5, v3
	v_and_b32_e32 v6, v6, v9
	v_cmp_gt_i32_e64 s0, 0, v17
	v_ashrrev_i32_e32 v8, 31, v8
	v_xor_b32_e32 v7, vcc_lo, v7
	v_add_lshl_u32 v20, v0, v3, 2
	v_and_b32_e32 v6, v6, v18
	s_delay_alu instid0(VALU_DEP_4) | instskip(SKIP_2) | instid1(VALU_DEP_1)
	v_xor_b32_e32 v3, s0, v8
	ds_load_b32 v17, v20 offset:128
	v_and_b32_e32 v6, v6, v7
	; wave barrier
	v_and_b32_e32 v3, v6, v3
	s_delay_alu instid0(VALU_DEP_1) | instskip(SKIP_1) | instid1(VALU_DEP_2)
	v_mbcnt_lo_u32_b32 v18, v3, 0
	v_cmp_ne_u32_e64 s0, 0, v3
	v_cmp_eq_u32_e32 vcc_lo, 0, v18
	s_delay_alu instid0(VALU_DEP_2) | instskip(NEXT) | instid1(SALU_CYCLE_1)
	s_and_b32 s1, s0, vcc_lo
	s_and_saveexec_b32 s0, s1
	s_cbranch_execz .LBB86_71
; %bb.70:
	s_waitcnt lgkmcnt(0)
	v_bcnt_u32_b32 v3, v3, v17
	ds_store_b32 v20, v3 offset:128
.LBB86_71:
	s_or_b32 exec_lo, exec_lo, s0
	v_xor_b32_e32 v19, 0x7fffffff, v2
	; wave barrier
	s_delay_alu instid0(VALU_DEP_1) | instskip(NEXT) | instid1(VALU_DEP_1)
	v_lshrrev_b32_e32 v2, s28, v19
	v_and_b32_e32 v2, s10, v2
	s_delay_alu instid0(VALU_DEP_1)
	v_and_b32_e32 v3, 1, v2
	v_lshlrev_b32_e32 v6, 30, v2
	v_lshlrev_b32_e32 v7, 29, v2
	;; [unrolled: 1-line block ×4, first 2 shown]
	v_add_co_u32 v3, s0, v3, -1
	s_delay_alu instid0(VALU_DEP_1)
	v_cndmask_b32_e64 v9, 0, 1, s0
	v_not_b32_e32 v24, v6
	v_cmp_gt_i32_e64 s0, 0, v6
	v_not_b32_e32 v6, v7
	v_lshlrev_b32_e32 v22, 26, v2
	v_cmp_ne_u32_e32 vcc_lo, 0, v9
	v_ashrrev_i32_e32 v24, 31, v24
	v_lshlrev_b32_e32 v23, 25, v2
	v_ashrrev_i32_e32 v6, 31, v6
	v_lshlrev_b32_e32 v9, 24, v2
	v_xor_b32_e32 v3, vcc_lo, v3
	v_cmp_gt_i32_e32 vcc_lo, 0, v7
	v_not_b32_e32 v7, v8
	v_xor_b32_e32 v24, s0, v24
	v_cmp_gt_i32_e64 s0, 0, v8
	v_and_b32_e32 v3, exec_lo, v3
	v_not_b32_e32 v8, v21
	v_ashrrev_i32_e32 v7, 31, v7
	v_xor_b32_e32 v6, vcc_lo, v6
	v_cmp_gt_i32_e32 vcc_lo, 0, v21
	v_and_b32_e32 v3, v3, v24
	v_not_b32_e32 v21, v22
	v_ashrrev_i32_e32 v8, 31, v8
	v_xor_b32_e32 v7, s0, v7
	v_cmp_gt_i32_e64 s0, 0, v22
	v_and_b32_e32 v3, v3, v6
	v_not_b32_e32 v6, v23
	v_ashrrev_i32_e32 v21, 31, v21
	v_xor_b32_e32 v8, vcc_lo, v8
	v_cmp_gt_i32_e32 vcc_lo, 0, v23
	v_and_b32_e32 v3, v3, v7
	v_not_b32_e32 v7, v9
	v_ashrrev_i32_e32 v6, 31, v6
	v_xor_b32_e32 v21, s0, v21
	v_lshl_add_u32 v2, v2, 5, v2
	v_and_b32_e32 v3, v3, v8
	v_cmp_gt_i32_e64 s0, 0, v9
	v_ashrrev_i32_e32 v7, 31, v7
	v_xor_b32_e32 v6, vcc_lo, v6
	v_add_lshl_u32 v24, v0, v2, 2
	v_and_b32_e32 v3, v3, v21
	s_delay_alu instid0(VALU_DEP_4) | instskip(SKIP_2) | instid1(VALU_DEP_1)
	v_xor_b32_e32 v2, s0, v7
	ds_load_b32 v21, v24 offset:128
	v_and_b32_e32 v3, v3, v6
	; wave barrier
	v_and_b32_e32 v2, v3, v2
	s_delay_alu instid0(VALU_DEP_1) | instskip(SKIP_1) | instid1(VALU_DEP_2)
	v_mbcnt_lo_u32_b32 v22, v2, 0
	v_cmp_ne_u32_e64 s0, 0, v2
	v_cmp_eq_u32_e32 vcc_lo, 0, v22
	s_delay_alu instid0(VALU_DEP_2) | instskip(NEXT) | instid1(SALU_CYCLE_1)
	s_and_b32 s1, s0, vcc_lo
	s_and_saveexec_b32 s0, s1
	s_cbranch_execz .LBB86_73
; %bb.72:
	s_waitcnt lgkmcnt(0)
	v_bcnt_u32_b32 v2, v2, v21
	ds_store_b32 v24, v2 offset:128
.LBB86_73:
	s_or_b32 exec_lo, exec_lo, s0
	v_xor_b32_e32 v23, 0x7fffffff, v1
	; wave barrier
	v_add_nc_u32_e32 v28, 0x80, v15
	s_delay_alu instid0(VALU_DEP_2) | instskip(NEXT) | instid1(VALU_DEP_1)
	v_lshrrev_b32_e32 v1, s28, v23
	v_and_b32_e32 v1, s10, v1
	s_delay_alu instid0(VALU_DEP_1)
	v_and_b32_e32 v2, 1, v1
	v_lshlrev_b32_e32 v3, 30, v1
	v_lshlrev_b32_e32 v6, 29, v1
	v_lshlrev_b32_e32 v7, 28, v1
	v_lshlrev_b32_e32 v9, 27, v1
	v_add_co_u32 v2, s0, v2, -1
	s_delay_alu instid0(VALU_DEP_1)
	v_cndmask_b32_e64 v8, 0, 1, s0
	v_not_b32_e32 v27, v3
	v_cmp_gt_i32_e64 s0, 0, v3
	v_not_b32_e32 v3, v6
	v_lshlrev_b32_e32 v25, 26, v1
	v_cmp_ne_u32_e32 vcc_lo, 0, v8
	v_ashrrev_i32_e32 v27, 31, v27
	v_lshlrev_b32_e32 v26, 25, v1
	v_ashrrev_i32_e32 v3, 31, v3
	v_lshlrev_b32_e32 v8, 24, v1
	v_xor_b32_e32 v2, vcc_lo, v2
	v_cmp_gt_i32_e32 vcc_lo, 0, v6
	v_not_b32_e32 v6, v7
	v_xor_b32_e32 v27, s0, v27
	v_cmp_gt_i32_e64 s0, 0, v7
	v_and_b32_e32 v2, exec_lo, v2
	v_not_b32_e32 v7, v9
	v_ashrrev_i32_e32 v6, 31, v6
	v_xor_b32_e32 v3, vcc_lo, v3
	v_cmp_gt_i32_e32 vcc_lo, 0, v9
	v_and_b32_e32 v2, v2, v27
	v_not_b32_e32 v9, v25
	v_ashrrev_i32_e32 v7, 31, v7
	v_xor_b32_e32 v6, s0, v6
	v_cmp_gt_i32_e64 s0, 0, v25
	v_and_b32_e32 v2, v2, v3
	v_not_b32_e32 v3, v26
	v_ashrrev_i32_e32 v9, 31, v9
	v_xor_b32_e32 v7, vcc_lo, v7
	v_cmp_gt_i32_e32 vcc_lo, 0, v26
	v_and_b32_e32 v2, v2, v6
	v_not_b32_e32 v6, v8
	v_ashrrev_i32_e32 v3, 31, v3
	v_xor_b32_e32 v9, s0, v9
	v_lshl_add_u32 v1, v1, 5, v1
	v_and_b32_e32 v2, v2, v7
	v_cmp_gt_i32_e64 s0, 0, v8
	v_ashrrev_i32_e32 v6, 31, v6
	v_xor_b32_e32 v3, vcc_lo, v3
	v_add_lshl_u32 v27, v0, v1, 2
	v_and_b32_e32 v2, v2, v9
	s_delay_alu instid0(VALU_DEP_4) | instskip(SKIP_2) | instid1(VALU_DEP_1)
	v_xor_b32_e32 v0, s0, v6
	ds_load_b32 v25, v27 offset:128
	v_and_b32_e32 v1, v2, v3
	; wave barrier
	v_and_b32_e32 v0, v1, v0
	s_delay_alu instid0(VALU_DEP_1) | instskip(SKIP_1) | instid1(VALU_DEP_2)
	v_mbcnt_lo_u32_b32 v26, v0, 0
	v_cmp_ne_u32_e64 s0, 0, v0
	v_cmp_eq_u32_e32 vcc_lo, 0, v26
	s_delay_alu instid0(VALU_DEP_2) | instskip(NEXT) | instid1(SALU_CYCLE_1)
	s_and_b32 s1, s0, vcc_lo
	s_and_saveexec_b32 s0, s1
	s_cbranch_execz .LBB86_75
; %bb.74:
	s_waitcnt lgkmcnt(0)
	v_bcnt_u32_b32 v0, v0, v25
	ds_store_b32 v27, v0 offset:128
.LBB86_75:
	s_or_b32 exec_lo, exec_lo, s0
	; wave barrier
	s_waitcnt lgkmcnt(0)
	s_barrier
	buffer_gl0_inv
	ds_load_2addr_b32 v[8:9], v15 offset0:32 offset1:33
	ds_load_2addr_b32 v[6:7], v28 offset0:2 offset1:3
	;; [unrolled: 1-line block ×4, first 2 shown]
	ds_load_b32 v29, v28 offset:32
	v_and_b32_e32 v32, 16, v12
	v_and_b32_e32 v33, 31, v5
	s_mov_b32 s5, exec_lo
	s_delay_alu instid0(VALU_DEP_2) | instskip(SKIP_3) | instid1(VALU_DEP_1)
	v_cmp_eq_u32_e64 s3, 0, v32
	s_waitcnt lgkmcnt(3)
	v_add3_u32 v30, v9, v8, v6
	s_waitcnt lgkmcnt(2)
	v_add3_u32 v30, v30, v7, v2
	s_waitcnt lgkmcnt(1)
	s_delay_alu instid0(VALU_DEP_1) | instskip(SKIP_1) | instid1(VALU_DEP_1)
	v_add3_u32 v30, v30, v3, v0
	s_waitcnt lgkmcnt(0)
	v_add3_u32 v29, v30, v1, v29
	v_and_b32_e32 v30, 15, v12
	s_delay_alu instid0(VALU_DEP_2) | instskip(NEXT) | instid1(VALU_DEP_2)
	v_mov_b32_dpp v31, v29 row_shr:1 row_mask:0xf bank_mask:0xf
	v_cmp_eq_u32_e32 vcc_lo, 0, v30
	v_cmp_lt_u32_e64 s0, 1, v30
	v_cmp_lt_u32_e64 s1, 3, v30
	;; [unrolled: 1-line block ×3, first 2 shown]
	v_cndmask_b32_e64 v31, v31, 0, vcc_lo
	s_delay_alu instid0(VALU_DEP_1) | instskip(NEXT) | instid1(VALU_DEP_1)
	v_add_nc_u32_e32 v29, v31, v29
	v_mov_b32_dpp v31, v29 row_shr:2 row_mask:0xf bank_mask:0xf
	s_delay_alu instid0(VALU_DEP_1) | instskip(NEXT) | instid1(VALU_DEP_1)
	v_cndmask_b32_e64 v31, 0, v31, s0
	v_add_nc_u32_e32 v29, v29, v31
	s_delay_alu instid0(VALU_DEP_1) | instskip(NEXT) | instid1(VALU_DEP_1)
	v_mov_b32_dpp v31, v29 row_shr:4 row_mask:0xf bank_mask:0xf
	v_cndmask_b32_e64 v31, 0, v31, s1
	s_delay_alu instid0(VALU_DEP_1) | instskip(NEXT) | instid1(VALU_DEP_1)
	v_add_nc_u32_e32 v29, v29, v31
	v_mov_b32_dpp v31, v29 row_shr:8 row_mask:0xf bank_mask:0xf
	s_delay_alu instid0(VALU_DEP_1) | instskip(SKIP_1) | instid1(VALU_DEP_2)
	v_cndmask_b32_e64 v30, 0, v31, s2
	v_bfe_i32 v31, v12, 4, 1
	v_add_nc_u32_e32 v29, v29, v30
	ds_swizzle_b32 v30, v29 offset:swizzle(BROADCAST,32,15)
	s_waitcnt lgkmcnt(0)
	v_and_b32_e32 v31, v31, v30
	v_lshrrev_b32_e32 v30, 5, v5
	s_delay_alu instid0(VALU_DEP_2)
	v_add_nc_u32_e32 v29, v29, v31
	v_cmpx_eq_u32_e32 31, v33
	s_cbranch_execz .LBB86_77
; %bb.76:
	s_delay_alu instid0(VALU_DEP_3)
	v_lshlrev_b32_e32 v31, 2, v30
	ds_store_b32 v31, v29
.LBB86_77:
	s_or_b32 exec_lo, exec_lo, s5
	v_cmp_lt_u32_e64 s4, 31, v5
	s_mov_b32 s11, exec_lo
	s_waitcnt lgkmcnt(0)
	s_barrier
	buffer_gl0_inv
	v_cmpx_gt_u32_e32 32, v5
	s_cbranch_execz .LBB86_79
; %bb.78:
	ds_load_b32 v31, v4
	s_waitcnt lgkmcnt(0)
	v_mov_b32_dpp v32, v31 row_shr:1 row_mask:0xf bank_mask:0xf
	s_delay_alu instid0(VALU_DEP_1) | instskip(NEXT) | instid1(VALU_DEP_1)
	v_cndmask_b32_e64 v32, v32, 0, vcc_lo
	v_add_nc_u32_e32 v31, v32, v31
	s_delay_alu instid0(VALU_DEP_1) | instskip(NEXT) | instid1(VALU_DEP_1)
	v_mov_b32_dpp v32, v31 row_shr:2 row_mask:0xf bank_mask:0xf
	v_cndmask_b32_e64 v32, 0, v32, s0
	s_delay_alu instid0(VALU_DEP_1) | instskip(NEXT) | instid1(VALU_DEP_1)
	v_add_nc_u32_e32 v31, v31, v32
	v_mov_b32_dpp v32, v31 row_shr:4 row_mask:0xf bank_mask:0xf
	s_delay_alu instid0(VALU_DEP_1) | instskip(NEXT) | instid1(VALU_DEP_1)
	v_cndmask_b32_e64 v32, 0, v32, s1
	v_add_nc_u32_e32 v31, v31, v32
	s_delay_alu instid0(VALU_DEP_1) | instskip(NEXT) | instid1(VALU_DEP_1)
	v_mov_b32_dpp v32, v31 row_shr:8 row_mask:0xf bank_mask:0xf
	v_cndmask_b32_e64 v32, 0, v32, s2
	s_delay_alu instid0(VALU_DEP_1) | instskip(SKIP_3) | instid1(VALU_DEP_1)
	v_add_nc_u32_e32 v31, v31, v32
	ds_swizzle_b32 v32, v31 offset:swizzle(BROADCAST,32,15)
	s_waitcnt lgkmcnt(0)
	v_cndmask_b32_e64 v32, v32, 0, s3
	v_add_nc_u32_e32 v31, v31, v32
	ds_store_b32 v4, v31
.LBB86_79:
	s_or_b32 exec_lo, exec_lo, s11
	v_mov_b32_e32 v31, 0
	s_waitcnt lgkmcnt(0)
	s_barrier
	buffer_gl0_inv
	s_and_saveexec_b32 s0, s4
	s_cbranch_execz .LBB86_81
; %bb.80:
	v_lshl_add_u32 v30, v30, 2, -4
	ds_load_b32 v31, v30
.LBB86_81:
	s_or_b32 exec_lo, exec_lo, s0
	v_add_nc_u32_e32 v30, -1, v12
	v_cmp_lt_u32_e64 s0, 0xff, v5
	s_waitcnt lgkmcnt(0)
	v_add_nc_u32_e32 v29, v31, v29
	s_delay_alu instid0(VALU_DEP_3) | instskip(SKIP_2) | instid1(VALU_DEP_2)
	v_cmp_gt_i32_e32 vcc_lo, 0, v30
	v_cndmask_b32_e32 v30, v30, v12, vcc_lo
	v_cmp_eq_u32_e32 vcc_lo, 0, v12
	v_lshlrev_b32_e32 v30, 2, v30
	ds_bpermute_b32 v29, v30, v29
	s_waitcnt lgkmcnt(0)
	v_cndmask_b32_e32 v29, v29, v31, vcc_lo
	v_cmp_ne_u32_e32 vcc_lo, 0, v5
	s_delay_alu instid0(VALU_DEP_2) | instskip(SKIP_1) | instid1(VALU_DEP_2)
	v_cndmask_b32_e32 v29, 0, v29, vcc_lo
	v_cmp_gt_u32_e32 vcc_lo, 0x100, v5
	v_add_nc_u32_e32 v8, v29, v8
	s_delay_alu instid0(VALU_DEP_1) | instskip(NEXT) | instid1(VALU_DEP_1)
	v_add_nc_u32_e32 v9, v8, v9
	v_add_nc_u32_e32 v6, v9, v6
	s_delay_alu instid0(VALU_DEP_1) | instskip(NEXT) | instid1(VALU_DEP_1)
	v_add_nc_u32_e32 v7, v6, v7
	;; [unrolled: 3-line block ×3, first 2 shown]
	v_add_nc_u32_e32 v0, v3, v0
	s_delay_alu instid0(VALU_DEP_1)
	v_add_nc_u32_e32 v1, v0, v1
	ds_store_2addr_b32 v15, v29, v8 offset0:32 offset1:33
	ds_store_2addr_b32 v28, v9, v6 offset0:2 offset1:3
	;; [unrolled: 1-line block ×4, first 2 shown]
	ds_store_b32 v28, v1 offset:32
	v_mov_b32_e32 v0, 0
	s_waitcnt lgkmcnt(0)
	s_barrier
	buffer_gl0_inv
	ds_load_b32 v2, v16 offset:128
	ds_load_b32 v3, v20 offset:128
	;; [unrolled: 1-line block ×4, first 2 shown]
	v_mov_b32_e32 v1, 0
                                        ; implicit-def: $vgpr15
	s_and_saveexec_b32 s2, vcc_lo
	s_cbranch_execz .LBB86_85
; %bb.82:
	v_mul_u32_u24_e32 v0, 33, v5
	s_mov_b32 s3, exec_lo
	s_delay_alu instid0(VALU_DEP_1)
	v_dual_mov_b32 v1, 0x1000 :: v_dual_lshlrev_b32 v8, 2, v0
	ds_load_b32 v0, v8 offset:128
	v_cmpx_ne_u32_e32 0xff, v5
	s_cbranch_execz .LBB86_84
; %bb.83:
	ds_load_b32 v1, v8 offset:260
.LBB86_84:
	s_or_b32 exec_lo, exec_lo, s3
	s_waitcnt lgkmcnt(0)
	v_sub_nc_u32_e32 v15, v1, v0
	v_mov_b32_e32 v1, 0
.LBB86_85:
	s_or_b32 exec_lo, exec_lo, s2
	s_waitcnt lgkmcnt(3)
	v_add_nc_u32_e32 v20, v2, v13
	s_waitcnt lgkmcnt(1)
	v_add3_u32 v16, v22, v21, v6
	v_add3_u32 v17, v18, v17, v3
	s_waitcnt lgkmcnt(0)
	v_add3_u32 v13, v26, v25, v7
	v_lshlrev_b32_e32 v2, 2, v20
	v_lshlrev_b32_e32 v6, 2, v16
	;; [unrolled: 1-line block ×3, first 2 shown]
	s_delay_alu instid0(VALU_DEP_4)
	v_lshlrev_b32_e32 v7, 2, v13
	s_barrier
	buffer_gl0_inv
	ds_store_b32 v2, v11 offset:2048
	ds_store_b32 v3, v14 offset:2048
	ds_store_b32 v6, v19 offset:2048
	ds_store_b32 v7, v23 offset:2048
	s_waitcnt lgkmcnt(0)
	s_barrier
	buffer_gl0_inv
	s_and_saveexec_b32 s1, s0
	s_delay_alu instid0(SALU_CYCLE_1)
	s_xor_b32 s0, exec_lo, s1
; %bb.86:
	v_mov_b32_e32 v6, 0
; %bb.87:
	s_and_not1_saveexec_b32 s1, s0
	s_cbranch_execz .LBB86_97
; %bb.88:
	v_lshl_or_b32 v6, s15, 8, v5
	v_mov_b32_e32 v7, 0
	v_mov_b32_e32 v11, 0
	s_mov_b32 s2, 0
	s_mov_b32 s3, s15
	s_delay_alu instid0(VALU_DEP_2) | instskip(SKIP_1) | instid1(VALU_DEP_2)
	v_lshlrev_b64 v[2:3], 2, v[6:7]
	v_or_b32_e32 v6, 2.0, v15
	v_add_co_u32 v2, s0, s12, v2
	s_delay_alu instid0(VALU_DEP_1)
	v_add_co_ci_u32_e64 v3, s0, s13, v3, s0
                                        ; implicit-def: $sgpr0
	global_store_b32 v[2:3], v6, off
	s_branch .LBB86_91
	.p2align	6
.LBB86_89:                              ;   in Loop: Header=BB86_91 Depth=1
	s_or_b32 exec_lo, exec_lo, s5
.LBB86_90:                              ;   in Loop: Header=BB86_91 Depth=1
	s_delay_alu instid0(SALU_CYCLE_1) | instskip(SKIP_2) | instid1(VALU_DEP_2)
	s_or_b32 exec_lo, exec_lo, s4
	v_and_b32_e32 v8, 0x3fffffff, v14
	v_cmp_eq_u32_e64 s0, 0x80000000, v6
	v_add_nc_u32_e32 v11, v8, v11
	s_delay_alu instid0(VALU_DEP_2) | instskip(NEXT) | instid1(SALU_CYCLE_1)
	s_and_b32 s4, exec_lo, s0
	s_or_b32 s2, s4, s2
	s_delay_alu instid0(SALU_CYCLE_1)
	s_and_not1_b32 exec_lo, exec_lo, s2
	s_cbranch_execz .LBB86_96
.LBB86_91:                              ; =>This Loop Header: Depth=1
                                        ;     Child Loop BB86_94 Depth 2
	s_or_b32 s0, s0, exec_lo
	s_cmp_eq_u32 s3, 0
	s_cbranch_scc1 .LBB86_95
; %bb.92:                               ;   in Loop: Header=BB86_91 Depth=1
	s_add_i32 s3, s3, -1
	s_mov_b32 s4, exec_lo
	v_lshl_or_b32 v6, s3, 8, v5
	s_delay_alu instid0(VALU_DEP_1) | instskip(NEXT) | instid1(VALU_DEP_1)
	v_lshlrev_b64 v[8:9], 2, v[6:7]
	v_add_co_u32 v8, s0, s12, v8
	s_delay_alu instid0(VALU_DEP_1) | instskip(SKIP_3) | instid1(VALU_DEP_1)
	v_add_co_ci_u32_e64 v9, s0, s13, v9, s0
	global_load_b32 v14, v[8:9], off glc
	s_waitcnt vmcnt(0)
	v_and_b32_e32 v6, -2.0, v14
	v_cmpx_eq_u32_e32 0, v6
	s_cbranch_execz .LBB86_90
; %bb.93:                               ;   in Loop: Header=BB86_91 Depth=1
	s_mov_b32 s5, 0
.LBB86_94:                              ;   Parent Loop BB86_91 Depth=1
                                        ; =>  This Inner Loop Header: Depth=2
	global_load_b32 v14, v[8:9], off glc
	s_waitcnt vmcnt(0)
	v_and_b32_e32 v6, -2.0, v14
	s_delay_alu instid0(VALU_DEP_1) | instskip(NEXT) | instid1(VALU_DEP_1)
	v_cmp_ne_u32_e64 s0, 0, v6
	s_or_b32 s5, s0, s5
	s_delay_alu instid0(SALU_CYCLE_1)
	s_and_not1_b32 exec_lo, exec_lo, s5
	s_cbranch_execnz .LBB86_94
	s_branch .LBB86_89
.LBB86_95:                              ;   in Loop: Header=BB86_91 Depth=1
                                        ; implicit-def: $sgpr3
	s_and_b32 s4, exec_lo, s0
	s_delay_alu instid0(SALU_CYCLE_1) | instskip(NEXT) | instid1(SALU_CYCLE_1)
	s_or_b32 s2, s4, s2
	s_and_not1_b32 exec_lo, exec_lo, s2
	s_cbranch_execnz .LBB86_91
.LBB86_96:
	s_or_b32 exec_lo, exec_lo, s2
	v_add_nc_u32_e32 v6, v11, v15
	v_lshlrev_b32_e32 v7, 3, v5
	s_delay_alu instid0(VALU_DEP_2) | instskip(SKIP_3) | instid1(VALU_DEP_1)
	v_or_b32_e32 v6, 0x80000000, v6
	global_store_b32 v[2:3], v6, off
	global_load_b64 v[2:3], v7, s[24:25]
	v_sub_co_u32 v6, s0, v11, v0
	v_sub_co_ci_u32_e64 v8, s0, 0, v1, s0
	s_waitcnt vmcnt(0)
	s_delay_alu instid0(VALU_DEP_2) | instskip(SKIP_1) | instid1(VALU_DEP_3)
	v_add_co_u32 v2, s0, v6, v2
	v_mov_b32_e32 v6, 0
	v_add_co_ci_u32_e64 v3, s0, v8, v3, s0
	ds_store_b64 v7, v[2:3]
.LBB86_97:
	s_or_b32 exec_lo, exec_lo, s1
	v_lshlrev_b32_e32 v2, 3, v12
	s_lshl_b64 s[0:1], s[6:7], 3
	v_lshlrev_b32_e32 v3, 3, v10
	s_add_u32 s0, s20, s0
	s_addc_u32 s1, s21, s1
	v_add_co_u32 v2, s0, s0, v2
	s_delay_alu instid0(VALU_DEP_1) | instskip(SKIP_2) | instid1(VALU_DEP_2)
	v_add_co_ci_u32_e64 v7, null, s1, 0, s0
	s_waitcnt lgkmcnt(0)
	s_waitcnt_vscnt null, 0x0
	v_add_co_u32 v2, s0, v2, v3
	s_delay_alu instid0(VALU_DEP_1)
	v_add_co_ci_u32_e64 v3, s0, 0, v7, s0
	s_barrier
	buffer_gl0_inv
	v_lshlrev_b32_e32 v27, 2, v5
	s_clause 0x3
	global_load_b64 v[7:8], v[2:3], off
	global_load_b64 v[9:10], v[2:3], off offset:256
	global_load_b64 v[11:12], v[2:3], off offset:512
	;; [unrolled: 1-line block ×3, first 2 shown]
	ds_load_2addr_stride64_b32 v[18:19], v4 offset0:24 offset1:40
	v_lshlrev_b32_e32 v36, 3, v20
	v_lshlrev_b32_e32 v37, 3, v17
	ds_load_b32 v28, v27 offset:2048
	v_lshlrev_b32_e32 v38, 3, v16
	v_or_b32_e32 v30, 0x400, v5
	v_or_b32_e32 v32, 0x800, v5
	;; [unrolled: 1-line block ×3, first 2 shown]
	v_lshlrev_b32_e32 v13, 3, v13
	s_add_i32 s9, s9, -1
	s_delay_alu instid0(VALU_DEP_3) | instskip(NEXT) | instid1(VALU_DEP_3)
	v_lshlrev_b32_e32 v39, 2, v32
	v_lshlrev_b32_e32 v40, 2, v33
	s_cmp_eq_u32 s15, s9
	s_cselect_b32 s1, -1, 0
	s_delay_alu instid0(SALU_CYCLE_1)
	s_and_b32 s1, vcc_lo, s1
	s_waitcnt lgkmcnt(1)
	v_lshrrev_b32_e32 v14, s28, v18
	v_lshrrev_b32_e32 v25, s28, v19
	v_xor_b32_e32 v42, 0x7fffffff, v18
	s_waitcnt lgkmcnt(0)
	v_lshrrev_b32_e32 v23, s28, v28
	v_xor_b32_e32 v28, 0x7fffffff, v28
	v_and_b32_e32 v14, s10, v14
	v_and_b32_e32 v25, s10, v25
	s_delay_alu instid0(VALU_DEP_4) | instskip(SKIP_1) | instid1(VALU_DEP_4)
	v_and_b32_e32 v26, s10, v23
	v_lshlrev_b64 v[23:24], 2, v[5:6]
	v_lshlrev_b32_e32 v14, 3, v14
	s_delay_alu instid0(VALU_DEP_4)
	v_lshlrev_b32_e32 v34, 3, v25
	ds_load_b64 v[21:22], v14
	ds_load_b32 v29, v4 offset:14336
	v_lshlrev_b32_e32 v31, 3, v26
	ds_load_b64 v[16:17], v34
	v_add3_u32 v4, 0x800, v4, v4
	ds_load_b64 v[25:26], v31
	s_waitcnt lgkmcnt(2)
	v_lshrrev_b32_e32 v35, s28, v29
	v_xor_b32_e32 v29, 0x7fffffff, v29
	s_delay_alu instid0(VALU_DEP_2) | instskip(SKIP_1) | instid1(VALU_DEP_2)
	v_and_b32_e32 v20, s10, v35
	v_lshlrev_b32_e32 v35, 2, v30
	v_lshlrev_b32_e32 v41, 3, v20
	v_lshlrev_b64 v[20:21], 2, v[21:22]
	v_xor_b32_e32 v22, 0x7fffffff, v19
	ds_load_b64 v[18:19], v41
	s_waitcnt lgkmcnt(2)
	v_lshlrev_b64 v[16:17], 2, v[16:17]
	v_add_co_u32 v43, s0, s18, v20
	s_delay_alu instid0(VALU_DEP_1) | instskip(SKIP_2) | instid1(VALU_DEP_3)
	v_add_co_ci_u32_e64 v44, s0, s19, v21, s0
	s_waitcnt lgkmcnt(1)
	v_lshlrev_b64 v[20:21], 2, v[25:26]
	v_add_co_u32 v25, s0, v43, v35
	s_delay_alu instid0(VALU_DEP_1) | instskip(NEXT) | instid1(VALU_DEP_3)
	v_add_co_ci_u32_e64 v26, s0, 0, v44, s0
	v_add_co_u32 v20, s0, s18, v20
	s_delay_alu instid0(VALU_DEP_1) | instskip(SKIP_1) | instid1(VALU_DEP_1)
	v_add_co_ci_u32_e64 v21, s0, s19, v21, s0
	v_add_co_u32 v35, s0, s18, v16
	v_add_co_ci_u32_e64 v43, s0, s19, v17, s0
	s_waitcnt lgkmcnt(0)
	v_lshlrev_b64 v[16:17], 2, v[18:19]
	v_add_co_u32 v18, s0, v20, v23
	s_delay_alu instid0(VALU_DEP_1) | instskip(SKIP_1) | instid1(VALU_DEP_4)
	v_add_co_ci_u32_e64 v19, s0, v21, v24, s0
	v_lshlrev_b32_e32 v24, 3, v30
	v_add_co_u32 v20, s0, s18, v16
	s_delay_alu instid0(VALU_DEP_1) | instskip(SKIP_1) | instid1(VALU_DEP_1)
	v_add_co_ci_u32_e64 v21, s0, s19, v17, s0
	v_add_co_u32 v16, s0, v35, v39
	v_add_co_ci_u32_e64 v17, s0, 0, v43, s0
	s_delay_alu instid0(VALU_DEP_4) | instskip(NEXT) | instid1(VALU_DEP_1)
	v_add_co_u32 v20, s0, v20, v40
	v_add_co_ci_u32_e64 v21, s0, 0, v21, s0
	s_clause 0x3
	global_store_b32 v[18:19], v28, off
	global_store_b32 v[25:26], v42, off
	;; [unrolled: 1-line block ×4, first 2 shown]
	s_waitcnt vmcnt(0)
	s_waitcnt_vscnt null, 0x0
	s_barrier
	buffer_gl0_inv
	v_add_nc_u32_e32 v20, v27, v27
	v_lshlrev_b64 v[18:19], 3, v[5:6]
	v_lshlrev_b32_e32 v25, 3, v32
	v_lshlrev_b32_e32 v26, 3, v33
	ds_store_b64 v36, v[7:8] offset:2048
	ds_store_b64 v37, v[9:10] offset:2048
	;; [unrolled: 1-line block ×4, first 2 shown]
	s_waitcnt lgkmcnt(0)
	s_barrier
	buffer_gl0_inv
	ds_load_b64 v[2:3], v31
	ds_load_b64 v[11:12], v14
	;; [unrolled: 1-line block ×4, first 2 shown]
	ds_load_2addr_stride64_b64 v[7:10], v4 offset0:16 offset1:32
	ds_load_b64 v[20:21], v20 offset:2048
	ds_load_b64 v[22:23], v4 offset:24576
	s_waitcnt lgkmcnt(6)
	v_lshlrev_b64 v[2:3], 3, v[2:3]
	s_waitcnt lgkmcnt(5)
	v_lshlrev_b64 v[11:12], 3, v[11:12]
	;; [unrolled: 2-line block ×4, first 2 shown]
	v_add_co_u32 v2, s0, s22, v2
	s_delay_alu instid0(VALU_DEP_1) | instskip(SKIP_1) | instid1(VALU_DEP_1)
	v_add_co_ci_u32_e64 v3, s0, s23, v3, s0
	v_add_co_u32 v4, s0, s22, v11
	v_add_co_ci_u32_e64 v12, s0, s23, v12, s0
	v_add_co_u32 v13, s0, s22, v13
	s_delay_alu instid0(VALU_DEP_1) | instskip(SKIP_1) | instid1(VALU_DEP_1)
	v_add_co_ci_u32_e64 v14, s0, s23, v14, s0
	v_add_co_u32 v16, s0, s22, v16
	v_add_co_ci_u32_e64 v17, s0, s23, v17, s0
	;; [unrolled: 5-line block ×4, first 2 shown]
	s_waitcnt lgkmcnt(1)
	s_clause 0x2
	global_store_b64 v[2:3], v[20:21], off
	global_store_b64 v[11:12], v[7:8], off
	;; [unrolled: 1-line block ×3, first 2 shown]
	s_waitcnt lgkmcnt(0)
	global_store_b64 v[16:17], v[22:23], off
                                        ; implicit-def: $vgpr2_vgpr3
	s_and_saveexec_b32 s0, s1
; %bb.98:
	v_add_co_u32 v2, vcc_lo, v0, v15
	v_add_co_ci_u32_e32 v3, vcc_lo, 0, v1, vcc_lo
	s_or_b32 s8, s8, exec_lo
; %bb.99:
	s_or_b32 exec_lo, exec_lo, s0
.LBB86_100:
	s_and_saveexec_b32 s0, s8
	s_cbranch_execnz .LBB86_102
; %bb.101:
	s_nop 0
	s_sendmsg sendmsg(MSG_DEALLOC_VGPRS)
	s_endpgm
.LBB86_102:
	v_lshlrev_b32_e32 v0, 3, v5
	v_lshlrev_b64 v[4:5], 3, v[5:6]
	ds_load_b64 v[0:1], v0
	v_add_co_u32 v4, vcc_lo, s26, v4
	v_add_co_ci_u32_e32 v5, vcc_lo, s27, v5, vcc_lo
	s_waitcnt lgkmcnt(0)
	v_add_co_u32 v0, vcc_lo, v0, v2
	v_add_co_ci_u32_e32 v1, vcc_lo, v1, v3, vcc_lo
	global_store_b64 v[4:5], v[0:1], off
	s_nop 0
	s_sendmsg sendmsg(MSG_DEALLOC_VGPRS)
	s_endpgm
.LBB86_103:
	global_load_b64 v[1:2], v[10:11], off
	s_or_b32 exec_lo, exec_lo, s10
                                        ; implicit-def: $vgpr3_vgpr4
	s_and_saveexec_b32 s10, s2
	s_cbranch_execz .LBB86_47
.LBB86_104:
	global_load_b64 v[3:4], v[10:11], off offset:256
	s_or_b32 exec_lo, exec_lo, s10
                                        ; implicit-def: $vgpr6_vgpr7
	s_and_saveexec_b32 s2, s3
	s_cbranch_execz .LBB86_48
.LBB86_105:
	global_load_b64 v[6:7], v[10:11], off offset:512
	s_or_b32 exec_lo, exec_lo, s2
                                        ; implicit-def: $vgpr8_vgpr9
	s_and_saveexec_b32 s2, s4
	s_cbranch_execnz .LBB86_49
	s_branch .LBB86_50
.LBB86_106:
	v_lshlrev_b32_e32 v2, 3, v24
	ds_load_b64 v[2:3], v2
	ds_load_b64 v[6:7], v1 offset:2048
	s_waitcnt lgkmcnt(1)
	v_lshlrev_b64 v[2:3], 3, v[2:3]
	s_delay_alu instid0(VALU_DEP_1) | instskip(NEXT) | instid1(VALU_DEP_2)
	v_add_co_u32 v2, vcc_lo, s22, v2
	v_add_co_ci_u32_e32 v3, vcc_lo, s23, v3, vcc_lo
	s_delay_alu instid0(VALU_DEP_2) | instskip(NEXT) | instid1(VALU_DEP_2)
	v_add_co_u32 v2, vcc_lo, v2, v1
	v_add_co_ci_u32_e32 v3, vcc_lo, 0, v3, vcc_lo
	s_waitcnt lgkmcnt(0)
	global_store_b64 v[2:3], v[6:7], off
	s_or_b32 exec_lo, exec_lo, s2
	s_and_saveexec_b32 s2, s7
	s_cbranch_execz .LBB86_60
.LBB86_107:
	v_lshlrev_b32_e32 v2, 3, v11
	v_lshlrev_b32_e32 v4, 3, v15
	ds_load_b64 v[2:3], v2
	ds_load_b64 v[6:7], v1 offset:10240
	s_waitcnt lgkmcnt(1)
	v_lshlrev_b64 v[2:3], 3, v[2:3]
	s_delay_alu instid0(VALU_DEP_1) | instskip(NEXT) | instid1(VALU_DEP_2)
	v_add_co_u32 v2, vcc_lo, s22, v2
	v_add_co_ci_u32_e32 v3, vcc_lo, s23, v3, vcc_lo
	s_delay_alu instid0(VALU_DEP_2) | instskip(NEXT) | instid1(VALU_DEP_2)
	v_add_co_u32 v2, vcc_lo, v2, v4
	v_add_co_ci_u32_e32 v3, vcc_lo, 0, v3, vcc_lo
	s_waitcnt lgkmcnt(0)
	global_store_b64 v[2:3], v[6:7], off
	s_or_b32 exec_lo, exec_lo, s2
	s_and_saveexec_b32 s2, s8
	s_cbranch_execz .LBB86_61
.LBB86_108:
	v_lshlrev_b32_e32 v2, 3, v23
	v_lshlrev_b32_e32 v4, 3, v20
	ds_load_b64 v[2:3], v2
	ds_load_b64 v[6:7], v1 offset:18432
	s_waitcnt lgkmcnt(1)
	v_lshlrev_b64 v[2:3], 3, v[2:3]
	s_delay_alu instid0(VALU_DEP_1) | instskip(NEXT) | instid1(VALU_DEP_2)
	v_add_co_u32 v2, vcc_lo, s22, v2
	v_add_co_ci_u32_e32 v3, vcc_lo, s23, v3, vcc_lo
	s_delay_alu instid0(VALU_DEP_2) | instskip(NEXT) | instid1(VALU_DEP_2)
	v_add_co_u32 v2, vcc_lo, v2, v4
	v_add_co_ci_u32_e32 v3, vcc_lo, 0, v3, vcc_lo
	s_waitcnt lgkmcnt(0)
	global_store_b64 v[2:3], v[6:7], off
	s_or_b32 exec_lo, exec_lo, s2
	s_and_saveexec_b32 s2, s9
	s_cbranch_execnz .LBB86_62
	s_branch .LBB86_63
	.section	.rodata,"a",@progbits
	.p2align	6, 0x0
	.amdhsa_kernel _ZN7rocprim17ROCPRIM_304000_NS6detail25onesweep_iteration_kernelINS1_34wrapped_radix_sort_onesweep_configINS0_14default_configEiN2at4cuda3cub6detail10OpaqueTypeILi8EEEEELb1EPKiPiPKSA_PSA_mNS0_19identity_decomposerEEEvT1_T2_T3_T4_jPT5_SO_PNS1_23onesweep_lookback_stateET6_jjj
		.amdhsa_group_segment_fixed_size 36992
		.amdhsa_private_segment_fixed_size 0
		.amdhsa_kernarg_size 336
		.amdhsa_user_sgpr_count 15
		.amdhsa_user_sgpr_dispatch_ptr 0
		.amdhsa_user_sgpr_queue_ptr 0
		.amdhsa_user_sgpr_kernarg_segment_ptr 1
		.amdhsa_user_sgpr_dispatch_id 0
		.amdhsa_user_sgpr_private_segment_size 0
		.amdhsa_wavefront_size32 1
		.amdhsa_uses_dynamic_stack 0
		.amdhsa_enable_private_segment 0
		.amdhsa_system_sgpr_workgroup_id_x 1
		.amdhsa_system_sgpr_workgroup_id_y 0
		.amdhsa_system_sgpr_workgroup_id_z 0
		.amdhsa_system_sgpr_workgroup_info 0
		.amdhsa_system_vgpr_workitem_id 2
		.amdhsa_next_free_vgpr 45
		.amdhsa_next_free_sgpr 36
		.amdhsa_reserve_vcc 1
		.amdhsa_float_round_mode_32 0
		.amdhsa_float_round_mode_16_64 0
		.amdhsa_float_denorm_mode_32 3
		.amdhsa_float_denorm_mode_16_64 3
		.amdhsa_dx10_clamp 1
		.amdhsa_ieee_mode 1
		.amdhsa_fp16_overflow 0
		.amdhsa_workgroup_processor_mode 1
		.amdhsa_memory_ordered 1
		.amdhsa_forward_progress 0
		.amdhsa_shared_vgpr_count 0
		.amdhsa_exception_fp_ieee_invalid_op 0
		.amdhsa_exception_fp_denorm_src 0
		.amdhsa_exception_fp_ieee_div_zero 0
		.amdhsa_exception_fp_ieee_overflow 0
		.amdhsa_exception_fp_ieee_underflow 0
		.amdhsa_exception_fp_ieee_inexact 0
		.amdhsa_exception_int_div_zero 0
	.end_amdhsa_kernel
	.section	.text._ZN7rocprim17ROCPRIM_304000_NS6detail25onesweep_iteration_kernelINS1_34wrapped_radix_sort_onesweep_configINS0_14default_configEiN2at4cuda3cub6detail10OpaqueTypeILi8EEEEELb1EPKiPiPKSA_PSA_mNS0_19identity_decomposerEEEvT1_T2_T3_T4_jPT5_SO_PNS1_23onesweep_lookback_stateET6_jjj,"axG",@progbits,_ZN7rocprim17ROCPRIM_304000_NS6detail25onesweep_iteration_kernelINS1_34wrapped_radix_sort_onesweep_configINS0_14default_configEiN2at4cuda3cub6detail10OpaqueTypeILi8EEEEELb1EPKiPiPKSA_PSA_mNS0_19identity_decomposerEEEvT1_T2_T3_T4_jPT5_SO_PNS1_23onesweep_lookback_stateET6_jjj,comdat
.Lfunc_end86:
	.size	_ZN7rocprim17ROCPRIM_304000_NS6detail25onesweep_iteration_kernelINS1_34wrapped_radix_sort_onesweep_configINS0_14default_configEiN2at4cuda3cub6detail10OpaqueTypeILi8EEEEELb1EPKiPiPKSA_PSA_mNS0_19identity_decomposerEEEvT1_T2_T3_T4_jPT5_SO_PNS1_23onesweep_lookback_stateET6_jjj, .Lfunc_end86-_ZN7rocprim17ROCPRIM_304000_NS6detail25onesweep_iteration_kernelINS1_34wrapped_radix_sort_onesweep_configINS0_14default_configEiN2at4cuda3cub6detail10OpaqueTypeILi8EEEEELb1EPKiPiPKSA_PSA_mNS0_19identity_decomposerEEEvT1_T2_T3_T4_jPT5_SO_PNS1_23onesweep_lookback_stateET6_jjj
                                        ; -- End function
	.section	.AMDGPU.csdata,"",@progbits
; Kernel info:
; codeLenInByte = 9004
; NumSgprs: 38
; NumVgprs: 45
; ScratchSize: 0
; MemoryBound: 0
; FloatMode: 240
; IeeeMode: 1
; LDSByteSize: 36992 bytes/workgroup (compile time only)
; SGPRBlocks: 4
; VGPRBlocks: 5
; NumSGPRsForWavesPerEU: 38
; NumVGPRsForWavesPerEU: 45
; Occupancy: 16
; WaveLimiterHint : 1
; COMPUTE_PGM_RSRC2:SCRATCH_EN: 0
; COMPUTE_PGM_RSRC2:USER_SGPR: 15
; COMPUTE_PGM_RSRC2:TRAP_HANDLER: 0
; COMPUTE_PGM_RSRC2:TGID_X_EN: 1
; COMPUTE_PGM_RSRC2:TGID_Y_EN: 0
; COMPUTE_PGM_RSRC2:TGID_Z_EN: 0
; COMPUTE_PGM_RSRC2:TIDIG_COMP_CNT: 2
	.section	.text._ZN7rocprim17ROCPRIM_304000_NS6detail25onesweep_iteration_kernelINS1_34wrapped_radix_sort_onesweep_configINS0_14default_configEiN2at4cuda3cub6detail10OpaqueTypeILi8EEEEELb1EPiSC_PSA_SD_mNS0_19identity_decomposerEEEvT1_T2_T3_T4_jPT5_SK_PNS1_23onesweep_lookback_stateET6_jjj,"axG",@progbits,_ZN7rocprim17ROCPRIM_304000_NS6detail25onesweep_iteration_kernelINS1_34wrapped_radix_sort_onesweep_configINS0_14default_configEiN2at4cuda3cub6detail10OpaqueTypeILi8EEEEELb1EPiSC_PSA_SD_mNS0_19identity_decomposerEEEvT1_T2_T3_T4_jPT5_SK_PNS1_23onesweep_lookback_stateET6_jjj,comdat
	.protected	_ZN7rocprim17ROCPRIM_304000_NS6detail25onesweep_iteration_kernelINS1_34wrapped_radix_sort_onesweep_configINS0_14default_configEiN2at4cuda3cub6detail10OpaqueTypeILi8EEEEELb1EPiSC_PSA_SD_mNS0_19identity_decomposerEEEvT1_T2_T3_T4_jPT5_SK_PNS1_23onesweep_lookback_stateET6_jjj ; -- Begin function _ZN7rocprim17ROCPRIM_304000_NS6detail25onesweep_iteration_kernelINS1_34wrapped_radix_sort_onesweep_configINS0_14default_configEiN2at4cuda3cub6detail10OpaqueTypeILi8EEEEELb1EPiSC_PSA_SD_mNS0_19identity_decomposerEEEvT1_T2_T3_T4_jPT5_SK_PNS1_23onesweep_lookback_stateET6_jjj
	.globl	_ZN7rocprim17ROCPRIM_304000_NS6detail25onesweep_iteration_kernelINS1_34wrapped_radix_sort_onesweep_configINS0_14default_configEiN2at4cuda3cub6detail10OpaqueTypeILi8EEEEELb1EPiSC_PSA_SD_mNS0_19identity_decomposerEEEvT1_T2_T3_T4_jPT5_SK_PNS1_23onesweep_lookback_stateET6_jjj
	.p2align	8
	.type	_ZN7rocprim17ROCPRIM_304000_NS6detail25onesweep_iteration_kernelINS1_34wrapped_radix_sort_onesweep_configINS0_14default_configEiN2at4cuda3cub6detail10OpaqueTypeILi8EEEEELb1EPiSC_PSA_SD_mNS0_19identity_decomposerEEEvT1_T2_T3_T4_jPT5_SK_PNS1_23onesweep_lookback_stateET6_jjj,@function
_ZN7rocprim17ROCPRIM_304000_NS6detail25onesweep_iteration_kernelINS1_34wrapped_radix_sort_onesweep_configINS0_14default_configEiN2at4cuda3cub6detail10OpaqueTypeILi8EEEEELb1EPiSC_PSA_SD_mNS0_19identity_decomposerEEEvT1_T2_T3_T4_jPT5_SK_PNS1_23onesweep_lookback_stateET6_jjj: ; @_ZN7rocprim17ROCPRIM_304000_NS6detail25onesweep_iteration_kernelINS1_34wrapped_radix_sort_onesweep_configINS0_14default_configEiN2at4cuda3cub6detail10OpaqueTypeILi8EEEEELb1EPiSC_PSA_SD_mNS0_19identity_decomposerEEEvT1_T2_T3_T4_jPT5_SK_PNS1_23onesweep_lookback_stateET6_jjj
; %bb.0:
	s_clause 0x3
	s_load_b128 s[28:31], s[0:1], 0x44
	s_load_b256 s[16:23], s[0:1], 0x0
	s_load_b128 s[24:27], s[0:1], 0x28
	s_load_b64 s[12:13], s[0:1], 0x38
	v_and_b32_e32 v5, 0x3ff, v0
	v_mbcnt_lo_u32_b32 v12, -1, 0
	s_waitcnt lgkmcnt(0)
	s_cmp_ge_u32 s15, s30
	s_cbranch_scc0 .LBB87_66
; %bb.1:
	s_load_b32 s8, s[0:1], 0x20
	s_brev_b32 s4, 1
	s_lshl_b32 s9, s30, 12
	s_mov_b32 s5, s4
	s_mov_b32 s6, s4
	;; [unrolled: 1-line block ×3, first 2 shown]
	v_lshlrev_b32_e32 v13, 2, v5
	s_lshl_b32 s30, s15, 12
	s_mov_b32 s31, 0
	v_lshlrev_b32_e32 v1, 2, v12
	s_lshl_b64 s[2:3], s[30:31], 2
	v_and_b32_e32 v10, 0xf80, v13
	s_delay_alu instid0(VALU_DEP_1)
	v_lshlrev_b32_e32 v2, 2, v10
	s_waitcnt lgkmcnt(0)
	s_sub_i32 s34, s8, s9
	s_add_u32 s2, s16, s2
	s_addc_u32 s3, s17, s3
	v_add_co_u32 v1, s2, s2, v1
	s_delay_alu instid0(VALU_DEP_1) | instskip(NEXT) | instid1(VALU_DEP_2)
	v_add_co_ci_u32_e64 v3, null, s3, 0, s2
	v_add_co_u32 v6, s2, v1, v2
	s_delay_alu instid0(VALU_DEP_1)
	v_add_co_ci_u32_e64 v7, s2, 0, v3, s2
	v_mov_b32_e32 v1, s4
	v_mov_b32_e32 v3, s6
	v_or_b32_e32 v8, v12, v10
	v_mov_b32_e32 v2, s5
	v_mov_b32_e32 v4, s7
	s_delay_alu instid0(VALU_DEP_3)
	v_cmp_gt_u32_e32 vcc_lo, s34, v8
	s_and_saveexec_b32 s2, vcc_lo
	s_cbranch_execz .LBB87_3
; %bb.2:
	global_load_b32 v1, v[6:7], off
	v_bfrev_b32_e32 v2, 1
	s_delay_alu instid0(VALU_DEP_1)
	v_mov_b32_e32 v3, v2
	v_mov_b32_e32 v4, v2
.LBB87_3:
	s_or_b32 exec_lo, exec_lo, s2
	v_add_nc_u32_e32 v9, 32, v8
	s_delay_alu instid0(VALU_DEP_1) | instskip(NEXT) | instid1(VALU_DEP_1)
	v_cmp_gt_u32_e64 s2, s34, v9
	s_and_saveexec_b32 s3, s2
	s_cbranch_execz .LBB87_5
; %bb.4:
	global_load_b32 v2, v[6:7], off offset:128
.LBB87_5:
	s_or_b32 exec_lo, exec_lo, s3
	v_add_nc_u32_e32 v9, 64, v8
	s_delay_alu instid0(VALU_DEP_1) | instskip(NEXT) | instid1(VALU_DEP_1)
	v_cmp_gt_u32_e64 s3, s34, v9
	s_and_saveexec_b32 s4, s3
	s_cbranch_execz .LBB87_7
; %bb.6:
	global_load_b32 v3, v[6:7], off offset:256
.LBB87_7:
	;; [unrolled: 9-line block ×3, first 2 shown]
	s_or_b32 exec_lo, exec_lo, s5
	s_clause 0x1
	s_load_b32 s5, s[0:1], 0x5c
	s_load_b32 s14, s[0:1], 0x50
	s_add_u32 s6, s0, 0x50
	s_addc_u32 s7, s1, 0
	s_waitcnt vmcnt(0)
	v_xor_b32_e32 v11, 0x7fffffff, v1
	s_delay_alu instid0(VALU_DEP_1) | instskip(SKIP_4) | instid1(SALU_CYCLE_1)
	v_lshrrev_b32_e32 v1, s28, v11
	s_waitcnt lgkmcnt(0)
	s_lshr_b32 s8, s5, 16
	s_cmp_lt_u32 s15, s14
	s_cselect_b32 s5, 12, 18
	s_add_u32 s6, s6, s5
	s_addc_u32 s7, s7, 0
	s_lshl_b32 s5, -1, s29
	s_delay_alu instid0(SALU_CYCLE_1) | instskip(NEXT) | instid1(SALU_CYCLE_1)
	s_not_b32 s33, s5
	v_and_b32_e32 v15, s33, v1
	v_mov_b32_e32 v9, 0
	v_bfe_u32 v1, v0, 10, 10
	s_delay_alu instid0(VALU_DEP_3)
	v_lshlrev_b32_e32 v8, 30, v15
	global_load_u16 v6, v9, s[6:7]
	v_and_b32_e32 v7, 1, v15
	v_lshlrev_b32_e32 v14, 29, v15
	v_lshlrev_b32_e32 v16, 28, v15
	v_not_b32_e32 v21, v8
	v_cmp_gt_i32_e64 s6, 0, v8
	v_add_co_u32 v7, s5, v7, -1
	s_delay_alu instid0(VALU_DEP_1)
	v_cndmask_b32_e64 v17, 0, 1, s5
	v_not_b32_e32 v8, v14
	v_ashrrev_i32_e32 v21, 31, v21
	v_lshlrev_b32_e32 v18, 27, v15
	v_lshlrev_b32_e32 v19, 26, v15
	v_cmp_ne_u32_e64 s5, 0, v17
	v_ashrrev_i32_e32 v8, 31, v8
	v_xor_b32_e32 v21, s6, v21
	v_cmp_gt_i32_e64 s6, 0, v16
	v_lshlrev_b32_e32 v20, 25, v15
	v_xor_b32_e32 v7, s5, v7
	v_cmp_gt_i32_e64 s5, 0, v14
	v_not_b32_e32 v14, v16
	v_not_b32_e32 v16, v18
	v_lshlrev_b32_e32 v17, 24, v15
	v_and_b32_e32 v7, exec_lo, v7
	v_xor_b32_e32 v8, s5, v8
	v_ashrrev_i32_e32 v14, 31, v14
	v_cmp_gt_i32_e64 s5, 0, v18
	v_not_b32_e32 v18, v19
	v_and_b32_e32 v7, v7, v21
	v_ashrrev_i32_e32 v16, 31, v16
	v_xor_b32_e32 v14, s6, v14
	v_cmp_gt_i32_e64 s6, 0, v19
	v_ashrrev_i32_e32 v18, 31, v18
	v_and_b32_e32 v7, v7, v8
	v_not_b32_e32 v8, v20
	v_xor_b32_e32 v16, s5, v16
	v_cmp_gt_i32_e64 s5, 0, v20
	v_xor_b32_e32 v18, s6, v18
	v_and_b32_e32 v7, v7, v14
	v_not_b32_e32 v14, v17
	v_ashrrev_i32_e32 v8, 31, v8
	v_cmp_gt_i32_e64 s6, 0, v17
	v_mul_u32_u24_e32 v17, 9, v5
	v_and_b32_e32 v7, v7, v16
	v_bfe_u32 v16, v0, 20, 10
	v_ashrrev_i32_e32 v14, 31, v14
	v_xor_b32_e32 v8, s5, v8
	s_delay_alu instid0(VALU_DEP_4) | instskip(NEXT) | instid1(VALU_DEP_4)
	v_and_b32_e32 v7, v7, v18
	v_mad_u32_u24 v1, v16, s8, v1
	s_delay_alu instid0(VALU_DEP_4)
	v_xor_b32_e32 v14, s6, v14
	v_lshlrev_b32_e32 v16, 2, v17
	ds_store_2addr_b32 v16, v9, v9 offset0:32 offset1:33
	ds_store_2addr_b32 v16, v9, v9 offset0:34 offset1:35
	;; [unrolled: 1-line block ×4, first 2 shown]
	v_and_b32_e32 v18, v7, v8
	ds_store_b32 v16, v9 offset:160
	s_waitcnt vmcnt(0) lgkmcnt(0)
	s_barrier
	buffer_gl0_inv
	; wave barrier
	v_mad_u64_u32 v[7:8], null, v1, v6, v[5:6]
	v_and_b32_e32 v6, v18, v14
	s_delay_alu instid0(VALU_DEP_1) | instskip(NEXT) | instid1(VALU_DEP_3)
	v_mbcnt_lo_u32_b32 v14, v6, 0
	v_lshrrev_b32_e32 v1, 5, v7
	v_lshl_add_u32 v7, v15, 5, v15
	v_cmp_ne_u32_e64 s6, 0, v6
	s_delay_alu instid0(VALU_DEP_4) | instskip(NEXT) | instid1(VALU_DEP_3)
	v_cmp_eq_u32_e64 s5, 0, v14
	v_add_lshl_u32 v17, v1, v7, 2
	s_delay_alu instid0(VALU_DEP_2) | instskip(NEXT) | instid1(SALU_CYCLE_1)
	s_and_b32 s6, s6, s5
	s_and_saveexec_b32 s5, s6
	s_cbranch_execz .LBB87_11
; %bb.10:
	v_bcnt_u32_b32 v6, v6, 0
	ds_store_b32 v17, v6 offset:128
.LBB87_11:
	s_or_b32 exec_lo, exec_lo, s5
	v_xor_b32_e32 v15, 0x7fffffff, v2
	; wave barrier
	s_delay_alu instid0(VALU_DEP_1) | instskip(NEXT) | instid1(VALU_DEP_1)
	v_lshrrev_b32_e32 v2, s28, v15
	v_and_b32_e32 v2, s33, v2
	s_delay_alu instid0(VALU_DEP_1)
	v_and_b32_e32 v6, 1, v2
	v_lshlrev_b32_e32 v7, 30, v2
	v_lshlrev_b32_e32 v8, 29, v2
	;; [unrolled: 1-line block ×4, first 2 shown]
	v_add_co_u32 v6, s5, v6, -1
	s_delay_alu instid0(VALU_DEP_1)
	v_cndmask_b32_e64 v18, 0, 1, s5
	v_not_b32_e32 v22, v7
	v_cmp_gt_i32_e64 s6, 0, v7
	v_not_b32_e32 v7, v8
	v_lshlrev_b32_e32 v20, 26, v2
	v_cmp_ne_u32_e64 s5, 0, v18
	v_ashrrev_i32_e32 v22, 31, v22
	v_lshlrev_b32_e32 v21, 25, v2
	v_ashrrev_i32_e32 v7, 31, v7
	v_lshlrev_b32_e32 v18, 24, v2
	v_xor_b32_e32 v6, s5, v6
	v_cmp_gt_i32_e64 s5, 0, v8
	v_not_b32_e32 v8, v9
	v_xor_b32_e32 v22, s6, v22
	v_cmp_gt_i32_e64 s6, 0, v9
	v_and_b32_e32 v6, exec_lo, v6
	v_not_b32_e32 v9, v19
	v_ashrrev_i32_e32 v8, 31, v8
	v_xor_b32_e32 v7, s5, v7
	v_cmp_gt_i32_e64 s5, 0, v19
	v_and_b32_e32 v6, v6, v22
	v_not_b32_e32 v19, v20
	v_ashrrev_i32_e32 v9, 31, v9
	v_xor_b32_e32 v8, s6, v8
	v_cmp_gt_i32_e64 s6, 0, v20
	v_and_b32_e32 v6, v6, v7
	;; [unrolled: 5-line block ×3, first 2 shown]
	v_not_b32_e32 v8, v18
	v_ashrrev_i32_e32 v7, 31, v7
	v_xor_b32_e32 v19, s6, v19
	v_lshl_add_u32 v2, v2, 5, v2
	v_and_b32_e32 v6, v6, v9
	v_cmp_gt_i32_e64 s6, 0, v18
	v_ashrrev_i32_e32 v8, 31, v8
	v_xor_b32_e32 v7, s5, v7
	v_add_lshl_u32 v21, v1, v2, 2
	v_and_b32_e32 v6, v6, v19
	s_delay_alu instid0(VALU_DEP_4) | instskip(SKIP_2) | instid1(VALU_DEP_1)
	v_xor_b32_e32 v2, s6, v8
	ds_load_b32 v18, v21 offset:128
	v_and_b32_e32 v6, v6, v7
	; wave barrier
	v_and_b32_e32 v2, v6, v2
	s_delay_alu instid0(VALU_DEP_1) | instskip(SKIP_1) | instid1(VALU_DEP_2)
	v_mbcnt_lo_u32_b32 v19, v2, 0
	v_cmp_ne_u32_e64 s6, 0, v2
	v_cmp_eq_u32_e64 s5, 0, v19
	s_delay_alu instid0(VALU_DEP_1) | instskip(NEXT) | instid1(SALU_CYCLE_1)
	s_and_b32 s6, s6, s5
	s_and_saveexec_b32 s5, s6
	s_cbranch_execz .LBB87_13
; %bb.12:
	s_waitcnt lgkmcnt(0)
	v_bcnt_u32_b32 v2, v2, v18
	ds_store_b32 v21, v2 offset:128
.LBB87_13:
	s_or_b32 exec_lo, exec_lo, s5
	v_xor_b32_e32 v20, 0x7fffffff, v3
	; wave barrier
	s_delay_alu instid0(VALU_DEP_1) | instskip(NEXT) | instid1(VALU_DEP_1)
	v_lshrrev_b32_e32 v2, s28, v20
	v_and_b32_e32 v2, s33, v2
	s_delay_alu instid0(VALU_DEP_1)
	v_and_b32_e32 v3, 1, v2
	v_lshlrev_b32_e32 v6, 30, v2
	v_lshlrev_b32_e32 v7, 29, v2
	;; [unrolled: 1-line block ×4, first 2 shown]
	v_add_co_u32 v3, s5, v3, -1
	s_delay_alu instid0(VALU_DEP_1)
	v_cndmask_b32_e64 v9, 0, 1, s5
	v_not_b32_e32 v25, v6
	v_cmp_gt_i32_e64 s6, 0, v6
	v_not_b32_e32 v6, v7
	v_lshlrev_b32_e32 v23, 26, v2
	v_cmp_ne_u32_e64 s5, 0, v9
	v_ashrrev_i32_e32 v25, 31, v25
	v_lshlrev_b32_e32 v24, 25, v2
	v_ashrrev_i32_e32 v6, 31, v6
	v_lshlrev_b32_e32 v9, 24, v2
	v_xor_b32_e32 v3, s5, v3
	v_cmp_gt_i32_e64 s5, 0, v7
	v_not_b32_e32 v7, v8
	v_xor_b32_e32 v25, s6, v25
	v_cmp_gt_i32_e64 s6, 0, v8
	v_and_b32_e32 v3, exec_lo, v3
	v_not_b32_e32 v8, v22
	v_ashrrev_i32_e32 v7, 31, v7
	v_xor_b32_e32 v6, s5, v6
	v_cmp_gt_i32_e64 s5, 0, v22
	v_and_b32_e32 v3, v3, v25
	v_not_b32_e32 v22, v23
	v_ashrrev_i32_e32 v8, 31, v8
	v_xor_b32_e32 v7, s6, v7
	v_cmp_gt_i32_e64 s6, 0, v23
	v_and_b32_e32 v3, v3, v6
	;; [unrolled: 5-line block ×3, first 2 shown]
	v_not_b32_e32 v7, v9
	v_ashrrev_i32_e32 v6, 31, v6
	v_xor_b32_e32 v22, s6, v22
	v_lshl_add_u32 v2, v2, 5, v2
	v_and_b32_e32 v3, v3, v8
	v_cmp_gt_i32_e64 s6, 0, v9
	v_ashrrev_i32_e32 v7, 31, v7
	v_xor_b32_e32 v6, s5, v6
	v_add_lshl_u32 v25, v1, v2, 2
	v_and_b32_e32 v3, v3, v22
	s_delay_alu instid0(VALU_DEP_4) | instskip(SKIP_2) | instid1(VALU_DEP_1)
	v_xor_b32_e32 v2, s6, v7
	ds_load_b32 v22, v25 offset:128
	v_and_b32_e32 v3, v3, v6
	; wave barrier
	v_and_b32_e32 v2, v3, v2
	s_delay_alu instid0(VALU_DEP_1) | instskip(SKIP_1) | instid1(VALU_DEP_2)
	v_mbcnt_lo_u32_b32 v23, v2, 0
	v_cmp_ne_u32_e64 s6, 0, v2
	v_cmp_eq_u32_e64 s5, 0, v23
	s_delay_alu instid0(VALU_DEP_1) | instskip(NEXT) | instid1(SALU_CYCLE_1)
	s_and_b32 s6, s6, s5
	s_and_saveexec_b32 s5, s6
	s_cbranch_execz .LBB87_15
; %bb.14:
	s_waitcnt lgkmcnt(0)
	v_bcnt_u32_b32 v2, v2, v22
	ds_store_b32 v25, v2 offset:128
.LBB87_15:
	s_or_b32 exec_lo, exec_lo, s5
	v_xor_b32_e32 v24, 0x7fffffff, v4
	; wave barrier
	v_add_nc_u32_e32 v29, 0x80, v16
	s_delay_alu instid0(VALU_DEP_2) | instskip(NEXT) | instid1(VALU_DEP_1)
	v_lshrrev_b32_e32 v2, s28, v24
	v_and_b32_e32 v2, s33, v2
	s_delay_alu instid0(VALU_DEP_1)
	v_and_b32_e32 v3, 1, v2
	v_lshlrev_b32_e32 v4, 30, v2
	v_lshlrev_b32_e32 v6, 29, v2
	;; [unrolled: 1-line block ×4, first 2 shown]
	v_add_co_u32 v3, s5, v3, -1
	s_delay_alu instid0(VALU_DEP_1)
	v_cndmask_b32_e64 v8, 0, 1, s5
	v_not_b32_e32 v28, v4
	v_cmp_gt_i32_e64 s6, 0, v4
	v_not_b32_e32 v4, v6
	v_lshlrev_b32_e32 v26, 26, v2
	v_cmp_ne_u32_e64 s5, 0, v8
	v_ashrrev_i32_e32 v28, 31, v28
	v_lshlrev_b32_e32 v27, 25, v2
	v_ashrrev_i32_e32 v4, 31, v4
	v_lshlrev_b32_e32 v8, 24, v2
	v_xor_b32_e32 v3, s5, v3
	v_cmp_gt_i32_e64 s5, 0, v6
	v_not_b32_e32 v6, v7
	v_xor_b32_e32 v28, s6, v28
	v_cmp_gt_i32_e64 s6, 0, v7
	v_and_b32_e32 v3, exec_lo, v3
	v_not_b32_e32 v7, v9
	v_ashrrev_i32_e32 v6, 31, v6
	v_xor_b32_e32 v4, s5, v4
	v_cmp_gt_i32_e64 s5, 0, v9
	v_and_b32_e32 v3, v3, v28
	v_not_b32_e32 v9, v26
	v_ashrrev_i32_e32 v7, 31, v7
	v_xor_b32_e32 v6, s6, v6
	v_cmp_gt_i32_e64 s6, 0, v26
	v_and_b32_e32 v3, v3, v4
	;; [unrolled: 5-line block ×3, first 2 shown]
	v_not_b32_e32 v6, v8
	v_ashrrev_i32_e32 v4, 31, v4
	v_xor_b32_e32 v9, s6, v9
	v_lshl_add_u32 v2, v2, 5, v2
	v_and_b32_e32 v3, v3, v7
	v_cmp_gt_i32_e64 s6, 0, v8
	v_ashrrev_i32_e32 v6, 31, v6
	v_xor_b32_e32 v4, s5, v4
	v_add_lshl_u32 v28, v1, v2, 2
	v_and_b32_e32 v3, v3, v9
	s_delay_alu instid0(VALU_DEP_4) | instskip(SKIP_2) | instid1(VALU_DEP_1)
	v_xor_b32_e32 v1, s6, v6
	ds_load_b32 v26, v28 offset:128
	v_and_b32_e32 v2, v3, v4
	; wave barrier
	v_and_b32_e32 v1, v2, v1
	s_delay_alu instid0(VALU_DEP_1) | instskip(SKIP_1) | instid1(VALU_DEP_2)
	v_mbcnt_lo_u32_b32 v27, v1, 0
	v_cmp_ne_u32_e64 s6, 0, v1
	v_cmp_eq_u32_e64 s5, 0, v27
	s_delay_alu instid0(VALU_DEP_1) | instskip(NEXT) | instid1(SALU_CYCLE_1)
	s_and_b32 s6, s6, s5
	s_and_saveexec_b32 s5, s6
	s_cbranch_execz .LBB87_17
; %bb.16:
	s_waitcnt lgkmcnt(0)
	v_bcnt_u32_b32 v1, v1, v26
	ds_store_b32 v28, v1 offset:128
.LBB87_17:
	s_or_b32 exec_lo, exec_lo, s5
	; wave barrier
	s_waitcnt lgkmcnt(0)
	s_barrier
	buffer_gl0_inv
	ds_load_2addr_b32 v[8:9], v16 offset0:32 offset1:33
	ds_load_2addr_b32 v[6:7], v29 offset0:2 offset1:3
	;; [unrolled: 1-line block ×4, first 2 shown]
	ds_load_b32 v30, v29 offset:32
	v_and_b32_e32 v33, 16, v12
	v_and_b32_e32 v34, 31, v5
	s_mov_b32 s11, exec_lo
	s_delay_alu instid0(VALU_DEP_2) | instskip(SKIP_3) | instid1(VALU_DEP_1)
	v_cmp_eq_u32_e64 s9, 0, v33
	s_waitcnt lgkmcnt(3)
	v_add3_u32 v31, v9, v8, v6
	s_waitcnt lgkmcnt(2)
	v_add3_u32 v31, v31, v7, v3
	s_waitcnt lgkmcnt(1)
	s_delay_alu instid0(VALU_DEP_1) | instskip(SKIP_1) | instid1(VALU_DEP_1)
	v_add3_u32 v31, v31, v4, v1
	s_waitcnt lgkmcnt(0)
	v_add3_u32 v30, v31, v2, v30
	v_and_b32_e32 v31, 15, v12
	s_delay_alu instid0(VALU_DEP_2) | instskip(NEXT) | instid1(VALU_DEP_2)
	v_mov_b32_dpp v32, v30 row_shr:1 row_mask:0xf bank_mask:0xf
	v_cmp_eq_u32_e64 s5, 0, v31
	v_cmp_lt_u32_e64 s6, 1, v31
	v_cmp_lt_u32_e64 s7, 3, v31
	;; [unrolled: 1-line block ×3, first 2 shown]
	s_delay_alu instid0(VALU_DEP_4) | instskip(NEXT) | instid1(VALU_DEP_1)
	v_cndmask_b32_e64 v32, v32, 0, s5
	v_add_nc_u32_e32 v30, v32, v30
	s_delay_alu instid0(VALU_DEP_1) | instskip(NEXT) | instid1(VALU_DEP_1)
	v_mov_b32_dpp v32, v30 row_shr:2 row_mask:0xf bank_mask:0xf
	v_cndmask_b32_e64 v32, 0, v32, s6
	s_delay_alu instid0(VALU_DEP_1) | instskip(NEXT) | instid1(VALU_DEP_1)
	v_add_nc_u32_e32 v30, v30, v32
	v_mov_b32_dpp v32, v30 row_shr:4 row_mask:0xf bank_mask:0xf
	s_delay_alu instid0(VALU_DEP_1) | instskip(NEXT) | instid1(VALU_DEP_1)
	v_cndmask_b32_e64 v32, 0, v32, s7
	v_add_nc_u32_e32 v30, v30, v32
	s_delay_alu instid0(VALU_DEP_1) | instskip(NEXT) | instid1(VALU_DEP_1)
	v_mov_b32_dpp v32, v30 row_shr:8 row_mask:0xf bank_mask:0xf
	v_cndmask_b32_e64 v31, 0, v32, s8
	v_bfe_i32 v32, v12, 4, 1
	s_delay_alu instid0(VALU_DEP_2) | instskip(SKIP_4) | instid1(VALU_DEP_2)
	v_add_nc_u32_e32 v30, v30, v31
	ds_swizzle_b32 v31, v30 offset:swizzle(BROADCAST,32,15)
	s_waitcnt lgkmcnt(0)
	v_and_b32_e32 v32, v32, v31
	v_lshrrev_b32_e32 v31, 5, v5
	v_add_nc_u32_e32 v30, v30, v32
	v_cmpx_eq_u32_e32 31, v34
	s_cbranch_execz .LBB87_19
; %bb.18:
	s_delay_alu instid0(VALU_DEP_3)
	v_lshlrev_b32_e32 v32, 2, v31
	ds_store_b32 v32, v30
.LBB87_19:
	s_or_b32 exec_lo, exec_lo, s11
	v_cmp_lt_u32_e64 s10, 31, v5
	s_mov_b32 s35, exec_lo
	s_waitcnt lgkmcnt(0)
	s_barrier
	buffer_gl0_inv
	v_cmpx_gt_u32_e32 32, v5
	s_cbranch_execz .LBB87_21
; %bb.20:
	ds_load_b32 v32, v13
	s_waitcnt lgkmcnt(0)
	v_mov_b32_dpp v33, v32 row_shr:1 row_mask:0xf bank_mask:0xf
	s_delay_alu instid0(VALU_DEP_1) | instskip(NEXT) | instid1(VALU_DEP_1)
	v_cndmask_b32_e64 v33, v33, 0, s5
	v_add_nc_u32_e32 v32, v33, v32
	s_delay_alu instid0(VALU_DEP_1) | instskip(NEXT) | instid1(VALU_DEP_1)
	v_mov_b32_dpp v33, v32 row_shr:2 row_mask:0xf bank_mask:0xf
	v_cndmask_b32_e64 v33, 0, v33, s6
	s_delay_alu instid0(VALU_DEP_1) | instskip(NEXT) | instid1(VALU_DEP_1)
	v_add_nc_u32_e32 v32, v32, v33
	v_mov_b32_dpp v33, v32 row_shr:4 row_mask:0xf bank_mask:0xf
	s_delay_alu instid0(VALU_DEP_1) | instskip(NEXT) | instid1(VALU_DEP_1)
	v_cndmask_b32_e64 v33, 0, v33, s7
	v_add_nc_u32_e32 v32, v32, v33
	s_delay_alu instid0(VALU_DEP_1) | instskip(NEXT) | instid1(VALU_DEP_1)
	v_mov_b32_dpp v33, v32 row_shr:8 row_mask:0xf bank_mask:0xf
	v_cndmask_b32_e64 v33, 0, v33, s8
	s_delay_alu instid0(VALU_DEP_1) | instskip(SKIP_3) | instid1(VALU_DEP_1)
	v_add_nc_u32_e32 v32, v32, v33
	ds_swizzle_b32 v33, v32 offset:swizzle(BROADCAST,32,15)
	s_waitcnt lgkmcnt(0)
	v_cndmask_b32_e64 v33, v33, 0, s9
	v_add_nc_u32_e32 v32, v32, v33
	ds_store_b32 v13, v32
.LBB87_21:
	s_or_b32 exec_lo, exec_lo, s35
	v_mov_b32_e32 v32, 0
	s_waitcnt lgkmcnt(0)
	s_barrier
	buffer_gl0_inv
	s_and_saveexec_b32 s5, s10
	s_cbranch_execz .LBB87_23
; %bb.22:
	v_lshl_add_u32 v31, v31, 2, -4
	ds_load_b32 v32, v31
.LBB87_23:
	s_or_b32 exec_lo, exec_lo, s5
	v_add_nc_u32_e32 v31, -1, v12
	s_waitcnt lgkmcnt(0)
	v_add_nc_u32_e32 v30, v32, v30
	s_delay_alu instid0(VALU_DEP_2) | instskip(NEXT) | instid1(VALU_DEP_1)
	v_cmp_gt_i32_e64 s5, 0, v31
	v_cndmask_b32_e64 v31, v31, v12, s5
	v_cmp_eq_u32_e64 s5, 0, v12
	s_delay_alu instid0(VALU_DEP_2) | instskip(SKIP_4) | instid1(VALU_DEP_1)
	v_lshlrev_b32_e32 v31, 2, v31
	ds_bpermute_b32 v30, v31, v30
	s_waitcnt lgkmcnt(0)
	v_cndmask_b32_e64 v30, v30, v32, s5
	v_cmp_ne_u32_e64 s5, 0, v5
	v_cndmask_b32_e64 v30, 0, v30, s5
	v_cmp_gt_u32_e64 s5, 0x100, v5
	s_delay_alu instid0(VALU_DEP_2) | instskip(NEXT) | instid1(VALU_DEP_1)
	v_add_nc_u32_e32 v8, v30, v8
	v_add_nc_u32_e32 v9, v8, v9
	s_delay_alu instid0(VALU_DEP_1) | instskip(NEXT) | instid1(VALU_DEP_1)
	v_add_nc_u32_e32 v6, v9, v6
	v_add_nc_u32_e32 v7, v6, v7
	s_delay_alu instid0(VALU_DEP_1) | instskip(NEXT) | instid1(VALU_DEP_1)
	;; [unrolled: 3-line block ×3, first 2 shown]
	v_add_nc_u32_e32 v1, v4, v1
	v_add_nc_u32_e32 v2, v1, v2
	ds_store_2addr_b32 v16, v30, v8 offset0:32 offset1:33
	ds_store_2addr_b32 v29, v9, v6 offset0:2 offset1:3
	;; [unrolled: 1-line block ×4, first 2 shown]
	ds_store_b32 v29, v2 offset:32
	s_waitcnt lgkmcnt(0)
	s_barrier
	buffer_gl0_inv
	ds_load_b32 v1, v17 offset:128
	ds_load_b32 v2, v21 offset:128
	;; [unrolled: 1-line block ×4, first 2 shown]
                                        ; implicit-def: $vgpr16
                                        ; implicit-def: $vgpr17
	s_and_saveexec_b32 s7, s5
	s_cbranch_execz .LBB87_27
; %bb.24:
	v_mul_u32_u24_e32 v6, 33, v5
	s_mov_b32 s8, exec_lo
	s_delay_alu instid0(VALU_DEP_1)
	v_dual_mov_b32 v6, 0x1000 :: v_dual_lshlrev_b32 v7, 2, v6
	ds_load_b32 v16, v7 offset:128
	v_cmpx_ne_u32_e32 0xff, v5
	s_cbranch_execz .LBB87_26
; %bb.25:
	ds_load_b32 v6, v7 offset:260
.LBB87_26:
	s_or_b32 exec_lo, exec_lo, s8
	s_waitcnt lgkmcnt(0)
	v_sub_nc_u32_e32 v17, v6, v16
.LBB87_27:
	s_or_b32 exec_lo, exec_lo, s7
	s_waitcnt lgkmcnt(3)
	v_add_nc_u32_e32 v21, v1, v14
	s_waitcnt lgkmcnt(2)
	v_add3_u32 v19, v19, v18, v2
	s_waitcnt lgkmcnt(1)
	v_add3_u32 v18, v23, v22, v3
	;; [unrolled: 2-line block ×3, first 2 shown]
	v_lshlrev_b32_e32 v1, 2, v21
	v_lshlrev_b32_e32 v2, 2, v19
	;; [unrolled: 1-line block ×3, first 2 shown]
	s_delay_alu instid0(VALU_DEP_4)
	v_lshlrev_b32_e32 v4, 2, v14
	s_barrier
	buffer_gl0_inv
	ds_store_b32 v1, v11 offset:2048
	ds_store_b32 v2, v15 offset:2048
	;; [unrolled: 1-line block ×4, first 2 shown]
	s_waitcnt lgkmcnt(0)
	s_barrier
	buffer_gl0_inv
	s_and_saveexec_b32 s7, s5
	s_cbranch_execz .LBB87_37
; %bb.28:
	v_lshl_or_b32 v3, s15, 8, v5
	v_mov_b32_e32 v4, 0
	v_mov_b32_e32 v8, 0
	s_mov_b32 s8, 0
	s_mov_b32 s9, s15
	s_delay_alu instid0(VALU_DEP_2) | instskip(SKIP_1) | instid1(VALU_DEP_2)
	v_lshlrev_b64 v[1:2], 2, v[3:4]
	v_or_b32_e32 v3, 2.0, v17
	v_add_co_u32 v1, s6, s12, v1
	s_delay_alu instid0(VALU_DEP_1)
	v_add_co_ci_u32_e64 v2, s6, s13, v2, s6
                                        ; implicit-def: $sgpr6
	global_store_b32 v[1:2], v3, off
	s_branch .LBB87_30
	.p2align	6
.LBB87_29:                              ;   in Loop: Header=BB87_30 Depth=1
	s_or_b32 exec_lo, exec_lo, s10
	v_and_b32_e32 v6, 0x3fffffff, v9
	v_cmp_eq_u32_e64 s6, 0x80000000, v3
	s_delay_alu instid0(VALU_DEP_2) | instskip(NEXT) | instid1(VALU_DEP_2)
	v_add_nc_u32_e32 v8, v6, v8
	s_and_b32 s10, exec_lo, s6
	s_delay_alu instid0(SALU_CYCLE_1) | instskip(NEXT) | instid1(SALU_CYCLE_1)
	s_or_b32 s8, s10, s8
	s_and_not1_b32 exec_lo, exec_lo, s8
	s_cbranch_execz .LBB87_36
.LBB87_30:                              ; =>This Loop Header: Depth=1
                                        ;     Child Loop BB87_33 Depth 2
	s_or_b32 s6, s6, exec_lo
	s_cmp_eq_u32 s9, 0
	s_cbranch_scc1 .LBB87_35
; %bb.31:                               ;   in Loop: Header=BB87_30 Depth=1
	s_add_i32 s9, s9, -1
	s_mov_b32 s10, exec_lo
	v_lshl_or_b32 v3, s9, 8, v5
	s_delay_alu instid0(VALU_DEP_1) | instskip(NEXT) | instid1(VALU_DEP_1)
	v_lshlrev_b64 v[6:7], 2, v[3:4]
	v_add_co_u32 v6, s6, s12, v6
	s_delay_alu instid0(VALU_DEP_1) | instskip(SKIP_3) | instid1(VALU_DEP_1)
	v_add_co_ci_u32_e64 v7, s6, s13, v7, s6
	global_load_b32 v9, v[6:7], off glc
	s_waitcnt vmcnt(0)
	v_and_b32_e32 v3, -2.0, v9
	v_cmpx_eq_u32_e32 0, v3
	s_cbranch_execz .LBB87_29
; %bb.32:                               ;   in Loop: Header=BB87_30 Depth=1
	s_mov_b32 s11, 0
.LBB87_33:                              ;   Parent Loop BB87_30 Depth=1
                                        ; =>  This Inner Loop Header: Depth=2
	global_load_b32 v9, v[6:7], off glc
	s_waitcnt vmcnt(0)
	v_and_b32_e32 v3, -2.0, v9
	s_delay_alu instid0(VALU_DEP_1) | instskip(NEXT) | instid1(VALU_DEP_1)
	v_cmp_ne_u32_e64 s6, 0, v3
	s_or_b32 s11, s6, s11
	s_delay_alu instid0(SALU_CYCLE_1)
	s_and_not1_b32 exec_lo, exec_lo, s11
	s_cbranch_execnz .LBB87_33
; %bb.34:                               ;   in Loop: Header=BB87_30 Depth=1
	s_or_b32 exec_lo, exec_lo, s11
	s_branch .LBB87_29
.LBB87_35:                              ;   in Loop: Header=BB87_30 Depth=1
                                        ; implicit-def: $sgpr9
	s_and_b32 s10, exec_lo, s6
	s_delay_alu instid0(SALU_CYCLE_1) | instskip(NEXT) | instid1(SALU_CYCLE_1)
	s_or_b32 s8, s10, s8
	s_and_not1_b32 exec_lo, exec_lo, s8
	s_cbranch_execnz .LBB87_30
.LBB87_36:
	s_or_b32 exec_lo, exec_lo, s8
	v_add_nc_u32_e32 v3, v8, v17
	v_lshlrev_b32_e32 v4, 3, v5
	s_delay_alu instid0(VALU_DEP_2) | instskip(SKIP_3) | instid1(VALU_DEP_1)
	v_or_b32_e32 v3, 0x80000000, v3
	global_store_b32 v[1:2], v3, off
	global_load_b64 v[1:2], v4, s[24:25]
	v_sub_co_u32 v3, s6, v8, v16
	v_sub_co_ci_u32_e64 v6, null, 0, 0, s6
	s_waitcnt vmcnt(0)
	s_delay_alu instid0(VALU_DEP_2) | instskip(NEXT) | instid1(VALU_DEP_1)
	v_add_co_u32 v1, s6, v3, v1
	v_add_co_ci_u32_e64 v2, s6, v6, v2, s6
	ds_store_b64 v4, v[1:2]
.LBB87_37:
	s_or_b32 exec_lo, exec_lo, s7
	v_cmp_gt_u32_e64 s6, s34, v5
	s_waitcnt lgkmcnt(0)
	s_waitcnt_vscnt null, 0x0
	s_barrier
	buffer_gl0_inv
	s_and_saveexec_b32 s8, s6
	s_cbranch_execz .LBB87_39
; %bb.38:
	ds_load_b32 v3, v13 offset:2048
	s_waitcnt lgkmcnt(0)
	v_lshrrev_b32_e32 v1, s28, v3
	v_xor_b32_e32 v3, 0x7fffffff, v3
	s_delay_alu instid0(VALU_DEP_2) | instskip(NEXT) | instid1(VALU_DEP_1)
	v_and_b32_e32 v1, s33, v1
	v_lshlrev_b32_e32 v1, 3, v1
	ds_load_b64 v[1:2], v1
	s_waitcnt lgkmcnt(0)
	v_lshlrev_b64 v[1:2], 2, v[1:2]
	s_delay_alu instid0(VALU_DEP_1) | instskip(NEXT) | instid1(VALU_DEP_1)
	v_add_co_u32 v1, s7, s18, v1
	v_add_co_ci_u32_e64 v2, s7, s19, v2, s7
	s_delay_alu instid0(VALU_DEP_2) | instskip(NEXT) | instid1(VALU_DEP_1)
	v_add_co_u32 v1, s7, v1, v13
	v_add_co_ci_u32_e64 v2, s7, 0, v2, s7
	global_store_b32 v[1:2], v3, off
.LBB87_39:
	s_or_b32 exec_lo, exec_lo, s8
	v_or_b32_e32 v15, 0x400, v5
	s_delay_alu instid0(VALU_DEP_1) | instskip(NEXT) | instid1(VALU_DEP_1)
	v_cmp_gt_u32_e64 s7, s34, v15
	s_and_saveexec_b32 s9, s7
	s_cbranch_execz .LBB87_41
; %bb.40:
	ds_load_b32 v3, v13 offset:6144
	v_lshlrev_b32_e32 v4, 2, v15
	s_waitcnt lgkmcnt(0)
	v_lshrrev_b32_e32 v1, s28, v3
	v_xor_b32_e32 v3, 0x7fffffff, v3
	s_delay_alu instid0(VALU_DEP_2) | instskip(NEXT) | instid1(VALU_DEP_1)
	v_and_b32_e32 v1, s33, v1
	v_lshlrev_b32_e32 v1, 3, v1
	ds_load_b64 v[1:2], v1
	s_waitcnt lgkmcnt(0)
	v_lshlrev_b64 v[1:2], 2, v[1:2]
	s_delay_alu instid0(VALU_DEP_1) | instskip(NEXT) | instid1(VALU_DEP_1)
	v_add_co_u32 v1, s8, s18, v1
	v_add_co_ci_u32_e64 v2, s8, s19, v2, s8
	s_delay_alu instid0(VALU_DEP_2) | instskip(NEXT) | instid1(VALU_DEP_1)
	v_add_co_u32 v1, s8, v1, v4
	v_add_co_ci_u32_e64 v2, s8, 0, v2, s8
	global_store_b32 v[1:2], v3, off
.LBB87_41:
	s_or_b32 exec_lo, exec_lo, s9
	v_or_b32_e32 v20, 0x800, v5
	s_delay_alu instid0(VALU_DEP_1) | instskip(NEXT) | instid1(VALU_DEP_1)
	v_cmp_gt_u32_e64 s8, s34, v20
	s_and_saveexec_b32 s10, s8
	s_cbranch_execz .LBB87_43
; %bb.42:
	ds_load_b32 v3, v13 offset:10240
	v_lshlrev_b32_e32 v4, 2, v20
	s_waitcnt lgkmcnt(0)
	v_lshrrev_b32_e32 v1, s28, v3
	v_xor_b32_e32 v3, 0x7fffffff, v3
	s_delay_alu instid0(VALU_DEP_2) | instskip(NEXT) | instid1(VALU_DEP_1)
	v_and_b32_e32 v1, s33, v1
	v_lshlrev_b32_e32 v1, 3, v1
	ds_load_b64 v[1:2], v1
	s_waitcnt lgkmcnt(0)
	v_lshlrev_b64 v[1:2], 2, v[1:2]
	s_delay_alu instid0(VALU_DEP_1) | instskip(NEXT) | instid1(VALU_DEP_1)
	v_add_co_u32 v1, s9, s18, v1
	v_add_co_ci_u32_e64 v2, s9, s19, v2, s9
	s_delay_alu instid0(VALU_DEP_2) | instskip(NEXT) | instid1(VALU_DEP_1)
	v_add_co_u32 v1, s9, v1, v4
	v_add_co_ci_u32_e64 v2, s9, 0, v2, s9
	global_store_b32 v[1:2], v3, off
.LBB87_43:
	;; [unrolled: 26-line block ×3, first 2 shown]
	s_or_b32 exec_lo, exec_lo, s11
	v_lshlrev_b32_e32 v1, 3, v12
	s_lshl_b64 s[10:11], s[30:31], 3
	v_lshlrev_b32_e32 v2, 3, v10
	s_add_u32 s10, s20, s10
	s_addc_u32 s11, s21, s11
	v_add_co_u32 v1, s10, s10, v1
	s_delay_alu instid0(VALU_DEP_1) | instskip(NEXT) | instid1(VALU_DEP_2)
	v_add_co_ci_u32_e64 v3, null, s11, 0, s10
	v_add_co_u32 v10, s10, v1, v2
	s_delay_alu instid0(VALU_DEP_1) | instskip(SKIP_1) | instid1(SALU_CYCLE_1)
	v_add_co_ci_u32_e64 v11, s10, 0, v3, s10
                                        ; implicit-def: $vgpr1_vgpr2
	s_and_saveexec_b32 s10, vcc_lo
	s_xor_b32 s10, exec_lo, s10
	s_cbranch_execnz .LBB87_103
; %bb.46:
	s_or_b32 exec_lo, exec_lo, s10
                                        ; implicit-def: $vgpr3_vgpr4
	s_and_saveexec_b32 s10, s2
	s_cbranch_execnz .LBB87_104
.LBB87_47:
	s_or_b32 exec_lo, exec_lo, s10
                                        ; implicit-def: $vgpr6_vgpr7
	s_and_saveexec_b32 s2, s3
	s_cbranch_execnz .LBB87_105
.LBB87_48:
	s_or_b32 exec_lo, exec_lo, s2
                                        ; implicit-def: $vgpr8_vgpr9
	s_and_saveexec_b32 s2, s4
	s_cbranch_execz .LBB87_50
.LBB87_49:
	global_load_b64 v[8:9], v[10:11], off offset:768
.LBB87_50:
	s_or_b32 exec_lo, exec_lo, s2
	v_dual_mov_b32 v11, 0 :: v_dual_mov_b32 v24, 0
	s_and_saveexec_b32 s2, s6
	s_cbranch_execz .LBB87_52
; %bb.51:
	ds_load_b32 v10, v13 offset:2048
	s_waitcnt lgkmcnt(0)
	v_lshrrev_b32_e32 v10, s28, v10
	s_delay_alu instid0(VALU_DEP_1)
	v_and_b32_e32 v24, s33, v10
.LBB87_52:
	s_or_b32 exec_lo, exec_lo, s2
	s_and_saveexec_b32 s2, s7
	s_cbranch_execz .LBB87_54
; %bb.53:
	ds_load_b32 v10, v13 offset:6144
	s_waitcnt lgkmcnt(0)
	v_lshrrev_b32_e32 v10, s28, v10
	s_delay_alu instid0(VALU_DEP_1)
	v_and_b32_e32 v11, s33, v10
.LBB87_54:
	s_or_b32 exec_lo, exec_lo, s2
	v_dual_mov_b32 v10, 0 :: v_dual_mov_b32 v23, 0
	s_and_saveexec_b32 s2, s8
	s_cbranch_execz .LBB87_56
; %bb.55:
	ds_load_b32 v23, v13 offset:10240
	s_waitcnt lgkmcnt(0)
	v_lshrrev_b32_e32 v23, s28, v23
	s_delay_alu instid0(VALU_DEP_1)
	v_and_b32_e32 v23, s33, v23
.LBB87_56:
	s_or_b32 exec_lo, exec_lo, s2
	s_and_saveexec_b32 s2, s9
	s_cbranch_execz .LBB87_58
; %bb.57:
	ds_load_b32 v10, v13 offset:14336
	s_waitcnt lgkmcnt(0)
	v_lshrrev_b32_e32 v10, s28, v10
	s_delay_alu instid0(VALU_DEP_1)
	v_and_b32_e32 v10, s33, v10
.LBB87_58:
	s_or_b32 exec_lo, exec_lo, s2
	v_lshlrev_b32_e32 v13, 3, v21
	v_lshlrev_b32_e32 v19, 3, v19
	;; [unrolled: 1-line block ×3, first 2 shown]
	s_waitcnt vmcnt(0)
	s_waitcnt_vscnt null, 0x0
	s_barrier
	buffer_gl0_inv
	v_lshlrev_b32_e32 v14, 3, v14
	ds_store_b64 v13, v[1:2] offset:2048
	ds_store_b64 v19, v[3:4] offset:2048
	ds_store_b64 v18, v[6:7] offset:2048
	v_lshlrev_b32_e32 v1, 3, v5
	ds_store_b64 v14, v[8:9] offset:2048
	s_waitcnt lgkmcnt(0)
	s_barrier
	buffer_gl0_inv
	s_and_saveexec_b32 s2, s6
	s_cbranch_execnz .LBB87_106
; %bb.59:
	s_or_b32 exec_lo, exec_lo, s2
	s_and_saveexec_b32 s2, s7
	s_cbranch_execnz .LBB87_107
.LBB87_60:
	s_or_b32 exec_lo, exec_lo, s2
	s_and_saveexec_b32 s2, s8
	s_cbranch_execnz .LBB87_108
.LBB87_61:
	s_or_b32 exec_lo, exec_lo, s2
	s_and_saveexec_b32 s2, s9
	s_cbranch_execz .LBB87_63
.LBB87_62:
	v_lshlrev_b32_e32 v2, 3, v10
	ds_load_b64 v[2:3], v2
	ds_load_b64 v[6:7], v1 offset:26624
	s_waitcnt lgkmcnt(1)
	v_lshlrev_b64 v[1:2], 3, v[2:3]
	v_lshlrev_b32_e32 v3, 3, v22
	s_delay_alu instid0(VALU_DEP_2) | instskip(NEXT) | instid1(VALU_DEP_3)
	v_add_co_u32 v1, vcc_lo, s22, v1
	v_add_co_ci_u32_e32 v2, vcc_lo, s23, v2, vcc_lo
	s_delay_alu instid0(VALU_DEP_2) | instskip(NEXT) | instid1(VALU_DEP_2)
	v_add_co_u32 v1, vcc_lo, v1, v3
	v_add_co_ci_u32_e32 v2, vcc_lo, 0, v2, vcc_lo
	s_waitcnt lgkmcnt(0)
	global_store_b64 v[1:2], v[6:7], off
.LBB87_63:
	s_or_b32 exec_lo, exec_lo, s2
	s_add_i32 s14, s14, -1
	s_mov_b32 s2, 0
	s_cmp_eq_u32 s15, s14
	s_mov_b32 s8, 0
	s_cselect_b32 s3, -1, 0
                                        ; implicit-def: $vgpr2_vgpr3
	s_delay_alu instid0(SALU_CYCLE_1) | instskip(NEXT) | instid1(SALU_CYCLE_1)
	s_and_b32 s3, s5, s3
	s_and_saveexec_b32 s4, s3
	s_delay_alu instid0(SALU_CYCLE_1)
	s_xor_b32 s3, exec_lo, s4
; %bb.64:
	v_add_co_u32 v2, s4, v16, v17
	v_mov_b32_e32 v6, 0
	v_add_co_ci_u32_e64 v3, null, 0, 0, s4
	s_mov_b32 s8, exec_lo
; %bb.65:
	s_or_b32 exec_lo, exec_lo, s3
	s_delay_alu instid0(SALU_CYCLE_1)
	s_and_b32 vcc_lo, exec_lo, s2
	s_cbranch_vccnz .LBB87_67
	s_branch .LBB87_100
.LBB87_66:
	s_mov_b32 s8, 0
                                        ; implicit-def: $vgpr2_vgpr3
	s_cbranch_execz .LBB87_100
.LBB87_67:
	v_dual_mov_b32 v9, 0 :: v_dual_lshlrev_b32 v4, 2, v5
	s_lshl_b32 s6, s15, 12
	s_mov_b32 s7, 0
	v_lshlrev_b32_e32 v1, 2, v12
	s_delay_alu instid0(VALU_DEP_2) | instskip(SKIP_1) | instid1(SALU_CYCLE_1)
	v_and_b32_e32 v10, 0xf80, v4
	s_lshl_b64 s[2:3], s[6:7], 2
	s_add_u32 s2, s16, s2
	s_addc_u32 s3, s17, s3
	s_delay_alu instid0(VALU_DEP_1) | instskip(SKIP_1) | instid1(VALU_DEP_1)
	v_lshlrev_b32_e32 v2, 2, v10
	v_add_co_u32 v1, s2, s2, v1
	v_add_co_ci_u32_e64 v3, null, s3, 0, s2
	s_delay_alu instid0(VALU_DEP_2) | instskip(NEXT) | instid1(VALU_DEP_2)
	v_add_co_u32 v6, vcc_lo, v1, v2
	v_add_co_ci_u32_e32 v7, vcc_lo, 0, v3, vcc_lo
	global_load_b32 v8, v[6:7], off
	s_clause 0x1
	s_load_b32 s2, s[0:1], 0x5c
	s_load_b32 s9, s[0:1], 0x50
	s_add_u32 s0, s0, 0x50
	s_addc_u32 s1, s1, 0
	s_waitcnt lgkmcnt(0)
	s_lshr_b32 s2, s2, 16
	s_cmp_lt_u32 s15, s9
	s_cselect_b32 s3, 12, 18
	s_delay_alu instid0(SALU_CYCLE_1)
	s_add_u32 s0, s0, s3
	s_addc_u32 s1, s1, 0
	global_load_u16 v13, v9, s[0:1]
	s_clause 0x2
	global_load_b32 v3, v[6:7], off offset:128
	global_load_b32 v2, v[6:7], off offset:256
	;; [unrolled: 1-line block ×3, first 2 shown]
	s_lshl_b32 s0, -1, s29
	s_delay_alu instid0(SALU_CYCLE_1) | instskip(SKIP_2) | instid1(VALU_DEP_1)
	s_not_b32 s10, s0
	s_waitcnt vmcnt(4)
	v_xor_b32_e32 v11, 0x7fffffff, v8
	v_lshrrev_b32_e32 v6, s28, v11
	s_delay_alu instid0(VALU_DEP_1) | instskip(SKIP_2) | instid1(VALU_DEP_3)
	v_and_b32_e32 v14, s10, v6
	v_bfe_u32 v6, v0, 10, 10
	v_bfe_u32 v0, v0, 20, 10
	v_and_b32_e32 v7, 1, v14
	v_lshlrev_b32_e32 v8, 30, v14
	v_lshlrev_b32_e32 v15, 29, v14
	;; [unrolled: 1-line block ×4, first 2 shown]
	v_add_co_u32 v7, s0, v7, -1
	s_delay_alu instid0(VALU_DEP_1)
	v_cndmask_b32_e64 v17, 0, 1, s0
	v_not_b32_e32 v21, v8
	v_cmp_gt_i32_e64 s0, 0, v8
	v_not_b32_e32 v8, v15
	v_lshlrev_b32_e32 v19, 26, v14
	v_cmp_ne_u32_e32 vcc_lo, 0, v17
	v_ashrrev_i32_e32 v21, 31, v21
	v_lshlrev_b32_e32 v20, 25, v14
	v_ashrrev_i32_e32 v8, 31, v8
	v_lshlrev_b32_e32 v17, 24, v14
	v_xor_b32_e32 v7, vcc_lo, v7
	v_cmp_gt_i32_e32 vcc_lo, 0, v15
	v_not_b32_e32 v15, v16
	v_xor_b32_e32 v21, s0, v21
	v_cmp_gt_i32_e64 s0, 0, v16
	v_and_b32_e32 v7, exec_lo, v7
	v_not_b32_e32 v16, v18
	v_ashrrev_i32_e32 v15, 31, v15
	v_xor_b32_e32 v8, vcc_lo, v8
	v_cmp_gt_i32_e32 vcc_lo, 0, v18
	v_and_b32_e32 v7, v7, v21
	v_not_b32_e32 v18, v19
	v_ashrrev_i32_e32 v16, 31, v16
	v_xor_b32_e32 v15, s0, v15
	v_cmp_gt_i32_e64 s0, 0, v19
	v_and_b32_e32 v7, v7, v8
	v_not_b32_e32 v8, v20
	v_ashrrev_i32_e32 v18, 31, v18
	v_xor_b32_e32 v16, vcc_lo, v16
	v_cmp_gt_i32_e32 vcc_lo, 0, v20
	v_and_b32_e32 v7, v7, v15
	v_not_b32_e32 v15, v17
	v_ashrrev_i32_e32 v8, 31, v8
	v_xor_b32_e32 v18, s0, v18
	v_cmp_gt_i32_e64 s0, 0, v17
	v_and_b32_e32 v7, v7, v16
	v_ashrrev_i32_e32 v15, 31, v15
	v_xor_b32_e32 v8, vcc_lo, v8
	v_mad_u32_u24 v0, v0, s2, v6
	v_mul_u32_u24_e32 v16, 9, v5
	v_and_b32_e32 v7, v7, v18
	v_xor_b32_e32 v6, s0, v15
	s_delay_alu instid0(VALU_DEP_3) | instskip(NEXT) | instid1(VALU_DEP_3)
	v_lshlrev_b32_e32 v15, 2, v16
	v_and_b32_e32 v17, v7, v8
	s_waitcnt vmcnt(3)
	s_delay_alu instid0(VALU_DEP_3)
	v_mad_u64_u32 v[7:8], null, v0, v13, v[5:6]
	v_lshl_add_u32 v8, v14, 5, v14
	ds_store_2addr_b32 v15, v9, v9 offset0:32 offset1:33
	ds_store_2addr_b32 v15, v9, v9 offset0:34 offset1:35
	;; [unrolled: 1-line block ×4, first 2 shown]
	v_and_b32_e32 v6, v17, v6
	ds_store_b32 v15, v9 offset:160
	s_waitcnt vmcnt(0) lgkmcnt(0)
	s_waitcnt_vscnt null, 0x0
	s_barrier
	v_lshrrev_b32_e32 v0, 5, v7
	v_mbcnt_lo_u32_b32 v13, v6, 0
	v_cmp_ne_u32_e64 s0, 0, v6
	buffer_gl0_inv
	v_add_lshl_u32 v16, v0, v8, 2
	v_cmp_eq_u32_e32 vcc_lo, 0, v13
	; wave barrier
	s_and_b32 s1, s0, vcc_lo
	s_delay_alu instid0(SALU_CYCLE_1)
	s_and_saveexec_b32 s0, s1
	s_cbranch_execz .LBB87_69
; %bb.68:
	v_bcnt_u32_b32 v6, v6, 0
	ds_store_b32 v16, v6 offset:128
.LBB87_69:
	s_or_b32 exec_lo, exec_lo, s0
	v_xor_b32_e32 v14, 0x7fffffff, v3
	; wave barrier
	s_delay_alu instid0(VALU_DEP_1) | instskip(NEXT) | instid1(VALU_DEP_1)
	v_lshrrev_b32_e32 v3, s28, v14
	v_and_b32_e32 v3, s10, v3
	s_delay_alu instid0(VALU_DEP_1)
	v_and_b32_e32 v6, 1, v3
	v_lshlrev_b32_e32 v7, 30, v3
	v_lshlrev_b32_e32 v8, 29, v3
	;; [unrolled: 1-line block ×4, first 2 shown]
	v_add_co_u32 v6, s0, v6, -1
	s_delay_alu instid0(VALU_DEP_1)
	v_cndmask_b32_e64 v17, 0, 1, s0
	v_not_b32_e32 v21, v7
	v_cmp_gt_i32_e64 s0, 0, v7
	v_not_b32_e32 v7, v8
	v_lshlrev_b32_e32 v19, 26, v3
	v_cmp_ne_u32_e32 vcc_lo, 0, v17
	v_ashrrev_i32_e32 v21, 31, v21
	v_lshlrev_b32_e32 v20, 25, v3
	v_ashrrev_i32_e32 v7, 31, v7
	v_lshlrev_b32_e32 v17, 24, v3
	v_xor_b32_e32 v6, vcc_lo, v6
	v_cmp_gt_i32_e32 vcc_lo, 0, v8
	v_not_b32_e32 v8, v9
	v_xor_b32_e32 v21, s0, v21
	v_cmp_gt_i32_e64 s0, 0, v9
	v_and_b32_e32 v6, exec_lo, v6
	v_not_b32_e32 v9, v18
	v_ashrrev_i32_e32 v8, 31, v8
	v_xor_b32_e32 v7, vcc_lo, v7
	v_cmp_gt_i32_e32 vcc_lo, 0, v18
	v_and_b32_e32 v6, v6, v21
	v_not_b32_e32 v18, v19
	v_ashrrev_i32_e32 v9, 31, v9
	v_xor_b32_e32 v8, s0, v8
	v_cmp_gt_i32_e64 s0, 0, v19
	v_and_b32_e32 v6, v6, v7
	v_not_b32_e32 v7, v20
	v_ashrrev_i32_e32 v18, 31, v18
	v_xor_b32_e32 v9, vcc_lo, v9
	v_cmp_gt_i32_e32 vcc_lo, 0, v20
	v_and_b32_e32 v6, v6, v8
	v_not_b32_e32 v8, v17
	v_ashrrev_i32_e32 v7, 31, v7
	v_xor_b32_e32 v18, s0, v18
	v_lshl_add_u32 v3, v3, 5, v3
	v_and_b32_e32 v6, v6, v9
	v_cmp_gt_i32_e64 s0, 0, v17
	v_ashrrev_i32_e32 v8, 31, v8
	v_xor_b32_e32 v7, vcc_lo, v7
	v_add_lshl_u32 v20, v0, v3, 2
	v_and_b32_e32 v6, v6, v18
	s_delay_alu instid0(VALU_DEP_4) | instskip(SKIP_2) | instid1(VALU_DEP_1)
	v_xor_b32_e32 v3, s0, v8
	ds_load_b32 v17, v20 offset:128
	v_and_b32_e32 v6, v6, v7
	; wave barrier
	v_and_b32_e32 v3, v6, v3
	s_delay_alu instid0(VALU_DEP_1) | instskip(SKIP_1) | instid1(VALU_DEP_2)
	v_mbcnt_lo_u32_b32 v18, v3, 0
	v_cmp_ne_u32_e64 s0, 0, v3
	v_cmp_eq_u32_e32 vcc_lo, 0, v18
	s_delay_alu instid0(VALU_DEP_2) | instskip(NEXT) | instid1(SALU_CYCLE_1)
	s_and_b32 s1, s0, vcc_lo
	s_and_saveexec_b32 s0, s1
	s_cbranch_execz .LBB87_71
; %bb.70:
	s_waitcnt lgkmcnt(0)
	v_bcnt_u32_b32 v3, v3, v17
	ds_store_b32 v20, v3 offset:128
.LBB87_71:
	s_or_b32 exec_lo, exec_lo, s0
	v_xor_b32_e32 v19, 0x7fffffff, v2
	; wave barrier
	s_delay_alu instid0(VALU_DEP_1) | instskip(NEXT) | instid1(VALU_DEP_1)
	v_lshrrev_b32_e32 v2, s28, v19
	v_and_b32_e32 v2, s10, v2
	s_delay_alu instid0(VALU_DEP_1)
	v_and_b32_e32 v3, 1, v2
	v_lshlrev_b32_e32 v6, 30, v2
	v_lshlrev_b32_e32 v7, 29, v2
	;; [unrolled: 1-line block ×4, first 2 shown]
	v_add_co_u32 v3, s0, v3, -1
	s_delay_alu instid0(VALU_DEP_1)
	v_cndmask_b32_e64 v9, 0, 1, s0
	v_not_b32_e32 v24, v6
	v_cmp_gt_i32_e64 s0, 0, v6
	v_not_b32_e32 v6, v7
	v_lshlrev_b32_e32 v22, 26, v2
	v_cmp_ne_u32_e32 vcc_lo, 0, v9
	v_ashrrev_i32_e32 v24, 31, v24
	v_lshlrev_b32_e32 v23, 25, v2
	v_ashrrev_i32_e32 v6, 31, v6
	v_lshlrev_b32_e32 v9, 24, v2
	v_xor_b32_e32 v3, vcc_lo, v3
	v_cmp_gt_i32_e32 vcc_lo, 0, v7
	v_not_b32_e32 v7, v8
	v_xor_b32_e32 v24, s0, v24
	v_cmp_gt_i32_e64 s0, 0, v8
	v_and_b32_e32 v3, exec_lo, v3
	v_not_b32_e32 v8, v21
	v_ashrrev_i32_e32 v7, 31, v7
	v_xor_b32_e32 v6, vcc_lo, v6
	v_cmp_gt_i32_e32 vcc_lo, 0, v21
	v_and_b32_e32 v3, v3, v24
	v_not_b32_e32 v21, v22
	v_ashrrev_i32_e32 v8, 31, v8
	v_xor_b32_e32 v7, s0, v7
	v_cmp_gt_i32_e64 s0, 0, v22
	v_and_b32_e32 v3, v3, v6
	v_not_b32_e32 v6, v23
	v_ashrrev_i32_e32 v21, 31, v21
	v_xor_b32_e32 v8, vcc_lo, v8
	v_cmp_gt_i32_e32 vcc_lo, 0, v23
	v_and_b32_e32 v3, v3, v7
	v_not_b32_e32 v7, v9
	v_ashrrev_i32_e32 v6, 31, v6
	v_xor_b32_e32 v21, s0, v21
	v_lshl_add_u32 v2, v2, 5, v2
	v_and_b32_e32 v3, v3, v8
	v_cmp_gt_i32_e64 s0, 0, v9
	v_ashrrev_i32_e32 v7, 31, v7
	v_xor_b32_e32 v6, vcc_lo, v6
	v_add_lshl_u32 v24, v0, v2, 2
	v_and_b32_e32 v3, v3, v21
	s_delay_alu instid0(VALU_DEP_4) | instskip(SKIP_2) | instid1(VALU_DEP_1)
	v_xor_b32_e32 v2, s0, v7
	ds_load_b32 v21, v24 offset:128
	v_and_b32_e32 v3, v3, v6
	; wave barrier
	v_and_b32_e32 v2, v3, v2
	s_delay_alu instid0(VALU_DEP_1) | instskip(SKIP_1) | instid1(VALU_DEP_2)
	v_mbcnt_lo_u32_b32 v22, v2, 0
	v_cmp_ne_u32_e64 s0, 0, v2
	v_cmp_eq_u32_e32 vcc_lo, 0, v22
	s_delay_alu instid0(VALU_DEP_2) | instskip(NEXT) | instid1(SALU_CYCLE_1)
	s_and_b32 s1, s0, vcc_lo
	s_and_saveexec_b32 s0, s1
	s_cbranch_execz .LBB87_73
; %bb.72:
	s_waitcnt lgkmcnt(0)
	v_bcnt_u32_b32 v2, v2, v21
	ds_store_b32 v24, v2 offset:128
.LBB87_73:
	s_or_b32 exec_lo, exec_lo, s0
	v_xor_b32_e32 v23, 0x7fffffff, v1
	; wave barrier
	v_add_nc_u32_e32 v28, 0x80, v15
	s_delay_alu instid0(VALU_DEP_2) | instskip(NEXT) | instid1(VALU_DEP_1)
	v_lshrrev_b32_e32 v1, s28, v23
	v_and_b32_e32 v1, s10, v1
	s_delay_alu instid0(VALU_DEP_1)
	v_and_b32_e32 v2, 1, v1
	v_lshlrev_b32_e32 v3, 30, v1
	v_lshlrev_b32_e32 v6, 29, v1
	;; [unrolled: 1-line block ×4, first 2 shown]
	v_add_co_u32 v2, s0, v2, -1
	s_delay_alu instid0(VALU_DEP_1)
	v_cndmask_b32_e64 v8, 0, 1, s0
	v_not_b32_e32 v27, v3
	v_cmp_gt_i32_e64 s0, 0, v3
	v_not_b32_e32 v3, v6
	v_lshlrev_b32_e32 v25, 26, v1
	v_cmp_ne_u32_e32 vcc_lo, 0, v8
	v_ashrrev_i32_e32 v27, 31, v27
	v_lshlrev_b32_e32 v26, 25, v1
	v_ashrrev_i32_e32 v3, 31, v3
	v_lshlrev_b32_e32 v8, 24, v1
	v_xor_b32_e32 v2, vcc_lo, v2
	v_cmp_gt_i32_e32 vcc_lo, 0, v6
	v_not_b32_e32 v6, v7
	v_xor_b32_e32 v27, s0, v27
	v_cmp_gt_i32_e64 s0, 0, v7
	v_and_b32_e32 v2, exec_lo, v2
	v_not_b32_e32 v7, v9
	v_ashrrev_i32_e32 v6, 31, v6
	v_xor_b32_e32 v3, vcc_lo, v3
	v_cmp_gt_i32_e32 vcc_lo, 0, v9
	v_and_b32_e32 v2, v2, v27
	v_not_b32_e32 v9, v25
	v_ashrrev_i32_e32 v7, 31, v7
	v_xor_b32_e32 v6, s0, v6
	v_cmp_gt_i32_e64 s0, 0, v25
	v_and_b32_e32 v2, v2, v3
	v_not_b32_e32 v3, v26
	v_ashrrev_i32_e32 v9, 31, v9
	v_xor_b32_e32 v7, vcc_lo, v7
	v_cmp_gt_i32_e32 vcc_lo, 0, v26
	v_and_b32_e32 v2, v2, v6
	v_not_b32_e32 v6, v8
	v_ashrrev_i32_e32 v3, 31, v3
	v_xor_b32_e32 v9, s0, v9
	v_lshl_add_u32 v1, v1, 5, v1
	v_and_b32_e32 v2, v2, v7
	v_cmp_gt_i32_e64 s0, 0, v8
	v_ashrrev_i32_e32 v6, 31, v6
	v_xor_b32_e32 v3, vcc_lo, v3
	v_add_lshl_u32 v27, v0, v1, 2
	v_and_b32_e32 v2, v2, v9
	s_delay_alu instid0(VALU_DEP_4) | instskip(SKIP_2) | instid1(VALU_DEP_1)
	v_xor_b32_e32 v0, s0, v6
	ds_load_b32 v25, v27 offset:128
	v_and_b32_e32 v1, v2, v3
	; wave barrier
	v_and_b32_e32 v0, v1, v0
	s_delay_alu instid0(VALU_DEP_1) | instskip(SKIP_1) | instid1(VALU_DEP_2)
	v_mbcnt_lo_u32_b32 v26, v0, 0
	v_cmp_ne_u32_e64 s0, 0, v0
	v_cmp_eq_u32_e32 vcc_lo, 0, v26
	s_delay_alu instid0(VALU_DEP_2) | instskip(NEXT) | instid1(SALU_CYCLE_1)
	s_and_b32 s1, s0, vcc_lo
	s_and_saveexec_b32 s0, s1
	s_cbranch_execz .LBB87_75
; %bb.74:
	s_waitcnt lgkmcnt(0)
	v_bcnt_u32_b32 v0, v0, v25
	ds_store_b32 v27, v0 offset:128
.LBB87_75:
	s_or_b32 exec_lo, exec_lo, s0
	; wave barrier
	s_waitcnt lgkmcnt(0)
	s_barrier
	buffer_gl0_inv
	ds_load_2addr_b32 v[8:9], v15 offset0:32 offset1:33
	ds_load_2addr_b32 v[6:7], v28 offset0:2 offset1:3
	;; [unrolled: 1-line block ×4, first 2 shown]
	ds_load_b32 v29, v28 offset:32
	v_and_b32_e32 v32, 16, v12
	v_and_b32_e32 v33, 31, v5
	s_mov_b32 s5, exec_lo
	s_delay_alu instid0(VALU_DEP_2) | instskip(SKIP_3) | instid1(VALU_DEP_1)
	v_cmp_eq_u32_e64 s3, 0, v32
	s_waitcnt lgkmcnt(3)
	v_add3_u32 v30, v9, v8, v6
	s_waitcnt lgkmcnt(2)
	v_add3_u32 v30, v30, v7, v2
	s_waitcnt lgkmcnt(1)
	s_delay_alu instid0(VALU_DEP_1) | instskip(SKIP_1) | instid1(VALU_DEP_1)
	v_add3_u32 v30, v30, v3, v0
	s_waitcnt lgkmcnt(0)
	v_add3_u32 v29, v30, v1, v29
	v_and_b32_e32 v30, 15, v12
	s_delay_alu instid0(VALU_DEP_2) | instskip(NEXT) | instid1(VALU_DEP_2)
	v_mov_b32_dpp v31, v29 row_shr:1 row_mask:0xf bank_mask:0xf
	v_cmp_eq_u32_e32 vcc_lo, 0, v30
	v_cmp_lt_u32_e64 s0, 1, v30
	v_cmp_lt_u32_e64 s1, 3, v30
	;; [unrolled: 1-line block ×3, first 2 shown]
	v_cndmask_b32_e64 v31, v31, 0, vcc_lo
	s_delay_alu instid0(VALU_DEP_1) | instskip(NEXT) | instid1(VALU_DEP_1)
	v_add_nc_u32_e32 v29, v31, v29
	v_mov_b32_dpp v31, v29 row_shr:2 row_mask:0xf bank_mask:0xf
	s_delay_alu instid0(VALU_DEP_1) | instskip(NEXT) | instid1(VALU_DEP_1)
	v_cndmask_b32_e64 v31, 0, v31, s0
	v_add_nc_u32_e32 v29, v29, v31
	s_delay_alu instid0(VALU_DEP_1) | instskip(NEXT) | instid1(VALU_DEP_1)
	v_mov_b32_dpp v31, v29 row_shr:4 row_mask:0xf bank_mask:0xf
	v_cndmask_b32_e64 v31, 0, v31, s1
	s_delay_alu instid0(VALU_DEP_1) | instskip(NEXT) | instid1(VALU_DEP_1)
	v_add_nc_u32_e32 v29, v29, v31
	v_mov_b32_dpp v31, v29 row_shr:8 row_mask:0xf bank_mask:0xf
	s_delay_alu instid0(VALU_DEP_1) | instskip(SKIP_1) | instid1(VALU_DEP_2)
	v_cndmask_b32_e64 v30, 0, v31, s2
	v_bfe_i32 v31, v12, 4, 1
	v_add_nc_u32_e32 v29, v29, v30
	ds_swizzle_b32 v30, v29 offset:swizzle(BROADCAST,32,15)
	s_waitcnt lgkmcnt(0)
	v_and_b32_e32 v31, v31, v30
	v_lshrrev_b32_e32 v30, 5, v5
	s_delay_alu instid0(VALU_DEP_2)
	v_add_nc_u32_e32 v29, v29, v31
	v_cmpx_eq_u32_e32 31, v33
	s_cbranch_execz .LBB87_77
; %bb.76:
	s_delay_alu instid0(VALU_DEP_3)
	v_lshlrev_b32_e32 v31, 2, v30
	ds_store_b32 v31, v29
.LBB87_77:
	s_or_b32 exec_lo, exec_lo, s5
	v_cmp_lt_u32_e64 s4, 31, v5
	s_mov_b32 s11, exec_lo
	s_waitcnt lgkmcnt(0)
	s_barrier
	buffer_gl0_inv
	v_cmpx_gt_u32_e32 32, v5
	s_cbranch_execz .LBB87_79
; %bb.78:
	ds_load_b32 v31, v4
	s_waitcnt lgkmcnt(0)
	v_mov_b32_dpp v32, v31 row_shr:1 row_mask:0xf bank_mask:0xf
	s_delay_alu instid0(VALU_DEP_1) | instskip(NEXT) | instid1(VALU_DEP_1)
	v_cndmask_b32_e64 v32, v32, 0, vcc_lo
	v_add_nc_u32_e32 v31, v32, v31
	s_delay_alu instid0(VALU_DEP_1) | instskip(NEXT) | instid1(VALU_DEP_1)
	v_mov_b32_dpp v32, v31 row_shr:2 row_mask:0xf bank_mask:0xf
	v_cndmask_b32_e64 v32, 0, v32, s0
	s_delay_alu instid0(VALU_DEP_1) | instskip(NEXT) | instid1(VALU_DEP_1)
	v_add_nc_u32_e32 v31, v31, v32
	v_mov_b32_dpp v32, v31 row_shr:4 row_mask:0xf bank_mask:0xf
	s_delay_alu instid0(VALU_DEP_1) | instskip(NEXT) | instid1(VALU_DEP_1)
	v_cndmask_b32_e64 v32, 0, v32, s1
	v_add_nc_u32_e32 v31, v31, v32
	s_delay_alu instid0(VALU_DEP_1) | instskip(NEXT) | instid1(VALU_DEP_1)
	v_mov_b32_dpp v32, v31 row_shr:8 row_mask:0xf bank_mask:0xf
	v_cndmask_b32_e64 v32, 0, v32, s2
	s_delay_alu instid0(VALU_DEP_1) | instskip(SKIP_3) | instid1(VALU_DEP_1)
	v_add_nc_u32_e32 v31, v31, v32
	ds_swizzle_b32 v32, v31 offset:swizzle(BROADCAST,32,15)
	s_waitcnt lgkmcnt(0)
	v_cndmask_b32_e64 v32, v32, 0, s3
	v_add_nc_u32_e32 v31, v31, v32
	ds_store_b32 v4, v31
.LBB87_79:
	s_or_b32 exec_lo, exec_lo, s11
	v_mov_b32_e32 v31, 0
	s_waitcnt lgkmcnt(0)
	s_barrier
	buffer_gl0_inv
	s_and_saveexec_b32 s0, s4
	s_cbranch_execz .LBB87_81
; %bb.80:
	v_lshl_add_u32 v30, v30, 2, -4
	ds_load_b32 v31, v30
.LBB87_81:
	s_or_b32 exec_lo, exec_lo, s0
	v_add_nc_u32_e32 v30, -1, v12
	v_cmp_lt_u32_e64 s0, 0xff, v5
	s_waitcnt lgkmcnt(0)
	v_add_nc_u32_e32 v29, v31, v29
	s_delay_alu instid0(VALU_DEP_3) | instskip(SKIP_2) | instid1(VALU_DEP_2)
	v_cmp_gt_i32_e32 vcc_lo, 0, v30
	v_cndmask_b32_e32 v30, v30, v12, vcc_lo
	v_cmp_eq_u32_e32 vcc_lo, 0, v12
	v_lshlrev_b32_e32 v30, 2, v30
	ds_bpermute_b32 v29, v30, v29
	s_waitcnt lgkmcnt(0)
	v_cndmask_b32_e32 v29, v29, v31, vcc_lo
	v_cmp_ne_u32_e32 vcc_lo, 0, v5
	s_delay_alu instid0(VALU_DEP_2) | instskip(SKIP_1) | instid1(VALU_DEP_2)
	v_cndmask_b32_e32 v29, 0, v29, vcc_lo
	v_cmp_gt_u32_e32 vcc_lo, 0x100, v5
	v_add_nc_u32_e32 v8, v29, v8
	s_delay_alu instid0(VALU_DEP_1) | instskip(NEXT) | instid1(VALU_DEP_1)
	v_add_nc_u32_e32 v9, v8, v9
	v_add_nc_u32_e32 v6, v9, v6
	s_delay_alu instid0(VALU_DEP_1) | instskip(NEXT) | instid1(VALU_DEP_1)
	v_add_nc_u32_e32 v7, v6, v7
	;; [unrolled: 3-line block ×3, first 2 shown]
	v_add_nc_u32_e32 v0, v3, v0
	s_delay_alu instid0(VALU_DEP_1)
	v_add_nc_u32_e32 v1, v0, v1
	ds_store_2addr_b32 v15, v29, v8 offset0:32 offset1:33
	ds_store_2addr_b32 v28, v9, v6 offset0:2 offset1:3
	;; [unrolled: 1-line block ×4, first 2 shown]
	ds_store_b32 v28, v1 offset:32
	v_mov_b32_e32 v0, 0
	s_waitcnt lgkmcnt(0)
	s_barrier
	buffer_gl0_inv
	ds_load_b32 v2, v16 offset:128
	ds_load_b32 v3, v20 offset:128
	;; [unrolled: 1-line block ×4, first 2 shown]
	v_mov_b32_e32 v1, 0
                                        ; implicit-def: $vgpr15
	s_and_saveexec_b32 s2, vcc_lo
	s_cbranch_execz .LBB87_85
; %bb.82:
	v_mul_u32_u24_e32 v0, 33, v5
	s_mov_b32 s3, exec_lo
	s_delay_alu instid0(VALU_DEP_1)
	v_dual_mov_b32 v1, 0x1000 :: v_dual_lshlrev_b32 v8, 2, v0
	ds_load_b32 v0, v8 offset:128
	v_cmpx_ne_u32_e32 0xff, v5
	s_cbranch_execz .LBB87_84
; %bb.83:
	ds_load_b32 v1, v8 offset:260
.LBB87_84:
	s_or_b32 exec_lo, exec_lo, s3
	s_waitcnt lgkmcnt(0)
	v_sub_nc_u32_e32 v15, v1, v0
	v_mov_b32_e32 v1, 0
.LBB87_85:
	s_or_b32 exec_lo, exec_lo, s2
	s_waitcnt lgkmcnt(3)
	v_add_nc_u32_e32 v20, v2, v13
	s_waitcnt lgkmcnt(1)
	v_add3_u32 v16, v22, v21, v6
	v_add3_u32 v17, v18, v17, v3
	s_waitcnt lgkmcnt(0)
	v_add3_u32 v13, v26, v25, v7
	v_lshlrev_b32_e32 v2, 2, v20
	v_lshlrev_b32_e32 v6, 2, v16
	;; [unrolled: 1-line block ×3, first 2 shown]
	s_delay_alu instid0(VALU_DEP_4)
	v_lshlrev_b32_e32 v7, 2, v13
	s_barrier
	buffer_gl0_inv
	ds_store_b32 v2, v11 offset:2048
	ds_store_b32 v3, v14 offset:2048
	;; [unrolled: 1-line block ×4, first 2 shown]
	s_waitcnt lgkmcnt(0)
	s_barrier
	buffer_gl0_inv
	s_and_saveexec_b32 s1, s0
	s_delay_alu instid0(SALU_CYCLE_1)
	s_xor_b32 s0, exec_lo, s1
; %bb.86:
	v_mov_b32_e32 v6, 0
; %bb.87:
	s_and_not1_saveexec_b32 s1, s0
	s_cbranch_execz .LBB87_97
; %bb.88:
	v_lshl_or_b32 v6, s15, 8, v5
	v_mov_b32_e32 v7, 0
	v_mov_b32_e32 v11, 0
	s_mov_b32 s2, 0
	s_mov_b32 s3, s15
	s_delay_alu instid0(VALU_DEP_2) | instskip(SKIP_1) | instid1(VALU_DEP_2)
	v_lshlrev_b64 v[2:3], 2, v[6:7]
	v_or_b32_e32 v6, 2.0, v15
	v_add_co_u32 v2, s0, s12, v2
	s_delay_alu instid0(VALU_DEP_1)
	v_add_co_ci_u32_e64 v3, s0, s13, v3, s0
                                        ; implicit-def: $sgpr0
	global_store_b32 v[2:3], v6, off
	s_branch .LBB87_91
	.p2align	6
.LBB87_89:                              ;   in Loop: Header=BB87_91 Depth=1
	s_or_b32 exec_lo, exec_lo, s5
.LBB87_90:                              ;   in Loop: Header=BB87_91 Depth=1
	s_delay_alu instid0(SALU_CYCLE_1) | instskip(SKIP_2) | instid1(VALU_DEP_2)
	s_or_b32 exec_lo, exec_lo, s4
	v_and_b32_e32 v8, 0x3fffffff, v14
	v_cmp_eq_u32_e64 s0, 0x80000000, v6
	v_add_nc_u32_e32 v11, v8, v11
	s_delay_alu instid0(VALU_DEP_2) | instskip(NEXT) | instid1(SALU_CYCLE_1)
	s_and_b32 s4, exec_lo, s0
	s_or_b32 s2, s4, s2
	s_delay_alu instid0(SALU_CYCLE_1)
	s_and_not1_b32 exec_lo, exec_lo, s2
	s_cbranch_execz .LBB87_96
.LBB87_91:                              ; =>This Loop Header: Depth=1
                                        ;     Child Loop BB87_94 Depth 2
	s_or_b32 s0, s0, exec_lo
	s_cmp_eq_u32 s3, 0
	s_cbranch_scc1 .LBB87_95
; %bb.92:                               ;   in Loop: Header=BB87_91 Depth=1
	s_add_i32 s3, s3, -1
	s_mov_b32 s4, exec_lo
	v_lshl_or_b32 v6, s3, 8, v5
	s_delay_alu instid0(VALU_DEP_1) | instskip(NEXT) | instid1(VALU_DEP_1)
	v_lshlrev_b64 v[8:9], 2, v[6:7]
	v_add_co_u32 v8, s0, s12, v8
	s_delay_alu instid0(VALU_DEP_1) | instskip(SKIP_3) | instid1(VALU_DEP_1)
	v_add_co_ci_u32_e64 v9, s0, s13, v9, s0
	global_load_b32 v14, v[8:9], off glc
	s_waitcnt vmcnt(0)
	v_and_b32_e32 v6, -2.0, v14
	v_cmpx_eq_u32_e32 0, v6
	s_cbranch_execz .LBB87_90
; %bb.93:                               ;   in Loop: Header=BB87_91 Depth=1
	s_mov_b32 s5, 0
.LBB87_94:                              ;   Parent Loop BB87_91 Depth=1
                                        ; =>  This Inner Loop Header: Depth=2
	global_load_b32 v14, v[8:9], off glc
	s_waitcnt vmcnt(0)
	v_and_b32_e32 v6, -2.0, v14
	s_delay_alu instid0(VALU_DEP_1) | instskip(NEXT) | instid1(VALU_DEP_1)
	v_cmp_ne_u32_e64 s0, 0, v6
	s_or_b32 s5, s0, s5
	s_delay_alu instid0(SALU_CYCLE_1)
	s_and_not1_b32 exec_lo, exec_lo, s5
	s_cbranch_execnz .LBB87_94
	s_branch .LBB87_89
.LBB87_95:                              ;   in Loop: Header=BB87_91 Depth=1
                                        ; implicit-def: $sgpr3
	s_and_b32 s4, exec_lo, s0
	s_delay_alu instid0(SALU_CYCLE_1) | instskip(NEXT) | instid1(SALU_CYCLE_1)
	s_or_b32 s2, s4, s2
	s_and_not1_b32 exec_lo, exec_lo, s2
	s_cbranch_execnz .LBB87_91
.LBB87_96:
	s_or_b32 exec_lo, exec_lo, s2
	v_add_nc_u32_e32 v6, v11, v15
	v_lshlrev_b32_e32 v7, 3, v5
	s_delay_alu instid0(VALU_DEP_2) | instskip(SKIP_3) | instid1(VALU_DEP_1)
	v_or_b32_e32 v6, 0x80000000, v6
	global_store_b32 v[2:3], v6, off
	global_load_b64 v[2:3], v7, s[24:25]
	v_sub_co_u32 v6, s0, v11, v0
	v_sub_co_ci_u32_e64 v8, s0, 0, v1, s0
	s_waitcnt vmcnt(0)
	s_delay_alu instid0(VALU_DEP_2) | instskip(SKIP_1) | instid1(VALU_DEP_3)
	v_add_co_u32 v2, s0, v6, v2
	v_mov_b32_e32 v6, 0
	v_add_co_ci_u32_e64 v3, s0, v8, v3, s0
	ds_store_b64 v7, v[2:3]
.LBB87_97:
	s_or_b32 exec_lo, exec_lo, s1
	v_lshlrev_b32_e32 v2, 3, v12
	s_lshl_b64 s[0:1], s[6:7], 3
	v_lshlrev_b32_e32 v3, 3, v10
	s_add_u32 s0, s20, s0
	s_addc_u32 s1, s21, s1
	v_add_co_u32 v2, s0, s0, v2
	s_delay_alu instid0(VALU_DEP_1) | instskip(SKIP_2) | instid1(VALU_DEP_2)
	v_add_co_ci_u32_e64 v7, null, s1, 0, s0
	s_waitcnt lgkmcnt(0)
	s_waitcnt_vscnt null, 0x0
	v_add_co_u32 v2, s0, v2, v3
	s_delay_alu instid0(VALU_DEP_1)
	v_add_co_ci_u32_e64 v3, s0, 0, v7, s0
	s_barrier
	buffer_gl0_inv
	v_lshlrev_b32_e32 v27, 2, v5
	s_clause 0x3
	global_load_b64 v[7:8], v[2:3], off
	global_load_b64 v[9:10], v[2:3], off offset:256
	global_load_b64 v[11:12], v[2:3], off offset:512
	;; [unrolled: 1-line block ×3, first 2 shown]
	ds_load_2addr_stride64_b32 v[18:19], v4 offset0:24 offset1:40
	v_lshlrev_b32_e32 v36, 3, v20
	v_lshlrev_b32_e32 v37, 3, v17
	ds_load_b32 v28, v27 offset:2048
	v_lshlrev_b32_e32 v38, 3, v16
	v_or_b32_e32 v30, 0x400, v5
	v_or_b32_e32 v32, 0x800, v5
	;; [unrolled: 1-line block ×3, first 2 shown]
	v_lshlrev_b32_e32 v13, 3, v13
	s_add_i32 s9, s9, -1
	s_delay_alu instid0(VALU_DEP_3) | instskip(NEXT) | instid1(VALU_DEP_3)
	v_lshlrev_b32_e32 v39, 2, v32
	v_lshlrev_b32_e32 v40, 2, v33
	s_cmp_eq_u32 s15, s9
	s_cselect_b32 s1, -1, 0
	s_delay_alu instid0(SALU_CYCLE_1)
	s_and_b32 s1, vcc_lo, s1
	s_waitcnt lgkmcnt(1)
	v_lshrrev_b32_e32 v14, s28, v18
	v_lshrrev_b32_e32 v25, s28, v19
	v_xor_b32_e32 v42, 0x7fffffff, v18
	s_waitcnt lgkmcnt(0)
	v_lshrrev_b32_e32 v23, s28, v28
	v_xor_b32_e32 v28, 0x7fffffff, v28
	v_and_b32_e32 v14, s10, v14
	v_and_b32_e32 v25, s10, v25
	s_delay_alu instid0(VALU_DEP_4) | instskip(SKIP_1) | instid1(VALU_DEP_4)
	v_and_b32_e32 v26, s10, v23
	v_lshlrev_b64 v[23:24], 2, v[5:6]
	v_lshlrev_b32_e32 v14, 3, v14
	s_delay_alu instid0(VALU_DEP_4)
	v_lshlrev_b32_e32 v34, 3, v25
	ds_load_b64 v[21:22], v14
	ds_load_b32 v29, v4 offset:14336
	v_lshlrev_b32_e32 v31, 3, v26
	ds_load_b64 v[16:17], v34
	v_add3_u32 v4, 0x800, v4, v4
	ds_load_b64 v[25:26], v31
	s_waitcnt lgkmcnt(2)
	v_lshrrev_b32_e32 v35, s28, v29
	v_xor_b32_e32 v29, 0x7fffffff, v29
	s_delay_alu instid0(VALU_DEP_2) | instskip(SKIP_1) | instid1(VALU_DEP_2)
	v_and_b32_e32 v20, s10, v35
	v_lshlrev_b32_e32 v35, 2, v30
	v_lshlrev_b32_e32 v41, 3, v20
	v_lshlrev_b64 v[20:21], 2, v[21:22]
	v_xor_b32_e32 v22, 0x7fffffff, v19
	ds_load_b64 v[18:19], v41
	s_waitcnt lgkmcnt(2)
	v_lshlrev_b64 v[16:17], 2, v[16:17]
	v_add_co_u32 v43, s0, s18, v20
	s_delay_alu instid0(VALU_DEP_1) | instskip(SKIP_2) | instid1(VALU_DEP_3)
	v_add_co_ci_u32_e64 v44, s0, s19, v21, s0
	s_waitcnt lgkmcnt(1)
	v_lshlrev_b64 v[20:21], 2, v[25:26]
	v_add_co_u32 v25, s0, v43, v35
	s_delay_alu instid0(VALU_DEP_1) | instskip(NEXT) | instid1(VALU_DEP_3)
	v_add_co_ci_u32_e64 v26, s0, 0, v44, s0
	v_add_co_u32 v20, s0, s18, v20
	s_delay_alu instid0(VALU_DEP_1) | instskip(SKIP_1) | instid1(VALU_DEP_1)
	v_add_co_ci_u32_e64 v21, s0, s19, v21, s0
	v_add_co_u32 v35, s0, s18, v16
	v_add_co_ci_u32_e64 v43, s0, s19, v17, s0
	s_waitcnt lgkmcnt(0)
	v_lshlrev_b64 v[16:17], 2, v[18:19]
	v_add_co_u32 v18, s0, v20, v23
	s_delay_alu instid0(VALU_DEP_1) | instskip(SKIP_1) | instid1(VALU_DEP_4)
	v_add_co_ci_u32_e64 v19, s0, v21, v24, s0
	v_lshlrev_b32_e32 v24, 3, v30
	v_add_co_u32 v20, s0, s18, v16
	s_delay_alu instid0(VALU_DEP_1) | instskip(SKIP_1) | instid1(VALU_DEP_1)
	v_add_co_ci_u32_e64 v21, s0, s19, v17, s0
	v_add_co_u32 v16, s0, v35, v39
	v_add_co_ci_u32_e64 v17, s0, 0, v43, s0
	s_delay_alu instid0(VALU_DEP_4) | instskip(NEXT) | instid1(VALU_DEP_1)
	v_add_co_u32 v20, s0, v20, v40
	v_add_co_ci_u32_e64 v21, s0, 0, v21, s0
	s_clause 0x3
	global_store_b32 v[18:19], v28, off
	global_store_b32 v[25:26], v42, off
	;; [unrolled: 1-line block ×4, first 2 shown]
	s_waitcnt vmcnt(0)
	s_waitcnt_vscnt null, 0x0
	s_barrier
	buffer_gl0_inv
	v_add_nc_u32_e32 v20, v27, v27
	v_lshlrev_b64 v[18:19], 3, v[5:6]
	v_lshlrev_b32_e32 v25, 3, v32
	v_lshlrev_b32_e32 v26, 3, v33
	ds_store_b64 v36, v[7:8] offset:2048
	ds_store_b64 v37, v[9:10] offset:2048
	;; [unrolled: 1-line block ×4, first 2 shown]
	s_waitcnt lgkmcnt(0)
	s_barrier
	buffer_gl0_inv
	ds_load_b64 v[2:3], v31
	ds_load_b64 v[11:12], v14
	;; [unrolled: 1-line block ×4, first 2 shown]
	ds_load_2addr_stride64_b64 v[7:10], v4 offset0:16 offset1:32
	ds_load_b64 v[20:21], v20 offset:2048
	ds_load_b64 v[22:23], v4 offset:24576
	s_waitcnt lgkmcnt(6)
	v_lshlrev_b64 v[2:3], 3, v[2:3]
	s_waitcnt lgkmcnt(5)
	v_lshlrev_b64 v[11:12], 3, v[11:12]
	;; [unrolled: 2-line block ×4, first 2 shown]
	v_add_co_u32 v2, s0, s22, v2
	s_delay_alu instid0(VALU_DEP_1) | instskip(SKIP_1) | instid1(VALU_DEP_1)
	v_add_co_ci_u32_e64 v3, s0, s23, v3, s0
	v_add_co_u32 v4, s0, s22, v11
	v_add_co_ci_u32_e64 v12, s0, s23, v12, s0
	v_add_co_u32 v13, s0, s22, v13
	s_delay_alu instid0(VALU_DEP_1) | instskip(SKIP_1) | instid1(VALU_DEP_1)
	v_add_co_ci_u32_e64 v14, s0, s23, v14, s0
	v_add_co_u32 v16, s0, s22, v16
	v_add_co_ci_u32_e64 v17, s0, s23, v17, s0
	v_add_co_u32 v2, s0, v2, v18
	s_delay_alu instid0(VALU_DEP_1) | instskip(SKIP_1) | instid1(VALU_DEP_1)
	v_add_co_ci_u32_e64 v3, s0, v3, v19, s0
	v_add_co_u32 v11, s0, v4, v24
	v_add_co_ci_u32_e64 v12, s0, 0, v12, s0
	v_add_co_u32 v13, s0, v13, v25
	s_delay_alu instid0(VALU_DEP_1) | instskip(SKIP_1) | instid1(VALU_DEP_1)
	v_add_co_ci_u32_e64 v14, s0, 0, v14, s0
	v_add_co_u32 v16, s0, v16, v26
	v_add_co_ci_u32_e64 v17, s0, 0, v17, s0
	s_waitcnt lgkmcnt(1)
	s_clause 0x2
	global_store_b64 v[2:3], v[20:21], off
	global_store_b64 v[11:12], v[7:8], off
	;; [unrolled: 1-line block ×3, first 2 shown]
	s_waitcnt lgkmcnt(0)
	global_store_b64 v[16:17], v[22:23], off
                                        ; implicit-def: $vgpr2_vgpr3
	s_and_saveexec_b32 s0, s1
; %bb.98:
	v_add_co_u32 v2, vcc_lo, v0, v15
	v_add_co_ci_u32_e32 v3, vcc_lo, 0, v1, vcc_lo
	s_or_b32 s8, s8, exec_lo
; %bb.99:
	s_or_b32 exec_lo, exec_lo, s0
.LBB87_100:
	s_and_saveexec_b32 s0, s8
	s_cbranch_execnz .LBB87_102
; %bb.101:
	s_nop 0
	s_sendmsg sendmsg(MSG_DEALLOC_VGPRS)
	s_endpgm
.LBB87_102:
	v_lshlrev_b32_e32 v0, 3, v5
	v_lshlrev_b64 v[4:5], 3, v[5:6]
	ds_load_b64 v[0:1], v0
	v_add_co_u32 v4, vcc_lo, s26, v4
	v_add_co_ci_u32_e32 v5, vcc_lo, s27, v5, vcc_lo
	s_waitcnt lgkmcnt(0)
	v_add_co_u32 v0, vcc_lo, v0, v2
	v_add_co_ci_u32_e32 v1, vcc_lo, v1, v3, vcc_lo
	global_store_b64 v[4:5], v[0:1], off
	s_nop 0
	s_sendmsg sendmsg(MSG_DEALLOC_VGPRS)
	s_endpgm
.LBB87_103:
	global_load_b64 v[1:2], v[10:11], off
	s_or_b32 exec_lo, exec_lo, s10
                                        ; implicit-def: $vgpr3_vgpr4
	s_and_saveexec_b32 s10, s2
	s_cbranch_execz .LBB87_47
.LBB87_104:
	global_load_b64 v[3:4], v[10:11], off offset:256
	s_or_b32 exec_lo, exec_lo, s10
                                        ; implicit-def: $vgpr6_vgpr7
	s_and_saveexec_b32 s2, s3
	s_cbranch_execz .LBB87_48
.LBB87_105:
	global_load_b64 v[6:7], v[10:11], off offset:512
	s_or_b32 exec_lo, exec_lo, s2
                                        ; implicit-def: $vgpr8_vgpr9
	s_and_saveexec_b32 s2, s4
	s_cbranch_execnz .LBB87_49
	s_branch .LBB87_50
.LBB87_106:
	v_lshlrev_b32_e32 v2, 3, v24
	ds_load_b64 v[2:3], v2
	ds_load_b64 v[6:7], v1 offset:2048
	s_waitcnt lgkmcnt(1)
	v_lshlrev_b64 v[2:3], 3, v[2:3]
	s_delay_alu instid0(VALU_DEP_1) | instskip(NEXT) | instid1(VALU_DEP_2)
	v_add_co_u32 v2, vcc_lo, s22, v2
	v_add_co_ci_u32_e32 v3, vcc_lo, s23, v3, vcc_lo
	s_delay_alu instid0(VALU_DEP_2) | instskip(NEXT) | instid1(VALU_DEP_2)
	v_add_co_u32 v2, vcc_lo, v2, v1
	v_add_co_ci_u32_e32 v3, vcc_lo, 0, v3, vcc_lo
	s_waitcnt lgkmcnt(0)
	global_store_b64 v[2:3], v[6:7], off
	s_or_b32 exec_lo, exec_lo, s2
	s_and_saveexec_b32 s2, s7
	s_cbranch_execz .LBB87_60
.LBB87_107:
	v_lshlrev_b32_e32 v2, 3, v11
	v_lshlrev_b32_e32 v4, 3, v15
	ds_load_b64 v[2:3], v2
	ds_load_b64 v[6:7], v1 offset:10240
	s_waitcnt lgkmcnt(1)
	v_lshlrev_b64 v[2:3], 3, v[2:3]
	s_delay_alu instid0(VALU_DEP_1) | instskip(NEXT) | instid1(VALU_DEP_2)
	v_add_co_u32 v2, vcc_lo, s22, v2
	v_add_co_ci_u32_e32 v3, vcc_lo, s23, v3, vcc_lo
	s_delay_alu instid0(VALU_DEP_2) | instskip(NEXT) | instid1(VALU_DEP_2)
	v_add_co_u32 v2, vcc_lo, v2, v4
	v_add_co_ci_u32_e32 v3, vcc_lo, 0, v3, vcc_lo
	s_waitcnt lgkmcnt(0)
	global_store_b64 v[2:3], v[6:7], off
	s_or_b32 exec_lo, exec_lo, s2
	s_and_saveexec_b32 s2, s8
	s_cbranch_execz .LBB87_61
.LBB87_108:
	v_lshlrev_b32_e32 v2, 3, v23
	v_lshlrev_b32_e32 v4, 3, v20
	ds_load_b64 v[2:3], v2
	ds_load_b64 v[6:7], v1 offset:18432
	s_waitcnt lgkmcnt(1)
	v_lshlrev_b64 v[2:3], 3, v[2:3]
	s_delay_alu instid0(VALU_DEP_1) | instskip(NEXT) | instid1(VALU_DEP_2)
	v_add_co_u32 v2, vcc_lo, s22, v2
	v_add_co_ci_u32_e32 v3, vcc_lo, s23, v3, vcc_lo
	s_delay_alu instid0(VALU_DEP_2) | instskip(NEXT) | instid1(VALU_DEP_2)
	v_add_co_u32 v2, vcc_lo, v2, v4
	v_add_co_ci_u32_e32 v3, vcc_lo, 0, v3, vcc_lo
	s_waitcnt lgkmcnt(0)
	global_store_b64 v[2:3], v[6:7], off
	s_or_b32 exec_lo, exec_lo, s2
	s_and_saveexec_b32 s2, s9
	s_cbranch_execnz .LBB87_62
	s_branch .LBB87_63
	.section	.rodata,"a",@progbits
	.p2align	6, 0x0
	.amdhsa_kernel _ZN7rocprim17ROCPRIM_304000_NS6detail25onesweep_iteration_kernelINS1_34wrapped_radix_sort_onesweep_configINS0_14default_configEiN2at4cuda3cub6detail10OpaqueTypeILi8EEEEELb1EPiSC_PSA_SD_mNS0_19identity_decomposerEEEvT1_T2_T3_T4_jPT5_SK_PNS1_23onesweep_lookback_stateET6_jjj
		.amdhsa_group_segment_fixed_size 36992
		.amdhsa_private_segment_fixed_size 0
		.amdhsa_kernarg_size 336
		.amdhsa_user_sgpr_count 15
		.amdhsa_user_sgpr_dispatch_ptr 0
		.amdhsa_user_sgpr_queue_ptr 0
		.amdhsa_user_sgpr_kernarg_segment_ptr 1
		.amdhsa_user_sgpr_dispatch_id 0
		.amdhsa_user_sgpr_private_segment_size 0
		.amdhsa_wavefront_size32 1
		.amdhsa_uses_dynamic_stack 0
		.amdhsa_enable_private_segment 0
		.amdhsa_system_sgpr_workgroup_id_x 1
		.amdhsa_system_sgpr_workgroup_id_y 0
		.amdhsa_system_sgpr_workgroup_id_z 0
		.amdhsa_system_sgpr_workgroup_info 0
		.amdhsa_system_vgpr_workitem_id 2
		.amdhsa_next_free_vgpr 45
		.amdhsa_next_free_sgpr 36
		.amdhsa_reserve_vcc 1
		.amdhsa_float_round_mode_32 0
		.amdhsa_float_round_mode_16_64 0
		.amdhsa_float_denorm_mode_32 3
		.amdhsa_float_denorm_mode_16_64 3
		.amdhsa_dx10_clamp 1
		.amdhsa_ieee_mode 1
		.amdhsa_fp16_overflow 0
		.amdhsa_workgroup_processor_mode 1
		.amdhsa_memory_ordered 1
		.amdhsa_forward_progress 0
		.amdhsa_shared_vgpr_count 0
		.amdhsa_exception_fp_ieee_invalid_op 0
		.amdhsa_exception_fp_denorm_src 0
		.amdhsa_exception_fp_ieee_div_zero 0
		.amdhsa_exception_fp_ieee_overflow 0
		.amdhsa_exception_fp_ieee_underflow 0
		.amdhsa_exception_fp_ieee_inexact 0
		.amdhsa_exception_int_div_zero 0
	.end_amdhsa_kernel
	.section	.text._ZN7rocprim17ROCPRIM_304000_NS6detail25onesweep_iteration_kernelINS1_34wrapped_radix_sort_onesweep_configINS0_14default_configEiN2at4cuda3cub6detail10OpaqueTypeILi8EEEEELb1EPiSC_PSA_SD_mNS0_19identity_decomposerEEEvT1_T2_T3_T4_jPT5_SK_PNS1_23onesweep_lookback_stateET6_jjj,"axG",@progbits,_ZN7rocprim17ROCPRIM_304000_NS6detail25onesweep_iteration_kernelINS1_34wrapped_radix_sort_onesweep_configINS0_14default_configEiN2at4cuda3cub6detail10OpaqueTypeILi8EEEEELb1EPiSC_PSA_SD_mNS0_19identity_decomposerEEEvT1_T2_T3_T4_jPT5_SK_PNS1_23onesweep_lookback_stateET6_jjj,comdat
.Lfunc_end87:
	.size	_ZN7rocprim17ROCPRIM_304000_NS6detail25onesweep_iteration_kernelINS1_34wrapped_radix_sort_onesweep_configINS0_14default_configEiN2at4cuda3cub6detail10OpaqueTypeILi8EEEEELb1EPiSC_PSA_SD_mNS0_19identity_decomposerEEEvT1_T2_T3_T4_jPT5_SK_PNS1_23onesweep_lookback_stateET6_jjj, .Lfunc_end87-_ZN7rocprim17ROCPRIM_304000_NS6detail25onesweep_iteration_kernelINS1_34wrapped_radix_sort_onesweep_configINS0_14default_configEiN2at4cuda3cub6detail10OpaqueTypeILi8EEEEELb1EPiSC_PSA_SD_mNS0_19identity_decomposerEEEvT1_T2_T3_T4_jPT5_SK_PNS1_23onesweep_lookback_stateET6_jjj
                                        ; -- End function
	.section	.AMDGPU.csdata,"",@progbits
; Kernel info:
; codeLenInByte = 9004
; NumSgprs: 38
; NumVgprs: 45
; ScratchSize: 0
; MemoryBound: 0
; FloatMode: 240
; IeeeMode: 1
; LDSByteSize: 36992 bytes/workgroup (compile time only)
; SGPRBlocks: 4
; VGPRBlocks: 5
; NumSGPRsForWavesPerEU: 38
; NumVGPRsForWavesPerEU: 45
; Occupancy: 16
; WaveLimiterHint : 1
; COMPUTE_PGM_RSRC2:SCRATCH_EN: 0
; COMPUTE_PGM_RSRC2:USER_SGPR: 15
; COMPUTE_PGM_RSRC2:TRAP_HANDLER: 0
; COMPUTE_PGM_RSRC2:TGID_X_EN: 1
; COMPUTE_PGM_RSRC2:TGID_Y_EN: 0
; COMPUTE_PGM_RSRC2:TGID_Z_EN: 0
; COMPUTE_PGM_RSRC2:TIDIG_COMP_CNT: 2
	.section	.text._ZN7rocprim17ROCPRIM_304000_NS6detail28radix_sort_block_sort_kernelINS1_36wrapped_radix_sort_block_sort_configINS0_13kernel_configILj256ELj4ELj4294967295EEEiN2at4cuda3cub6detail10OpaqueTypeILi8EEEEELb0EPKiPiPKSB_PSB_NS0_19identity_decomposerEEEvT1_T2_T3_T4_jT5_jj,"axG",@progbits,_ZN7rocprim17ROCPRIM_304000_NS6detail28radix_sort_block_sort_kernelINS1_36wrapped_radix_sort_block_sort_configINS0_13kernel_configILj256ELj4ELj4294967295EEEiN2at4cuda3cub6detail10OpaqueTypeILi8EEEEELb0EPKiPiPKSB_PSB_NS0_19identity_decomposerEEEvT1_T2_T3_T4_jT5_jj,comdat
	.protected	_ZN7rocprim17ROCPRIM_304000_NS6detail28radix_sort_block_sort_kernelINS1_36wrapped_radix_sort_block_sort_configINS0_13kernel_configILj256ELj4ELj4294967295EEEiN2at4cuda3cub6detail10OpaqueTypeILi8EEEEELb0EPKiPiPKSB_PSB_NS0_19identity_decomposerEEEvT1_T2_T3_T4_jT5_jj ; -- Begin function _ZN7rocprim17ROCPRIM_304000_NS6detail28radix_sort_block_sort_kernelINS1_36wrapped_radix_sort_block_sort_configINS0_13kernel_configILj256ELj4ELj4294967295EEEiN2at4cuda3cub6detail10OpaqueTypeILi8EEEEELb0EPKiPiPKSB_PSB_NS0_19identity_decomposerEEEvT1_T2_T3_T4_jT5_jj
	.globl	_ZN7rocprim17ROCPRIM_304000_NS6detail28radix_sort_block_sort_kernelINS1_36wrapped_radix_sort_block_sort_configINS0_13kernel_configILj256ELj4ELj4294967295EEEiN2at4cuda3cub6detail10OpaqueTypeILi8EEEEELb0EPKiPiPKSB_PSB_NS0_19identity_decomposerEEEvT1_T2_T3_T4_jT5_jj
	.p2align	8
	.type	_ZN7rocprim17ROCPRIM_304000_NS6detail28radix_sort_block_sort_kernelINS1_36wrapped_radix_sort_block_sort_configINS0_13kernel_configILj256ELj4ELj4294967295EEEiN2at4cuda3cub6detail10OpaqueTypeILi8EEEEELb0EPKiPiPKSB_PSB_NS0_19identity_decomposerEEEvT1_T2_T3_T4_jT5_jj,@function
_ZN7rocprim17ROCPRIM_304000_NS6detail28radix_sort_block_sort_kernelINS1_36wrapped_radix_sort_block_sort_configINS0_13kernel_configILj256ELj4ELj4294967295EEEiN2at4cuda3cub6detail10OpaqueTypeILi8EEEEELb0EPKiPiPKSB_PSB_NS0_19identity_decomposerEEEvT1_T2_T3_T4_jT5_jj: ; @_ZN7rocprim17ROCPRIM_304000_NS6detail28radix_sort_block_sort_kernelINS1_36wrapped_radix_sort_block_sort_configINS0_13kernel_configILj256ELj4ELj4294967295EEEiN2at4cuda3cub6detail10OpaqueTypeILi8EEEEELb0EPKiPiPKSB_PSB_NS0_19identity_decomposerEEEvT1_T2_T3_T4_jT5_jj
; %bb.0:
	s_clause 0x1
	s_load_b32 s2, s[0:1], 0x20
	s_load_b256 s[16:23], s[0:1], 0x0
	v_and_b32_e32 v8, 0x3ff, v0
	v_mbcnt_lo_u32_b32 v7, -1, 0
	s_lshl_b32 s24, s15, 10
	s_mov_b32 s25, 0
	s_delay_alu instid0(VALU_DEP_2) | instskip(NEXT) | instid1(VALU_DEP_2)
	v_lshlrev_b32_e32 v27, 2, v8
	v_lshlrev_b32_e32 v1, 2, v7
	;; [unrolled: 1-line block ×3, first 2 shown]
	s_delay_alu instid0(VALU_DEP_3) | instskip(NEXT) | instid1(VALU_DEP_1)
	v_and_b32_e32 v11, 0x380, v27
	v_lshlrev_b32_e32 v2, 2, v11
	v_lshlrev_b32_e32 v16, 3, v11
	v_add_nc_u32_e32 v13, v7, v11
	s_waitcnt lgkmcnt(0)
	s_lshr_b32 s3, s2, 10
	s_delay_alu instid0(SALU_CYCLE_1) | instskip(SKIP_2) | instid1(SALU_CYCLE_1)
	s_cmp_lg_u32 s15, s3
	s_cselect_b32 s28, -1, 0
	s_lshl_b64 s[26:27], s[24:25], 2
	s_add_u32 s4, s16, s26
	s_addc_u32 s5, s17, s27
	v_add_co_u32 v1, s4, s4, v1
	s_delay_alu instid0(VALU_DEP_1) | instskip(SKIP_1) | instid1(VALU_DEP_2)
	v_add_co_ci_u32_e64 v3, null, s5, 0, s4
	s_cmp_eq_u32 s15, s3
	v_add_co_u32 v9, vcc_lo, v1, v2
	s_delay_alu instid0(VALU_DEP_2)
	v_add_co_ci_u32_e32 v10, vcc_lo, 0, v3, vcc_lo
	s_mov_b32 s3, -1
	s_cbranch_scc1 .LBB88_2
; %bb.1:
	s_lshl_b64 s[4:5], s[24:25], 3
	s_delay_alu instid0(SALU_CYCLE_1) | instskip(SKIP_2) | instid1(VALU_DEP_1)
	s_add_u32 s3, s20, s4
	s_addc_u32 s4, s21, s5
	v_add_co_u32 v1, s3, s3, v15
	v_add_co_ci_u32_e64 v2, null, s4, 0, s3
	s_mov_b32 s3, s25
	s_delay_alu instid0(VALU_DEP_2) | instskip(NEXT) | instid1(VALU_DEP_2)
	v_add_co_u32 v17, vcc_lo, v1, v16
	v_add_co_ci_u32_e32 v18, vcc_lo, 0, v2, vcc_lo
	s_clause 0x3
	global_load_b32 v1, v[9:10], off
	global_load_b32 v2, v[9:10], off offset:128
	global_load_b32 v3, v[9:10], off offset:256
	;; [unrolled: 1-line block ×3, first 2 shown]
	s_clause 0x3
	global_load_b64 v[5:6], v[17:18], off
	global_load_b64 v[21:22], v[17:18], off offset:256
	global_load_b64 v[23:24], v[17:18], off offset:512
	;; [unrolled: 1-line block ×3, first 2 shown]
	v_add_nc_u32_e32 v17, v7, v11
	s_delay_alu instid0(VALU_DEP_1)
	v_add_nc_u32_e32 v11, 32, v17
	v_add_nc_u32_e32 v12, 64, v17
	;; [unrolled: 1-line block ×3, first 2 shown]
	s_and_not1_b32 vcc_lo, exec_lo, s3
	s_sub_i32 s16, s2, s24
	s_cbranch_vccz .LBB88_3
	s_branch .LBB88_17
.LBB88_2:
                                        ; implicit-def: $vgpr1_vgpr2_vgpr3_vgpr4
                                        ; implicit-def: $vgpr5_vgpr6
                                        ; implicit-def: $vgpr21_vgpr22
                                        ; implicit-def: $vgpr23_vgpr24
                                        ; implicit-def: $vgpr25_vgpr26
                                        ; implicit-def: $vgpr17
                                        ; implicit-def: $vgpr11
                                        ; implicit-def: $vgpr12
                                        ; implicit-def: $vgpr14
	s_and_not1_b32 vcc_lo, exec_lo, s3
	s_sub_i32 s16, s2, s24
	s_cbranch_vccnz .LBB88_17
.LBB88_3:
	s_brev_b32 s4, -2
	v_cmp_gt_u32_e32 vcc_lo, s16, v13
	s_mov_b32 s5, s4
	s_mov_b32 s6, s4
	;; [unrolled: 1-line block ×3, first 2 shown]
	s_waitcnt vmcnt(4)
	v_dual_mov_b32 v1, s4 :: v_dual_mov_b32 v2, s5
	v_dual_mov_b32 v3, s6 :: v_dual_mov_b32 v4, s7
	s_and_saveexec_b32 s2, vcc_lo
	s_cbranch_execz .LBB88_5
; %bb.4:
	global_load_b32 v1, v[9:10], off
	v_bfrev_b32_e32 v2, -2
	s_delay_alu instid0(VALU_DEP_1)
	v_mov_b32_e32 v3, v2
	v_mov_b32_e32 v4, v2
.LBB88_5:
	s_or_b32 exec_lo, exec_lo, s2
	v_add_nc_u32_e32 v11, 32, v13
	s_delay_alu instid0(VALU_DEP_1) | instskip(NEXT) | instid1(VALU_DEP_1)
	v_cmp_gt_u32_e64 s2, s16, v11
	s_and_saveexec_b32 s3, s2
	s_cbranch_execz .LBB88_7
; %bb.6:
	global_load_b32 v2, v[9:10], off offset:128
.LBB88_7:
	s_or_b32 exec_lo, exec_lo, s3
	v_add_nc_u32_e32 v12, 64, v13
	s_delay_alu instid0(VALU_DEP_1) | instskip(NEXT) | instid1(VALU_DEP_1)
	v_cmp_gt_u32_e64 s3, s16, v12
	s_and_saveexec_b32 s4, s3
	s_cbranch_execz .LBB88_9
; %bb.8:
	global_load_b32 v3, v[9:10], off offset:256
.LBB88_9:
	;; [unrolled: 9-line block ×3, first 2 shown]
	s_or_b32 exec_lo, exec_lo, s5
	s_lshl_b64 s[6:7], s[24:25], 3
	s_delay_alu instid0(SALU_CYCLE_1) | instskip(SKIP_3) | instid1(VALU_DEP_1)
	s_add_u32 s5, s20, s6
	s_addc_u32 s6, s21, s7
	s_waitcnt vmcnt(3)
	v_add_co_u32 v5, s5, s5, v15
	v_add_co_ci_u32_e64 v6, null, s6, 0, s5
	s_delay_alu instid0(VALU_DEP_2) | instskip(NEXT) | instid1(VALU_DEP_1)
	v_add_co_u32 v9, s5, v5, v16
	v_add_co_ci_u32_e64 v10, s5, 0, v6, s5
                                        ; implicit-def: $vgpr5_vgpr6
	s_and_saveexec_b32 s5, vcc_lo
	s_cbranch_execnz .LBB88_54
; %bb.12:
	s_or_b32 exec_lo, exec_lo, s5
                                        ; implicit-def: $vgpr21_vgpr22
	s_and_saveexec_b32 s5, s2
	s_cbranch_execnz .LBB88_55
.LBB88_13:
	s_or_b32 exec_lo, exec_lo, s5
                                        ; implicit-def: $vgpr23_vgpr24
	s_and_saveexec_b32 s2, s3
	s_cbranch_execnz .LBB88_56
.LBB88_14:
	s_or_b32 exec_lo, exec_lo, s2
                                        ; implicit-def: $vgpr25_vgpr26
	s_and_saveexec_b32 s2, s4
	s_cbranch_execz .LBB88_16
.LBB88_15:
	global_load_b64 v[25:26], v[9:10], off offset:768
.LBB88_16:
	s_or_b32 exec_lo, exec_lo, s2
	v_mov_b32_e32 v17, v13
.LBB88_17:
	s_clause 0x1
	s_load_b32 s4, s[0:1], 0x3c
	s_load_b64 s[14:15], s[0:1], 0x28
	s_mov_b32 s20, 0
	s_waitcnt vmcnt(0)
	v_xor_b32_e32 v47, 0x80000000, v1
	s_mov_b32 s30, s20
	s_mov_b32 s31, s20
	v_add_nc_u32_e32 v16, -1, v7
	v_xor_b32_e32 v1, 0x80000000, v2
	v_xor_b32_e32 v2, 0x80000000, v3
	;; [unrolled: 1-line block ×3, first 2 shown]
	v_bfe_u32 v4, v0, 10, 10
	v_bfe_u32 v0, v0, 20, 10
	v_lshlrev_b32_e32 v36, 2, v11
	v_lshlrev_b32_e32 v37, 2, v12
	v_mov_b32_e32 v11, s30
	v_cmp_gt_i32_e32 vcc_lo, 0, v16
	v_and_b32_e32 v9, 0x3e0, v8
	v_lshrrev_b32_e32 v18, 3, v8
	v_dual_mov_b32 v12, s31 :: v_dual_and_b32 v15, 16, v7
	s_waitcnt lgkmcnt(0)
	s_lshr_b32 s3, s4, 16
	s_and_b32 s4, s4, 0xffff
	v_mad_u32_u24 v0, v0, s3, v4
	v_min_u32_e32 v4, 0xe0, v9
	v_and_b32_e32 v19, 7, v7
	v_and_b32_e32 v33, 0x7c, v18
	v_lshlrev_b32_e32 v35, 2, v17
	v_mad_u64_u32 v[9:10], null, v0, s4, v[8:9]
	v_cndmask_b32_e32 v0, v16, v7, vcc_lo
	v_or_b32_e32 v4, 31, v4
	v_lshlrev_b32_e32 v38, 2, v14
	s_mov_b32 s21, s20
	v_lshlrev_b32_e32 v28, 5, v8
	v_and_b32_e32 v13, 15, v7
	v_lshrrev_b32_e32 v32, 5, v9
	v_dual_mov_b32 v9, s20 :: v_dual_mov_b32 v10, s21
	v_cmp_gt_u32_e64 s0, 8, v8
	v_cmp_lt_u32_e64 s1, 31, v8
	v_add_nc_u32_e32 v29, 32, v28
	v_cmp_eq_u32_e64 s2, 0, v13
	v_cmp_lt_u32_e64 s3, 1, v13
	v_cmp_lt_u32_e64 s4, 3, v13
	;; [unrolled: 1-line block ×3, first 2 shown]
	v_cmp_eq_u32_e64 s6, 0, v15
	v_lshlrev_b32_e32 v31, 2, v0
	v_cmp_eq_u32_e64 s7, v4, v8
	v_cmp_eq_u32_e64 s8, 0, v7
	;; [unrolled: 1-line block ×3, first 2 shown]
	v_mul_i32_i24_e32 v30, 0xffffffe4, v8
	v_cmp_eq_u32_e64 s10, 0, v19
	v_cmp_lt_u32_e64 s11, 1, v19
	v_cmp_lt_u32_e64 s12, 3, v19
	v_add_nc_u32_e32 v34, -4, v33
	v_add_nc_u32_e32 v39, v35, v35
	v_add_nc_u32_e32 v40, v36, v36
	;; [unrolled: 1-line block ×4, first 2 shown]
	s_add_i32 s17, s15, s14
	s_branch .LBB88_19
.LBB88_18:                              ;   in Loop: Header=BB88_19 Depth=1
	v_lshl_add_u32 v5, v48, 2, v52
	v_lshl_add_u32 v6, v7, 2, v51
	;; [unrolled: 1-line block ×4, first 2 shown]
	s_barrier
	buffer_gl0_inv
	ds_store_b32 v52, v43
	ds_store_b32 v51, v46
	;; [unrolled: 1-line block ×4, first 2 shown]
	s_waitcnt lgkmcnt(0)
	s_barrier
	buffer_gl0_inv
	ds_load_b32 v47, v35
	ds_load_b32 v1, v36
	;; [unrolled: 1-line block ×4, first 2 shown]
	s_waitcnt lgkmcnt(0)
	s_barrier
	buffer_gl0_inv
	ds_store_b64 v5, v[19:20]
	ds_store_b64 v6, v[17:18]
	ds_store_b64 v21, v[15:16]
	ds_store_b64 v22, v[13:14]
	s_waitcnt lgkmcnt(0)
	s_barrier
	buffer_gl0_inv
	ds_load_b64 v[5:6], v39
	ds_load_b64 v[21:22], v40
	;; [unrolled: 1-line block ×4, first 2 shown]
	s_add_i32 s15, s15, -8
	s_waitcnt lgkmcnt(0)
	s_barrier
	buffer_gl0_inv
	s_cbranch_execz .LBB88_35
.LBB88_19:                              ; =>This Inner Loop Header: Depth=1
	s_min_u32 s13, s15, 8
	ds_store_2addr_b64 v28, v[9:10], v[11:12] offset0:4 offset1:5
	ds_store_2addr_b64 v29, v[9:10], v[11:12] offset0:2 offset1:3
	s_lshl_b32 s13, -1, s13
	s_waitcnt lgkmcnt(0)
	s_not_b32 s20, s13
	v_mov_b32_e32 v43, v47
	s_barrier
	buffer_gl0_inv
	; wave barrier
	v_lshrrev_b32_e32 v0, s14, v43
	v_dual_mov_b32 v45, v2 :: v_dual_mov_b32 v44, v3
	v_mov_b32_e32 v46, v1
	s_delay_alu instid0(VALU_DEP_3) | instskip(NEXT) | instid1(VALU_DEP_1)
	v_and_b32_e32 v4, s20, v0
	v_and_b32_e32 v0, 1, v4
	v_lshlrev_b32_e32 v7, 30, v4
	v_lshlrev_b32_e32 v13, 29, v4
	;; [unrolled: 1-line block ×4, first 2 shown]
	v_add_co_u32 v0, s13, v0, -1
	s_delay_alu instid0(VALU_DEP_1)
	v_cndmask_b32_e64 v15, 0, 1, s13
	v_not_b32_e32 v19, v7
	v_cmp_gt_i32_e64 s13, 0, v7
	v_not_b32_e32 v7, v13
	v_lshlrev_b32_e32 v16, 27, v4
	v_cmp_ne_u32_e32 vcc_lo, 0, v15
	v_ashrrev_i32_e32 v19, 31, v19
	v_lshlrev_b32_e32 v18, 25, v4
	v_ashrrev_i32_e32 v7, 31, v7
	v_lshlrev_b32_e32 v15, 24, v4
	v_xor_b32_e32 v0, vcc_lo, v0
	v_xor_b32_e32 v19, s13, v19
	v_cmp_gt_i32_e32 vcc_lo, 0, v13
	v_lshl_add_u32 v1, v4, 3, v32
	s_delay_alu instid0(VALU_DEP_4) | instskip(SKIP_2) | instid1(VALU_DEP_3)
	v_and_b32_e32 v0, exec_lo, v0
	v_xor_b32_e32 v7, vcc_lo, v7
	v_cmp_gt_i32_e32 vcc_lo, 0, v16
	v_and_b32_e32 v0, v0, v19
	v_dual_mov_b32 v20, v6 :: v_dual_mov_b32 v19, v5
	v_not_b32_e32 v13, v14
	v_cmp_gt_i32_e64 s13, 0, v14
	v_not_b32_e32 v14, v16
	v_not_b32_e32 v16, v17
	v_and_b32_e32 v0, v0, v7
	v_ashrrev_i32_e32 v13, 31, v13
	s_delay_alu instid0(VALU_DEP_4) | instskip(NEXT) | instid1(VALU_DEP_4)
	v_ashrrev_i32_e32 v14, 31, v14
	v_ashrrev_i32_e32 v16, 31, v16
	s_delay_alu instid0(VALU_DEP_3) | instskip(SKIP_1) | instid1(VALU_DEP_4)
	v_xor_b32_e32 v13, s13, v13
	v_cmp_gt_i32_e64 s13, 0, v17
	v_xor_b32_e32 v14, vcc_lo, v14
	s_delay_alu instid0(VALU_DEP_3) | instskip(NEXT) | instid1(VALU_DEP_3)
	v_and_b32_e32 v0, v0, v13
	v_xor_b32_e32 v16, s13, v16
	v_not_b32_e32 v13, v15
	v_cmp_gt_i32_e64 s13, 0, v15
	s_delay_alu instid0(VALU_DEP_4) | instskip(NEXT) | instid1(VALU_DEP_3)
	v_and_b32_e32 v0, v0, v14
	v_ashrrev_i32_e32 v13, 31, v13
	s_delay_alu instid0(VALU_DEP_2) | instskip(SKIP_2) | instid1(VALU_DEP_4)
	v_dual_mov_b32 v15, v23 :: v_dual_and_b32 v0, v0, v16
	v_not_b32_e32 v7, v18
	v_cmp_gt_i32_e32 vcc_lo, 0, v18
	v_xor_b32_e32 v13, s13, v13
	v_dual_mov_b32 v17, v21 :: v_dual_mov_b32 v18, v22
	s_delay_alu instid0(VALU_DEP_4) | instskip(SKIP_2) | instid1(VALU_DEP_3)
	v_ashrrev_i32_e32 v7, 31, v7
	v_mov_b32_e32 v16, v24
	v_lshl_add_u32 v22, v1, 2, 32
	v_xor_b32_e32 v7, vcc_lo, v7
	s_delay_alu instid0(VALU_DEP_1) | instskip(NEXT) | instid1(VALU_DEP_1)
	v_and_b32_e32 v0, v0, v7
	v_dual_mov_b32 v13, v25 :: v_dual_and_b32 v0, v0, v13
	v_mov_b32_e32 v14, v26
	s_delay_alu instid0(VALU_DEP_2) | instskip(SKIP_1) | instid1(VALU_DEP_2)
	v_mbcnt_lo_u32_b32 v21, v0, 0
	v_cmp_ne_u32_e64 s13, 0, v0
	v_cmp_eq_u32_e32 vcc_lo, 0, v21
	s_delay_alu instid0(VALU_DEP_2) | instskip(NEXT) | instid1(SALU_CYCLE_1)
	s_and_b32 s21, s13, vcc_lo
	s_and_saveexec_b32 s13, s21
	s_cbranch_execz .LBB88_21
; %bb.20:                               ;   in Loop: Header=BB88_19 Depth=1
	v_bcnt_u32_b32 v0, v0, 0
	ds_store_b32 v22, v0
.LBB88_21:                              ;   in Loop: Header=BB88_19 Depth=1
	s_or_b32 exec_lo, exec_lo, s13
	v_lshrrev_b32_e32 v0, s14, v46
	; wave barrier
	s_delay_alu instid0(VALU_DEP_1) | instskip(NEXT) | instid1(VALU_DEP_1)
	v_and_b32_e32 v0, s20, v0
	v_and_b32_e32 v1, 1, v0
	v_lshlrev_b32_e32 v2, 30, v0
	v_lshlrev_b32_e32 v3, 29, v0
	;; [unrolled: 1-line block ×4, first 2 shown]
	v_add_co_u32 v1, s13, v1, -1
	s_delay_alu instid0(VALU_DEP_1)
	v_cndmask_b32_e64 v5, 0, 1, s13
	v_not_b32_e32 v24, v2
	v_cmp_gt_i32_e64 s13, 0, v2
	v_not_b32_e32 v2, v3
	v_lshlrev_b32_e32 v7, 26, v0
	v_cmp_ne_u32_e32 vcc_lo, 0, v5
	v_ashrrev_i32_e32 v24, 31, v24
	v_lshlrev_b32_e32 v23, 25, v0
	v_ashrrev_i32_e32 v2, 31, v2
	v_lshlrev_b32_e32 v5, 24, v0
	v_xor_b32_e32 v1, vcc_lo, v1
	v_cmp_gt_i32_e32 vcc_lo, 0, v3
	v_not_b32_e32 v3, v4
	v_xor_b32_e32 v24, s13, v24
	v_cmp_gt_i32_e64 s13, 0, v4
	v_and_b32_e32 v1, exec_lo, v1
	v_not_b32_e32 v4, v6
	v_ashrrev_i32_e32 v3, 31, v3
	v_xor_b32_e32 v2, vcc_lo, v2
	v_cmp_gt_i32_e32 vcc_lo, 0, v6
	v_and_b32_e32 v1, v1, v24
	v_not_b32_e32 v6, v7
	v_ashrrev_i32_e32 v4, 31, v4
	v_xor_b32_e32 v3, s13, v3
	v_cmp_gt_i32_e64 s13, 0, v7
	v_and_b32_e32 v1, v1, v2
	v_not_b32_e32 v2, v23
	v_ashrrev_i32_e32 v6, 31, v6
	v_xor_b32_e32 v4, vcc_lo, v4
	v_cmp_gt_i32_e32 vcc_lo, 0, v23
	v_and_b32_e32 v1, v1, v3
	v_not_b32_e32 v3, v5
	v_ashrrev_i32_e32 v2, 31, v2
	v_xor_b32_e32 v6, s13, v6
	v_lshlrev_b32_e32 v0, 3, v0
	v_and_b32_e32 v1, v1, v4
	v_cmp_gt_i32_e64 s13, 0, v5
	v_ashrrev_i32_e32 v3, 31, v3
	v_xor_b32_e32 v2, vcc_lo, v2
	v_add_lshl_u32 v4, v0, v32, 2
	v_and_b32_e32 v1, v1, v6
	s_delay_alu instid0(VALU_DEP_4) | instskip(SKIP_3) | instid1(VALU_DEP_2)
	v_xor_b32_e32 v0, s13, v3
	ds_load_b32 v23, v4 offset:32
	v_and_b32_e32 v1, v1, v2
	v_add_nc_u32_e32 v25, 32, v4
	; wave barrier
	v_and_b32_e32 v0, v1, v0
	s_delay_alu instid0(VALU_DEP_1) | instskip(SKIP_1) | instid1(VALU_DEP_2)
	v_mbcnt_lo_u32_b32 v24, v0, 0
	v_cmp_ne_u32_e64 s13, 0, v0
	v_cmp_eq_u32_e32 vcc_lo, 0, v24
	s_delay_alu instid0(VALU_DEP_2) | instskip(NEXT) | instid1(SALU_CYCLE_1)
	s_and_b32 s21, s13, vcc_lo
	s_and_saveexec_b32 s13, s21
	s_cbranch_execz .LBB88_23
; %bb.22:                               ;   in Loop: Header=BB88_19 Depth=1
	s_waitcnt lgkmcnt(0)
	v_bcnt_u32_b32 v0, v0, v23
	ds_store_b32 v25, v0
.LBB88_23:                              ;   in Loop: Header=BB88_19 Depth=1
	s_or_b32 exec_lo, exec_lo, s13
	v_lshrrev_b32_e32 v0, s14, v45
	; wave barrier
	s_delay_alu instid0(VALU_DEP_1) | instskip(NEXT) | instid1(VALU_DEP_1)
	v_and_b32_e32 v0, s20, v0
	v_and_b32_e32 v1, 1, v0
	v_lshlrev_b32_e32 v2, 30, v0
	v_lshlrev_b32_e32 v3, 29, v0
	;; [unrolled: 1-line block ×4, first 2 shown]
	v_add_co_u32 v1, s13, v1, -1
	s_delay_alu instid0(VALU_DEP_1)
	v_cndmask_b32_e64 v5, 0, 1, s13
	v_not_b32_e32 v47, v2
	v_cmp_gt_i32_e64 s13, 0, v2
	v_not_b32_e32 v2, v3
	v_lshlrev_b32_e32 v7, 26, v0
	v_cmp_ne_u32_e32 vcc_lo, 0, v5
	v_ashrrev_i32_e32 v47, 31, v47
	v_lshlrev_b32_e32 v26, 25, v0
	v_ashrrev_i32_e32 v2, 31, v2
	v_lshlrev_b32_e32 v5, 24, v0
	v_xor_b32_e32 v1, vcc_lo, v1
	v_cmp_gt_i32_e32 vcc_lo, 0, v3
	v_not_b32_e32 v3, v4
	v_xor_b32_e32 v47, s13, v47
	v_cmp_gt_i32_e64 s13, 0, v4
	v_and_b32_e32 v1, exec_lo, v1
	v_not_b32_e32 v4, v6
	v_ashrrev_i32_e32 v3, 31, v3
	v_xor_b32_e32 v2, vcc_lo, v2
	v_cmp_gt_i32_e32 vcc_lo, 0, v6
	v_and_b32_e32 v1, v1, v47
	v_not_b32_e32 v6, v7
	v_ashrrev_i32_e32 v4, 31, v4
	v_xor_b32_e32 v3, s13, v3
	v_cmp_gt_i32_e64 s13, 0, v7
	v_and_b32_e32 v1, v1, v2
	v_not_b32_e32 v2, v26
	v_ashrrev_i32_e32 v6, 31, v6
	v_xor_b32_e32 v4, vcc_lo, v4
	v_cmp_gt_i32_e32 vcc_lo, 0, v26
	v_and_b32_e32 v1, v1, v3
	v_not_b32_e32 v3, v5
	v_ashrrev_i32_e32 v2, 31, v2
	v_xor_b32_e32 v6, s13, v6
	v_lshlrev_b32_e32 v0, 3, v0
	v_and_b32_e32 v1, v1, v4
	v_cmp_gt_i32_e64 s13, 0, v5
	v_ashrrev_i32_e32 v3, 31, v3
	v_xor_b32_e32 v2, vcc_lo, v2
	v_add_lshl_u32 v4, v0, v32, 2
	v_and_b32_e32 v1, v1, v6
	s_delay_alu instid0(VALU_DEP_4) | instskip(SKIP_3) | instid1(VALU_DEP_2)
	v_xor_b32_e32 v0, s13, v3
	ds_load_b32 v26, v4 offset:32
	v_and_b32_e32 v1, v1, v2
	v_add_nc_u32_e32 v48, 32, v4
	; wave barrier
	v_and_b32_e32 v0, v1, v0
	s_delay_alu instid0(VALU_DEP_1) | instskip(SKIP_1) | instid1(VALU_DEP_2)
	v_mbcnt_lo_u32_b32 v47, v0, 0
	v_cmp_ne_u32_e64 s13, 0, v0
	v_cmp_eq_u32_e32 vcc_lo, 0, v47
	s_delay_alu instid0(VALU_DEP_2) | instskip(NEXT) | instid1(SALU_CYCLE_1)
	s_and_b32 s21, s13, vcc_lo
	s_and_saveexec_b32 s13, s21
	s_cbranch_execz .LBB88_25
; %bb.24:                               ;   in Loop: Header=BB88_19 Depth=1
	s_waitcnt lgkmcnt(0)
	v_bcnt_u32_b32 v0, v0, v26
	ds_store_b32 v48, v0
.LBB88_25:                              ;   in Loop: Header=BB88_19 Depth=1
	s_or_b32 exec_lo, exec_lo, s13
	v_lshrrev_b32_e32 v0, s14, v44
	; wave barrier
	s_delay_alu instid0(VALU_DEP_1) | instskip(NEXT) | instid1(VALU_DEP_1)
	v_and_b32_e32 v0, s20, v0
	v_and_b32_e32 v1, 1, v0
	v_lshlrev_b32_e32 v2, 30, v0
	v_lshlrev_b32_e32 v3, 29, v0
	;; [unrolled: 1-line block ×4, first 2 shown]
	v_add_co_u32 v1, s13, v1, -1
	s_delay_alu instid0(VALU_DEP_1)
	v_cndmask_b32_e64 v5, 0, 1, s13
	v_not_b32_e32 v50, v2
	v_cmp_gt_i32_e64 s13, 0, v2
	v_not_b32_e32 v2, v3
	v_lshlrev_b32_e32 v7, 26, v0
	v_cmp_ne_u32_e32 vcc_lo, 0, v5
	v_ashrrev_i32_e32 v50, 31, v50
	v_lshlrev_b32_e32 v49, 25, v0
	v_ashrrev_i32_e32 v2, 31, v2
	v_lshlrev_b32_e32 v5, 24, v0
	v_xor_b32_e32 v1, vcc_lo, v1
	v_cmp_gt_i32_e32 vcc_lo, 0, v3
	v_not_b32_e32 v3, v4
	v_xor_b32_e32 v50, s13, v50
	v_cmp_gt_i32_e64 s13, 0, v4
	v_and_b32_e32 v1, exec_lo, v1
	v_not_b32_e32 v4, v6
	v_ashrrev_i32_e32 v3, 31, v3
	v_xor_b32_e32 v2, vcc_lo, v2
	v_cmp_gt_i32_e32 vcc_lo, 0, v6
	v_and_b32_e32 v1, v1, v50
	v_not_b32_e32 v6, v7
	v_ashrrev_i32_e32 v4, 31, v4
	v_xor_b32_e32 v3, s13, v3
	v_cmp_gt_i32_e64 s13, 0, v7
	v_and_b32_e32 v1, v1, v2
	v_not_b32_e32 v2, v49
	v_ashrrev_i32_e32 v6, 31, v6
	v_xor_b32_e32 v4, vcc_lo, v4
	v_cmp_gt_i32_e32 vcc_lo, 0, v49
	v_and_b32_e32 v1, v1, v3
	v_not_b32_e32 v3, v5
	v_ashrrev_i32_e32 v2, 31, v2
	v_xor_b32_e32 v6, s13, v6
	v_lshlrev_b32_e32 v0, 3, v0
	v_and_b32_e32 v1, v1, v4
	v_cmp_gt_i32_e64 s13, 0, v5
	v_ashrrev_i32_e32 v3, 31, v3
	v_xor_b32_e32 v2, vcc_lo, v2
	v_add_lshl_u32 v4, v0, v32, 2
	v_and_b32_e32 v1, v1, v6
	s_delay_alu instid0(VALU_DEP_4) | instskip(SKIP_3) | instid1(VALU_DEP_2)
	v_xor_b32_e32 v0, s13, v3
	ds_load_b32 v49, v4 offset:32
	v_and_b32_e32 v1, v1, v2
	v_add_nc_u32_e32 v51, 32, v4
	; wave barrier
	v_and_b32_e32 v0, v1, v0
	s_delay_alu instid0(VALU_DEP_1) | instskip(SKIP_1) | instid1(VALU_DEP_2)
	v_mbcnt_lo_u32_b32 v50, v0, 0
	v_cmp_ne_u32_e64 s13, 0, v0
	v_cmp_eq_u32_e32 vcc_lo, 0, v50
	s_delay_alu instid0(VALU_DEP_2) | instskip(NEXT) | instid1(SALU_CYCLE_1)
	s_and_b32 s20, s13, vcc_lo
	s_and_saveexec_b32 s13, s20
	s_cbranch_execz .LBB88_27
; %bb.26:                               ;   in Loop: Header=BB88_19 Depth=1
	s_waitcnt lgkmcnt(0)
	v_bcnt_u32_b32 v0, v0, v49
	ds_store_b32 v51, v0
.LBB88_27:                              ;   in Loop: Header=BB88_19 Depth=1
	s_or_b32 exec_lo, exec_lo, s13
	; wave barrier
	s_waitcnt lgkmcnt(0)
	s_barrier
	buffer_gl0_inv
	ds_load_2addr_b64 v[4:7], v28 offset0:4 offset1:5
	ds_load_2addr_b64 v[0:3], v29 offset0:2 offset1:3
	s_waitcnt lgkmcnt(1)
	v_add_nc_u32_e32 v52, v5, v4
	s_delay_alu instid0(VALU_DEP_1) | instskip(SKIP_1) | instid1(VALU_DEP_1)
	v_add3_u32 v52, v52, v6, v7
	s_waitcnt lgkmcnt(0)
	v_add3_u32 v52, v52, v0, v1
	s_delay_alu instid0(VALU_DEP_1) | instskip(NEXT) | instid1(VALU_DEP_1)
	v_add3_u32 v3, v52, v2, v3
	v_mov_b32_dpp v52, v3 row_shr:1 row_mask:0xf bank_mask:0xf
	s_delay_alu instid0(VALU_DEP_1) | instskip(NEXT) | instid1(VALU_DEP_1)
	v_cndmask_b32_e64 v52, v52, 0, s2
	v_add_nc_u32_e32 v3, v52, v3
	s_delay_alu instid0(VALU_DEP_1) | instskip(NEXT) | instid1(VALU_DEP_1)
	v_mov_b32_dpp v52, v3 row_shr:2 row_mask:0xf bank_mask:0xf
	v_cndmask_b32_e64 v52, 0, v52, s3
	s_delay_alu instid0(VALU_DEP_1) | instskip(NEXT) | instid1(VALU_DEP_1)
	v_add_nc_u32_e32 v3, v3, v52
	v_mov_b32_dpp v52, v3 row_shr:4 row_mask:0xf bank_mask:0xf
	s_delay_alu instid0(VALU_DEP_1) | instskip(NEXT) | instid1(VALU_DEP_1)
	v_cndmask_b32_e64 v52, 0, v52, s4
	v_add_nc_u32_e32 v3, v3, v52
	s_delay_alu instid0(VALU_DEP_1) | instskip(NEXT) | instid1(VALU_DEP_1)
	v_mov_b32_dpp v52, v3 row_shr:8 row_mask:0xf bank_mask:0xf
	v_cndmask_b32_e64 v52, 0, v52, s5
	s_delay_alu instid0(VALU_DEP_1) | instskip(SKIP_3) | instid1(VALU_DEP_1)
	v_add_nc_u32_e32 v3, v3, v52
	ds_swizzle_b32 v52, v3 offset:swizzle(BROADCAST,32,15)
	s_waitcnt lgkmcnt(0)
	v_cndmask_b32_e64 v52, v52, 0, s6
	v_add_nc_u32_e32 v3, v3, v52
	s_and_saveexec_b32 s13, s7
	s_cbranch_execz .LBB88_29
; %bb.28:                               ;   in Loop: Header=BB88_19 Depth=1
	ds_store_b32 v33, v3
.LBB88_29:                              ;   in Loop: Header=BB88_19 Depth=1
	s_or_b32 exec_lo, exec_lo, s13
	s_waitcnt lgkmcnt(0)
	s_barrier
	buffer_gl0_inv
	s_and_saveexec_b32 s13, s0
	s_cbranch_execz .LBB88_31
; %bb.30:                               ;   in Loop: Header=BB88_19 Depth=1
	v_add_nc_u32_e32 v52, v28, v30
	ds_load_b32 v53, v52
	s_waitcnt lgkmcnt(0)
	v_mov_b32_dpp v54, v53 row_shr:1 row_mask:0xf bank_mask:0xf
	s_delay_alu instid0(VALU_DEP_1) | instskip(NEXT) | instid1(VALU_DEP_1)
	v_cndmask_b32_e64 v54, v54, 0, s10
	v_add_nc_u32_e32 v53, v54, v53
	s_delay_alu instid0(VALU_DEP_1) | instskip(NEXT) | instid1(VALU_DEP_1)
	v_mov_b32_dpp v54, v53 row_shr:2 row_mask:0xf bank_mask:0xf
	v_cndmask_b32_e64 v54, 0, v54, s11
	s_delay_alu instid0(VALU_DEP_1) | instskip(NEXT) | instid1(VALU_DEP_1)
	v_add_nc_u32_e32 v53, v53, v54
	v_mov_b32_dpp v54, v53 row_shr:4 row_mask:0xf bank_mask:0xf
	s_delay_alu instid0(VALU_DEP_1) | instskip(NEXT) | instid1(VALU_DEP_1)
	v_cndmask_b32_e64 v54, 0, v54, s12
	v_add_nc_u32_e32 v53, v53, v54
	ds_store_b32 v52, v53
.LBB88_31:                              ;   in Loop: Header=BB88_19 Depth=1
	s_or_b32 exec_lo, exec_lo, s13
	v_mov_b32_e32 v52, 0
	s_waitcnt lgkmcnt(0)
	s_barrier
	buffer_gl0_inv
	s_and_saveexec_b32 s13, s1
	s_cbranch_execz .LBB88_33
; %bb.32:                               ;   in Loop: Header=BB88_19 Depth=1
	ds_load_b32 v52, v34
.LBB88_33:                              ;   in Loop: Header=BB88_19 Depth=1
	s_or_b32 exec_lo, exec_lo, s13
	s_waitcnt lgkmcnt(0)
	v_add_nc_u32_e32 v3, v52, v3
	s_add_i32 s14, s14, 8
	s_delay_alu instid0(SALU_CYCLE_1) | instskip(SKIP_3) | instid1(VALU_DEP_1)
	s_cmp_ge_u32 s14, s17
	ds_bpermute_b32 v3, v31, v3
	s_waitcnt lgkmcnt(0)
	v_cndmask_b32_e64 v3, v3, v52, s8
	v_cndmask_b32_e64 v3, v3, 0, s9
	s_delay_alu instid0(VALU_DEP_1) | instskip(NEXT) | instid1(VALU_DEP_1)
	v_add_nc_u32_e32 v4, v3, v4
	v_add_nc_u32_e32 v5, v4, v5
	s_delay_alu instid0(VALU_DEP_1) | instskip(NEXT) | instid1(VALU_DEP_1)
	v_add_nc_u32_e32 v6, v5, v6
	v_add_nc_u32_e32 v52, v6, v7
	s_delay_alu instid0(VALU_DEP_1) | instskip(NEXT) | instid1(VALU_DEP_1)
	v_add_nc_u32_e32 v53, v52, v0
	v_add_nc_u32_e32 v0, v53, v1
	s_delay_alu instid0(VALU_DEP_1)
	v_add_nc_u32_e32 v1, v0, v2
	ds_store_2addr_b64 v28, v[3:4], v[5:6] offset0:4 offset1:5
	ds_store_2addr_b64 v29, v[52:53], v[0:1] offset0:2 offset1:3
	s_waitcnt lgkmcnt(0)
	s_barrier
	buffer_gl0_inv
	ds_load_b32 v0, v22
	ds_load_b32 v1, v25
	;; [unrolled: 1-line block ×4, first 2 shown]
	s_waitcnt lgkmcnt(0)
	v_add_nc_u32_e32 v48, v0, v21
	v_add3_u32 v7, v24, v23, v1
	v_add3_u32 v4, v47, v26, v2
	;; [unrolled: 1-line block ×3, first 2 shown]
	s_delay_alu instid0(VALU_DEP_4) | instskip(NEXT) | instid1(VALU_DEP_4)
	v_lshlrev_b32_e32 v52, 2, v48
	v_lshlrev_b32_e32 v51, 2, v7
	s_delay_alu instid0(VALU_DEP_4) | instskip(NEXT) | instid1(VALU_DEP_4)
	v_lshlrev_b32_e32 v50, 2, v4
	v_lshlrev_b32_e32 v49, 2, v0
	s_cbranch_scc0 .LBB88_18
; %bb.34:
                                        ; implicit-def: $vgpr3
                                        ; implicit-def: $vgpr2
                                        ; implicit-def: $vgpr1
                                        ; implicit-def: $vgpr47
                                        ; implicit-def: $sgpr14
                                        ; implicit-def: $vgpr5_vgpr6
                                        ; implicit-def: $vgpr21_vgpr22
                                        ; implicit-def: $vgpr23_vgpr24
                                        ; implicit-def: $vgpr25_vgpr26
.LBB88_35:
	v_add_nc_u32_e32 v1, v28, v30
	s_barrier
	buffer_gl0_inv
	ds_store_b32 v52, v43
	ds_store_b32 v51, v46
	;; [unrolled: 1-line block ×4, first 2 shown]
	s_waitcnt lgkmcnt(0)
	s_barrier
	buffer_gl0_inv
	ds_load_2addr_stride64_b32 v[9:10], v27 offset0:4 offset1:8
	ds_load_b32 v11, v1
	ds_load_b32 v12, v27 offset:3072
	v_lshl_add_u32 v1, v48, 2, v52
	v_lshl_add_u32 v2, v7, 2, v51
	;; [unrolled: 1-line block ×3, first 2 shown]
	s_waitcnt lgkmcnt(0)
	s_barrier
	buffer_gl0_inv
	v_lshl_add_u32 v0, v0, 2, v49
	ds_store_b64 v1, v[19:20]
	ds_store_b64 v2, v[17:18]
	;; [unrolled: 1-line block ×3, first 2 shown]
	v_add_nc_u32_e32 v1, v27, v27
	s_add_u32 s0, s18, s26
	s_addc_u32 s1, s19, s27
	ds_store_b64 v0, v[13:14]
	s_waitcnt lgkmcnt(0)
	s_barrier
	buffer_gl0_inv
	ds_load_2addr_stride64_b64 v[4:7], v1 offset1:4
	ds_load_2addr_stride64_b64 v[0:3], v1 offset0:8 offset1:12
	s_mov_b32 s2, 0
	v_xor_b32_e32 v13, 0x80000000, v9
	v_add_co_u32 v9, s0, s0, v27
	v_xor_b32_e32 v15, 0x80000000, v11
	v_xor_b32_e32 v14, 0x80000000, v10
	;; [unrolled: 1-line block ×3, first 2 shown]
	v_add_co_ci_u32_e64 v10, null, s1, 0, s0
	v_lshlrev_b32_e32 v11, 3, v8
	s_and_not1_b32 vcc_lo, exec_lo, s28
	s_mov_b32 s0, -1
	s_cbranch_vccz .LBB88_39
; %bb.36:
	s_and_not1_b32 vcc_lo, exec_lo, s0
	s_cbranch_vccz .LBB88_40
.LBB88_37:
	s_and_saveexec_b32 s0, s2
	s_cbranch_execnz .LBB88_53
.LBB88_38:
	s_nop 0
	s_sendmsg sendmsg(MSG_DEALLOC_VGPRS)
	s_endpgm
.LBB88_39:
	s_lshl_b64 s[0:1], s[24:25], 3
	s_mov_b32 s2, -1
	s_add_u32 s4, s22, s0
	s_addc_u32 s5, s23, s1
	v_add_co_u32 v16, s0, s4, v11
	s_delay_alu instid0(VALU_DEP_1) | instskip(NEXT) | instid1(VALU_DEP_2)
	v_add_co_ci_u32_e64 v17, null, s5, 0, s0
	v_add_co_u32 v16, vcc_lo, 0x1000, v16
	s_delay_alu instid0(VALU_DEP_2)
	v_add_co_ci_u32_e32 v17, vcc_lo, 0, v17, vcc_lo
	s_clause 0x3
	global_store_b32 v[9:10], v15, off
	global_store_b32 v[9:10], v13, off offset:1024
	global_store_b32 v[9:10], v14, off offset:2048
	;; [unrolled: 1-line block ×3, first 2 shown]
	s_waitcnt lgkmcnt(1)
	s_clause 0x1
	global_store_b64 v11, v[6:7], s[4:5] offset:2048
	global_store_b64 v11, v[4:5], s[4:5]
	s_waitcnt lgkmcnt(0)
	global_store_b64 v[16:17], v[0:1], off
	s_cbranch_execnz .LBB88_37
.LBB88_40:
	v_cmp_gt_u32_e32 vcc_lo, s16, v8
	s_and_saveexec_b32 s0, vcc_lo
	s_cbranch_execz .LBB88_42
; %bb.41:
	global_store_b32 v[9:10], v15, off
.LBB88_42:
	s_or_b32 exec_lo, exec_lo, s0
	v_add_nc_u32_e32 v15, 0x100, v8
	s_delay_alu instid0(VALU_DEP_1) | instskip(NEXT) | instid1(VALU_DEP_1)
	v_cmp_gt_u32_e64 s0, s16, v15
	s_and_saveexec_b32 s1, s0
	s_cbranch_execz .LBB88_44
; %bb.43:
	global_store_b32 v[9:10], v13, off offset:1024
.LBB88_44:
	s_or_b32 exec_lo, exec_lo, s1
	v_add_nc_u32_e32 v13, 0x200, v8
	s_delay_alu instid0(VALU_DEP_1) | instskip(NEXT) | instid1(VALU_DEP_1)
	v_cmp_gt_u32_e64 s1, s16, v13
	s_and_saveexec_b32 s2, s1
	s_cbranch_execz .LBB88_46
; %bb.45:
	global_store_b32 v[9:10], v14, off offset:2048
.LBB88_46:
	;; [unrolled: 9-line block ×3, first 2 shown]
	s_or_b32 exec_lo, exec_lo, s3
	s_lshl_b64 s[4:5], s[24:25], 3
	s_delay_alu instid0(SALU_CYCLE_1) | instskip(SKIP_2) | instid1(VALU_DEP_1)
	s_add_u32 s3, s22, s4
	s_addc_u32 s4, s23, s5
	v_add_co_u32 v8, s3, s3, v11
	v_add_co_ci_u32_e64 v9, null, s4, 0, s3
	s_and_saveexec_b32 s3, vcc_lo
	s_cbranch_execnz .LBB88_57
; %bb.49:
	s_or_b32 exec_lo, exec_lo, s3
	s_and_saveexec_b32 s3, s0
	s_cbranch_execnz .LBB88_58
.LBB88_50:
	s_or_b32 exec_lo, exec_lo, s3
	s_and_saveexec_b32 s0, s1
	s_cbranch_execz .LBB88_52
.LBB88_51:
	s_waitcnt lgkmcnt(1)
	v_add_co_u32 v4, vcc_lo, 0x1000, v8
	v_add_co_ci_u32_e32 v5, vcc_lo, 0, v9, vcc_lo
	s_waitcnt lgkmcnt(0)
	global_store_b64 v[4:5], v[0:1], off
.LBB88_52:
	s_or_b32 exec_lo, exec_lo, s0
	s_and_saveexec_b32 s0, s2
	s_cbranch_execz .LBB88_38
.LBB88_53:
	s_lshl_b64 s[0:1], s[24:25], 3
	s_delay_alu instid0(SALU_CYCLE_1) | instskip(SKIP_3) | instid1(VALU_DEP_1)
	s_add_u32 s0, s22, s0
	s_addc_u32 s1, s23, s1
	s_waitcnt lgkmcnt(0)
	v_add_co_u32 v0, s0, s0, v11
	v_add_co_ci_u32_e64 v1, null, s1, 0, s0
	s_delay_alu instid0(VALU_DEP_2) | instskip(NEXT) | instid1(VALU_DEP_2)
	v_add_co_u32 v0, vcc_lo, 0x1000, v0
	v_add_co_ci_u32_e32 v1, vcc_lo, 0, v1, vcc_lo
	global_store_b64 v[0:1], v[2:3], off offset:2048
	s_nop 0
	s_sendmsg sendmsg(MSG_DEALLOC_VGPRS)
	s_endpgm
.LBB88_54:
	global_load_b64 v[5:6], v[9:10], off
	s_or_b32 exec_lo, exec_lo, s5
                                        ; implicit-def: $vgpr21_vgpr22
	s_and_saveexec_b32 s5, s2
	s_cbranch_execz .LBB88_13
.LBB88_55:
	global_load_b64 v[21:22], v[9:10], off offset:256
	s_or_b32 exec_lo, exec_lo, s5
                                        ; implicit-def: $vgpr23_vgpr24
	s_and_saveexec_b32 s2, s3
	s_cbranch_execz .LBB88_14
.LBB88_56:
	global_load_b64 v[23:24], v[9:10], off offset:512
	s_or_b32 exec_lo, exec_lo, s2
                                        ; implicit-def: $vgpr25_vgpr26
	s_and_saveexec_b32 s2, s4
	s_cbranch_execnz .LBB88_15
	s_branch .LBB88_16
.LBB88_57:
	s_waitcnt lgkmcnt(1)
	global_store_b64 v[8:9], v[4:5], off
	s_or_b32 exec_lo, exec_lo, s3
	s_and_saveexec_b32 s3, s0
	s_cbranch_execz .LBB88_50
.LBB88_58:
	s_waitcnt lgkmcnt(1)
	global_store_b64 v[8:9], v[6:7], off offset:2048
	s_or_b32 exec_lo, exec_lo, s3
	s_and_saveexec_b32 s0, s1
	s_cbranch_execnz .LBB88_51
	s_branch .LBB88_52
	.section	.rodata,"a",@progbits
	.p2align	6, 0x0
	.amdhsa_kernel _ZN7rocprim17ROCPRIM_304000_NS6detail28radix_sort_block_sort_kernelINS1_36wrapped_radix_sort_block_sort_configINS0_13kernel_configILj256ELj4ELj4294967295EEEiN2at4cuda3cub6detail10OpaqueTypeILi8EEEEELb0EPKiPiPKSB_PSB_NS0_19identity_decomposerEEEvT1_T2_T3_T4_jT5_jj
		.amdhsa_group_segment_fixed_size 8224
		.amdhsa_private_segment_fixed_size 0
		.amdhsa_kernarg_size 304
		.amdhsa_user_sgpr_count 15
		.amdhsa_user_sgpr_dispatch_ptr 0
		.amdhsa_user_sgpr_queue_ptr 0
		.amdhsa_user_sgpr_kernarg_segment_ptr 1
		.amdhsa_user_sgpr_dispatch_id 0
		.amdhsa_user_sgpr_private_segment_size 0
		.amdhsa_wavefront_size32 1
		.amdhsa_uses_dynamic_stack 0
		.amdhsa_enable_private_segment 0
		.amdhsa_system_sgpr_workgroup_id_x 1
		.amdhsa_system_sgpr_workgroup_id_y 0
		.amdhsa_system_sgpr_workgroup_id_z 0
		.amdhsa_system_sgpr_workgroup_info 0
		.amdhsa_system_vgpr_workitem_id 2
		.amdhsa_next_free_vgpr 55
		.amdhsa_next_free_sgpr 32
		.amdhsa_reserve_vcc 1
		.amdhsa_float_round_mode_32 0
		.amdhsa_float_round_mode_16_64 0
		.amdhsa_float_denorm_mode_32 3
		.amdhsa_float_denorm_mode_16_64 3
		.amdhsa_dx10_clamp 1
		.amdhsa_ieee_mode 1
		.amdhsa_fp16_overflow 0
		.amdhsa_workgroup_processor_mode 1
		.amdhsa_memory_ordered 1
		.amdhsa_forward_progress 0
		.amdhsa_shared_vgpr_count 0
		.amdhsa_exception_fp_ieee_invalid_op 0
		.amdhsa_exception_fp_denorm_src 0
		.amdhsa_exception_fp_ieee_div_zero 0
		.amdhsa_exception_fp_ieee_overflow 0
		.amdhsa_exception_fp_ieee_underflow 0
		.amdhsa_exception_fp_ieee_inexact 0
		.amdhsa_exception_int_div_zero 0
	.end_amdhsa_kernel
	.section	.text._ZN7rocprim17ROCPRIM_304000_NS6detail28radix_sort_block_sort_kernelINS1_36wrapped_radix_sort_block_sort_configINS0_13kernel_configILj256ELj4ELj4294967295EEEiN2at4cuda3cub6detail10OpaqueTypeILi8EEEEELb0EPKiPiPKSB_PSB_NS0_19identity_decomposerEEEvT1_T2_T3_T4_jT5_jj,"axG",@progbits,_ZN7rocprim17ROCPRIM_304000_NS6detail28radix_sort_block_sort_kernelINS1_36wrapped_radix_sort_block_sort_configINS0_13kernel_configILj256ELj4ELj4294967295EEEiN2at4cuda3cub6detail10OpaqueTypeILi8EEEEELb0EPKiPiPKSB_PSB_NS0_19identity_decomposerEEEvT1_T2_T3_T4_jT5_jj,comdat
.Lfunc_end88:
	.size	_ZN7rocprim17ROCPRIM_304000_NS6detail28radix_sort_block_sort_kernelINS1_36wrapped_radix_sort_block_sort_configINS0_13kernel_configILj256ELj4ELj4294967295EEEiN2at4cuda3cub6detail10OpaqueTypeILi8EEEEELb0EPKiPiPKSB_PSB_NS0_19identity_decomposerEEEvT1_T2_T3_T4_jT5_jj, .Lfunc_end88-_ZN7rocprim17ROCPRIM_304000_NS6detail28radix_sort_block_sort_kernelINS1_36wrapped_radix_sort_block_sort_configINS0_13kernel_configILj256ELj4ELj4294967295EEEiN2at4cuda3cub6detail10OpaqueTypeILi8EEEEELb0EPKiPiPKSB_PSB_NS0_19identity_decomposerEEEvT1_T2_T3_T4_jT5_jj
                                        ; -- End function
	.section	.AMDGPU.csdata,"",@progbits
; Kernel info:
; codeLenInByte = 4148
; NumSgprs: 34
; NumVgprs: 55
; ScratchSize: 0
; MemoryBound: 0
; FloatMode: 240
; IeeeMode: 1
; LDSByteSize: 8224 bytes/workgroup (compile time only)
; SGPRBlocks: 4
; VGPRBlocks: 6
; NumSGPRsForWavesPerEU: 34
; NumVGPRsForWavesPerEU: 55
; Occupancy: 16
; WaveLimiterHint : 1
; COMPUTE_PGM_RSRC2:SCRATCH_EN: 0
; COMPUTE_PGM_RSRC2:USER_SGPR: 15
; COMPUTE_PGM_RSRC2:TRAP_HANDLER: 0
; COMPUTE_PGM_RSRC2:TGID_X_EN: 1
; COMPUTE_PGM_RSRC2:TGID_Y_EN: 0
; COMPUTE_PGM_RSRC2:TGID_Z_EN: 0
; COMPUTE_PGM_RSRC2:TIDIG_COMP_CNT: 2
	.section	.text._ZN7rocprim17ROCPRIM_304000_NS6detail45device_block_merge_mergepath_partition_kernelINS1_37wrapped_merge_sort_block_merge_configINS0_14default_configEiN2at4cuda3cub6detail10OpaqueTypeILi8EEEEEPijNS1_19radix_merge_compareILb0ELb0EiNS0_19identity_decomposerEEEEEvT0_T1_jPSH_T2_SH_,"axG",@progbits,_ZN7rocprim17ROCPRIM_304000_NS6detail45device_block_merge_mergepath_partition_kernelINS1_37wrapped_merge_sort_block_merge_configINS0_14default_configEiN2at4cuda3cub6detail10OpaqueTypeILi8EEEEEPijNS1_19radix_merge_compareILb0ELb0EiNS0_19identity_decomposerEEEEEvT0_T1_jPSH_T2_SH_,comdat
	.protected	_ZN7rocprim17ROCPRIM_304000_NS6detail45device_block_merge_mergepath_partition_kernelINS1_37wrapped_merge_sort_block_merge_configINS0_14default_configEiN2at4cuda3cub6detail10OpaqueTypeILi8EEEEEPijNS1_19radix_merge_compareILb0ELb0EiNS0_19identity_decomposerEEEEEvT0_T1_jPSH_T2_SH_ ; -- Begin function _ZN7rocprim17ROCPRIM_304000_NS6detail45device_block_merge_mergepath_partition_kernelINS1_37wrapped_merge_sort_block_merge_configINS0_14default_configEiN2at4cuda3cub6detail10OpaqueTypeILi8EEEEEPijNS1_19radix_merge_compareILb0ELb0EiNS0_19identity_decomposerEEEEEvT0_T1_jPSH_T2_SH_
	.globl	_ZN7rocprim17ROCPRIM_304000_NS6detail45device_block_merge_mergepath_partition_kernelINS1_37wrapped_merge_sort_block_merge_configINS0_14default_configEiN2at4cuda3cub6detail10OpaqueTypeILi8EEEEEPijNS1_19radix_merge_compareILb0ELb0EiNS0_19identity_decomposerEEEEEvT0_T1_jPSH_T2_SH_
	.p2align	8
	.type	_ZN7rocprim17ROCPRIM_304000_NS6detail45device_block_merge_mergepath_partition_kernelINS1_37wrapped_merge_sort_block_merge_configINS0_14default_configEiN2at4cuda3cub6detail10OpaqueTypeILi8EEEEEPijNS1_19radix_merge_compareILb0ELb0EiNS0_19identity_decomposerEEEEEvT0_T1_jPSH_T2_SH_,@function
_ZN7rocprim17ROCPRIM_304000_NS6detail45device_block_merge_mergepath_partition_kernelINS1_37wrapped_merge_sort_block_merge_configINS0_14default_configEiN2at4cuda3cub6detail10OpaqueTypeILi8EEEEEPijNS1_19radix_merge_compareILb0ELb0EiNS0_19identity_decomposerEEEEEvT0_T1_jPSH_T2_SH_: ; @_ZN7rocprim17ROCPRIM_304000_NS6detail45device_block_merge_mergepath_partition_kernelINS1_37wrapped_merge_sort_block_merge_configINS0_14default_configEiN2at4cuda3cub6detail10OpaqueTypeILi8EEEEEPijNS1_19radix_merge_compareILb0ELb0EiNS0_19identity_decomposerEEEEEvT0_T1_jPSH_T2_SH_
; %bb.0:
	s_load_b64 s[2:3], s[0:1], 0x8
	v_lshl_or_b32 v0, s15, 7, v0
	s_waitcnt lgkmcnt(0)
	s_delay_alu instid0(VALU_DEP_1)
	v_cmp_gt_u32_e32 vcc_lo, s3, v0
	s_and_saveexec_b32 s3, vcc_lo
	s_cbranch_execz .LBB89_6
; %bb.1:
	s_load_b32 s3, s[0:1], 0x1c
	s_waitcnt lgkmcnt(0)
	s_lshr_b32 s4, s3, 9
	s_delay_alu instid0(SALU_CYCLE_1) | instskip(NEXT) | instid1(SALU_CYCLE_1)
	s_and_b32 s4, s4, 0x7ffffe
	s_sub_i32 s5, 0, s4
	s_add_i32 s4, s4, -1
	v_and_b32_e32 v1, s5, v0
	v_and_b32_e32 v5, s4, v0
	s_delay_alu instid0(VALU_DEP_2) | instskip(NEXT) | instid1(VALU_DEP_1)
	v_lshlrev_b32_e32 v1, 10, v1
	v_add_nc_u32_e32 v2, s3, v1
	s_delay_alu instid0(VALU_DEP_1) | instskip(SKIP_1) | instid1(VALU_DEP_2)
	v_min_u32_e32 v4, s2, v2
	v_min_u32_e32 v2, s2, v1
	v_add_nc_u32_e32 v3, s3, v4
	s_delay_alu instid0(VALU_DEP_1) | instskip(SKIP_2) | instid1(VALU_DEP_2)
	v_min_u32_e32 v1, s2, v3
	v_lshlrev_b32_e32 v3, 10, v5
	s_mov_b32 s2, exec_lo
	v_sub_nc_u32_e32 v5, v1, v2
	v_sub_nc_u32_e32 v6, v1, v4
	s_delay_alu instid0(VALU_DEP_2) | instskip(SKIP_1) | instid1(VALU_DEP_2)
	v_min_u32_e32 v1, v5, v3
	v_sub_nc_u32_e32 v3, v4, v2
	v_sub_nc_u32_e64 v6, v1, v6 clamp
	s_delay_alu instid0(VALU_DEP_2) | instskip(NEXT) | instid1(VALU_DEP_1)
	v_min_u32_e32 v7, v1, v3
	v_cmpx_lt_u32_e64 v6, v7
	s_cbranch_execz .LBB89_5
; %bb.2:
	s_load_b64 s[4:5], s[0:1], 0x0
	v_mov_b32_e32 v5, 0
	s_mov_b32 s3, 0
	s_delay_alu instid0(VALU_DEP_1) | instskip(SKIP_1) | instid1(VALU_DEP_2)
	v_mov_b32_e32 v3, v5
	v_lshlrev_b64 v[10:11], 2, v[4:5]
	v_lshlrev_b64 v[8:9], 2, v[2:3]
	s_waitcnt lgkmcnt(0)
	s_delay_alu instid0(VALU_DEP_1) | instskip(NEXT) | instid1(VALU_DEP_2)
	v_add_co_u32 v3, vcc_lo, s4, v8
	v_add_co_ci_u32_e32 v8, vcc_lo, s5, v9, vcc_lo
	s_delay_alu instid0(VALU_DEP_4)
	v_add_co_u32 v9, vcc_lo, s4, v10
	v_add_co_ci_u32_e32 v10, vcc_lo, s5, v11, vcc_lo
	.p2align	6
.LBB89_3:                               ; =>This Inner Loop Header: Depth=1
	v_add_nc_u32_e32 v4, v7, v6
	s_delay_alu instid0(VALU_DEP_1) | instskip(SKIP_1) | instid1(VALU_DEP_2)
	v_lshrrev_b32_e32 v4, 1, v4
	v_mov_b32_e32 v12, v5
	v_xad_u32 v11, v4, -1, v1
	v_lshlrev_b64 v[13:14], 2, v[4:5]
	s_delay_alu instid0(VALU_DEP_2) | instskip(NEXT) | instid1(VALU_DEP_2)
	v_lshlrev_b64 v[11:12], 2, v[11:12]
	v_add_co_u32 v13, vcc_lo, v3, v13
	s_delay_alu instid0(VALU_DEP_3) | instskip(NEXT) | instid1(VALU_DEP_3)
	v_add_co_ci_u32_e32 v14, vcc_lo, v8, v14, vcc_lo
	v_add_co_u32 v11, vcc_lo, v9, v11
	s_delay_alu instid0(VALU_DEP_4)
	v_add_co_ci_u32_e32 v12, vcc_lo, v10, v12, vcc_lo
	s_clause 0x1
	global_load_b32 v13, v[13:14], off
	global_load_b32 v11, v[11:12], off
	v_add_nc_u32_e32 v12, 1, v4
	s_waitcnt vmcnt(0)
	v_cmp_gt_i32_e32 vcc_lo, v13, v11
	s_delay_alu instid0(VALU_DEP_2) | instskip(NEXT) | instid1(VALU_DEP_1)
	v_dual_cndmask_b32 v7, v7, v4 :: v_dual_cndmask_b32 v6, v12, v6
	v_cmp_ge_u32_e32 vcc_lo, v6, v7
	s_or_b32 s3, vcc_lo, s3
	s_delay_alu instid0(SALU_CYCLE_1)
	s_and_not1_b32 exec_lo, exec_lo, s3
	s_cbranch_execnz .LBB89_3
; %bb.4:
	s_or_b32 exec_lo, exec_lo, s3
.LBB89_5:
	s_delay_alu instid0(SALU_CYCLE_1) | instskip(SKIP_2) | instid1(VALU_DEP_1)
	s_or_b32 exec_lo, exec_lo, s2
	s_load_b64 s[0:1], s[0:1], 0x10
	v_dual_mov_b32 v1, 0 :: v_dual_add_nc_u32 v2, v6, v2
	v_lshlrev_b64 v[0:1], 2, v[0:1]
	s_waitcnt lgkmcnt(0)
	s_delay_alu instid0(VALU_DEP_1) | instskip(NEXT) | instid1(VALU_DEP_2)
	v_add_co_u32 v0, vcc_lo, s0, v0
	v_add_co_ci_u32_e32 v1, vcc_lo, s1, v1, vcc_lo
	global_store_b32 v[0:1], v2, off
.LBB89_6:
	s_nop 0
	s_sendmsg sendmsg(MSG_DEALLOC_VGPRS)
	s_endpgm
	.section	.rodata,"a",@progbits
	.p2align	6, 0x0
	.amdhsa_kernel _ZN7rocprim17ROCPRIM_304000_NS6detail45device_block_merge_mergepath_partition_kernelINS1_37wrapped_merge_sort_block_merge_configINS0_14default_configEiN2at4cuda3cub6detail10OpaqueTypeILi8EEEEEPijNS1_19radix_merge_compareILb0ELb0EiNS0_19identity_decomposerEEEEEvT0_T1_jPSH_T2_SH_
		.amdhsa_group_segment_fixed_size 0
		.amdhsa_private_segment_fixed_size 0
		.amdhsa_kernarg_size 32
		.amdhsa_user_sgpr_count 15
		.amdhsa_user_sgpr_dispatch_ptr 0
		.amdhsa_user_sgpr_queue_ptr 0
		.amdhsa_user_sgpr_kernarg_segment_ptr 1
		.amdhsa_user_sgpr_dispatch_id 0
		.amdhsa_user_sgpr_private_segment_size 0
		.amdhsa_wavefront_size32 1
		.amdhsa_uses_dynamic_stack 0
		.amdhsa_enable_private_segment 0
		.amdhsa_system_sgpr_workgroup_id_x 1
		.amdhsa_system_sgpr_workgroup_id_y 0
		.amdhsa_system_sgpr_workgroup_id_z 0
		.amdhsa_system_sgpr_workgroup_info 0
		.amdhsa_system_vgpr_workitem_id 0
		.amdhsa_next_free_vgpr 15
		.amdhsa_next_free_sgpr 16
		.amdhsa_reserve_vcc 1
		.amdhsa_float_round_mode_32 0
		.amdhsa_float_round_mode_16_64 0
		.amdhsa_float_denorm_mode_32 3
		.amdhsa_float_denorm_mode_16_64 3
		.amdhsa_dx10_clamp 1
		.amdhsa_ieee_mode 1
		.amdhsa_fp16_overflow 0
		.amdhsa_workgroup_processor_mode 1
		.amdhsa_memory_ordered 1
		.amdhsa_forward_progress 0
		.amdhsa_shared_vgpr_count 0
		.amdhsa_exception_fp_ieee_invalid_op 0
		.amdhsa_exception_fp_denorm_src 0
		.amdhsa_exception_fp_ieee_div_zero 0
		.amdhsa_exception_fp_ieee_overflow 0
		.amdhsa_exception_fp_ieee_underflow 0
		.amdhsa_exception_fp_ieee_inexact 0
		.amdhsa_exception_int_div_zero 0
	.end_amdhsa_kernel
	.section	.text._ZN7rocprim17ROCPRIM_304000_NS6detail45device_block_merge_mergepath_partition_kernelINS1_37wrapped_merge_sort_block_merge_configINS0_14default_configEiN2at4cuda3cub6detail10OpaqueTypeILi8EEEEEPijNS1_19radix_merge_compareILb0ELb0EiNS0_19identity_decomposerEEEEEvT0_T1_jPSH_T2_SH_,"axG",@progbits,_ZN7rocprim17ROCPRIM_304000_NS6detail45device_block_merge_mergepath_partition_kernelINS1_37wrapped_merge_sort_block_merge_configINS0_14default_configEiN2at4cuda3cub6detail10OpaqueTypeILi8EEEEEPijNS1_19radix_merge_compareILb0ELb0EiNS0_19identity_decomposerEEEEEvT0_T1_jPSH_T2_SH_,comdat
.Lfunc_end89:
	.size	_ZN7rocprim17ROCPRIM_304000_NS6detail45device_block_merge_mergepath_partition_kernelINS1_37wrapped_merge_sort_block_merge_configINS0_14default_configEiN2at4cuda3cub6detail10OpaqueTypeILi8EEEEEPijNS1_19radix_merge_compareILb0ELb0EiNS0_19identity_decomposerEEEEEvT0_T1_jPSH_T2_SH_, .Lfunc_end89-_ZN7rocprim17ROCPRIM_304000_NS6detail45device_block_merge_mergepath_partition_kernelINS1_37wrapped_merge_sort_block_merge_configINS0_14default_configEiN2at4cuda3cub6detail10OpaqueTypeILi8EEEEEPijNS1_19radix_merge_compareILb0ELb0EiNS0_19identity_decomposerEEEEEvT0_T1_jPSH_T2_SH_
                                        ; -- End function
	.section	.AMDGPU.csdata,"",@progbits
; Kernel info:
; codeLenInByte = 464
; NumSgprs: 18
; NumVgprs: 15
; ScratchSize: 0
; MemoryBound: 0
; FloatMode: 240
; IeeeMode: 1
; LDSByteSize: 0 bytes/workgroup (compile time only)
; SGPRBlocks: 2
; VGPRBlocks: 1
; NumSGPRsForWavesPerEU: 18
; NumVGPRsForWavesPerEU: 15
; Occupancy: 16
; WaveLimiterHint : 0
; COMPUTE_PGM_RSRC2:SCRATCH_EN: 0
; COMPUTE_PGM_RSRC2:USER_SGPR: 15
; COMPUTE_PGM_RSRC2:TRAP_HANDLER: 0
; COMPUTE_PGM_RSRC2:TGID_X_EN: 1
; COMPUTE_PGM_RSRC2:TGID_Y_EN: 0
; COMPUTE_PGM_RSRC2:TGID_Z_EN: 0
; COMPUTE_PGM_RSRC2:TIDIG_COMP_CNT: 0
	.section	.text._ZN7rocprim17ROCPRIM_304000_NS6detail35device_block_merge_mergepath_kernelINS1_37wrapped_merge_sort_block_merge_configINS0_14default_configEiN2at4cuda3cub6detail10OpaqueTypeILi8EEEEEPiSC_PSA_SD_jNS1_19radix_merge_compareILb0ELb0EiNS0_19identity_decomposerEEEEEvT0_T1_T2_T3_T4_SL_jT5_PKSL_NS1_7vsmem_tE,"axG",@progbits,_ZN7rocprim17ROCPRIM_304000_NS6detail35device_block_merge_mergepath_kernelINS1_37wrapped_merge_sort_block_merge_configINS0_14default_configEiN2at4cuda3cub6detail10OpaqueTypeILi8EEEEEPiSC_PSA_SD_jNS1_19radix_merge_compareILb0ELb0EiNS0_19identity_decomposerEEEEEvT0_T1_T2_T3_T4_SL_jT5_PKSL_NS1_7vsmem_tE,comdat
	.protected	_ZN7rocprim17ROCPRIM_304000_NS6detail35device_block_merge_mergepath_kernelINS1_37wrapped_merge_sort_block_merge_configINS0_14default_configEiN2at4cuda3cub6detail10OpaqueTypeILi8EEEEEPiSC_PSA_SD_jNS1_19radix_merge_compareILb0ELb0EiNS0_19identity_decomposerEEEEEvT0_T1_T2_T3_T4_SL_jT5_PKSL_NS1_7vsmem_tE ; -- Begin function _ZN7rocprim17ROCPRIM_304000_NS6detail35device_block_merge_mergepath_kernelINS1_37wrapped_merge_sort_block_merge_configINS0_14default_configEiN2at4cuda3cub6detail10OpaqueTypeILi8EEEEEPiSC_PSA_SD_jNS1_19radix_merge_compareILb0ELb0EiNS0_19identity_decomposerEEEEEvT0_T1_T2_T3_T4_SL_jT5_PKSL_NS1_7vsmem_tE
	.globl	_ZN7rocprim17ROCPRIM_304000_NS6detail35device_block_merge_mergepath_kernelINS1_37wrapped_merge_sort_block_merge_configINS0_14default_configEiN2at4cuda3cub6detail10OpaqueTypeILi8EEEEEPiSC_PSA_SD_jNS1_19radix_merge_compareILb0ELb0EiNS0_19identity_decomposerEEEEEvT0_T1_T2_T3_T4_SL_jT5_PKSL_NS1_7vsmem_tE
	.p2align	8
	.type	_ZN7rocprim17ROCPRIM_304000_NS6detail35device_block_merge_mergepath_kernelINS1_37wrapped_merge_sort_block_merge_configINS0_14default_configEiN2at4cuda3cub6detail10OpaqueTypeILi8EEEEEPiSC_PSA_SD_jNS1_19radix_merge_compareILb0ELb0EiNS0_19identity_decomposerEEEEEvT0_T1_T2_T3_T4_SL_jT5_PKSL_NS1_7vsmem_tE,@function
_ZN7rocprim17ROCPRIM_304000_NS6detail35device_block_merge_mergepath_kernelINS1_37wrapped_merge_sort_block_merge_configINS0_14default_configEiN2at4cuda3cub6detail10OpaqueTypeILi8EEEEEPiSC_PSA_SD_jNS1_19radix_merge_compareILb0ELb0EiNS0_19identity_decomposerEEEEEvT0_T1_T2_T3_T4_SL_jT5_PKSL_NS1_7vsmem_tE: ; @_ZN7rocprim17ROCPRIM_304000_NS6detail35device_block_merge_mergepath_kernelINS1_37wrapped_merge_sort_block_merge_configINS0_14default_configEiN2at4cuda3cub6detail10OpaqueTypeILi8EEEEEPiSC_PSA_SD_jNS1_19radix_merge_compareILb0ELb0EiNS0_19identity_decomposerEEEEEvT0_T1_T2_T3_T4_SL_jT5_PKSL_NS1_7vsmem_tE
; %bb.0:
	s_clause 0x1
	s_load_b64 s[22:23], s[0:1], 0x40
	s_load_b128 s[16:19], s[0:1], 0x20
	s_add_u32 s20, s0, 64
	s_addc_u32 s21, s1, 0
	s_waitcnt lgkmcnt(0)
	s_mul_i32 s2, s23, s15
	s_delay_alu instid0(SALU_CYCLE_1) | instskip(NEXT) | instid1(SALU_CYCLE_1)
	s_add_i32 s2, s2, s14
	s_mul_i32 s2, s2, s22
	s_delay_alu instid0(SALU_CYCLE_1) | instskip(NEXT) | instid1(SALU_CYCLE_1)
	s_add_i32 s2, s2, s13
	s_cmp_ge_u32 s2, s18
	s_cbranch_scc1 .LBB90_53
; %bb.1:
	s_load_b64 s[4:5], s[0:1], 0x30
	s_lshr_b32 s27, s16, 10
	s_mov_b32 s15, 0
	s_cmp_lg_u32 s2, s27
	s_mov_b32 s3, s15
	s_cselect_b32 s23, -1, 0
	s_lshl_b64 s[6:7], s[2:3], 2
	v_mov_b32_e32 v4, 0
	s_mov_b32 s19, s15
	v_lshlrev_b32_e32 v5, 2, v0
	s_waitcnt lgkmcnt(0)
	s_add_u32 s4, s4, s6
	s_addc_u32 s5, s5, s7
	s_lshl_b32 s12, s2, 10
	s_load_b64 s[24:25], s[4:5], 0x0
	s_load_b256 s[4:11], s[0:1], 0x0
	global_load_b32 v1, v4, s[20:21] offset:14
	s_lshr_b32 s0, s17, 9
	s_delay_alu instid0(SALU_CYCLE_1) | instskip(NEXT) | instid1(SALU_CYCLE_1)
	s_and_b32 s0, s0, 0x7ffffe
	s_sub_i32 s0, 0, s0
	s_delay_alu instid0(SALU_CYCLE_1)
	s_and_b32 s1, s2, s0
	s_or_b32 s0, s2, s0
	s_lshl_b32 s3, s1, 11
	s_lshl_b32 s1, s1, 10
	s_add_i32 s3, s3, s17
	s_sub_i32 s14, s12, s1
	s_sub_i32 s1, s3, s1
	s_add_i32 s3, s3, s14
	s_min_u32 s26, s16, s1
	s_add_i32 s1, s1, s17
	s_waitcnt lgkmcnt(0)
	s_sub_i32 s14, s3, s24
	s_sub_i32 s3, s3, s25
	s_min_u32 s18, s16, s14
	s_addk_i32 s3, 0x400
	s_cmp_eq_u32 s0, -1
	s_mov_b32 s14, s24
	s_cselect_b32 s3, s1, s3
	s_cselect_b32 s17, s26, s25
	s_min_u32 s3, s3, s16
	s_lshl_b64 s[0:1], s[14:15], 2
	s_sub_i32 s17, s17, s24
	s_sub_i32 s24, s3, s18
	s_add_u32 s25, s4, s0
	s_addc_u32 s26, s5, s1
	s_lshl_b64 s[28:29], s[18:19], 2
	v_cmp_gt_u32_e32 vcc_lo, s17, v0
	s_add_u32 s1, s4, s28
	s_addc_u32 s4, s5, s29
	s_cmp_lt_u32 s13, s22
	s_cselect_b32 s0, 12, 18
	s_delay_alu instid0(SALU_CYCLE_1)
	s_add_u32 s20, s20, s0
	s_addc_u32 s21, s21, 0
	s_cmp_eq_u32 s2, s27
	s_mov_b32 s0, -1
	s_waitcnt vmcnt(0)
	v_lshrrev_b32_e32 v3, 16, v1
	v_and_b32_e32 v1, 0xffff, v1
	global_load_u16 v2, v4, s[20:21]
	v_mul_lo_u32 v1, v1, v3
	s_waitcnt vmcnt(0)
	s_delay_alu instid0(VALU_DEP_1) | instskip(NEXT) | instid1(VALU_DEP_1)
	v_mul_lo_u32 v1, v1, v2
	v_add_nc_u32_e32 v1, v1, v0
	s_cbranch_scc1 .LBB90_3
; %bb.2:
	v_subrev_nc_u32_e32 v3, s17, v0
	v_add_co_u32 v10, s0, s25, v5
	s_delay_alu instid0(VALU_DEP_1) | instskip(NEXT) | instid1(VALU_DEP_3)
	v_add_co_ci_u32_e64 v11, null, s26, 0, s0
	v_lshlrev_b64 v[6:7], 2, v[3:4]
	v_subrev_nc_u32_e32 v3, s17, v1
	s_add_i32 s3, s24, s17
	s_delay_alu instid0(VALU_DEP_2) | instskip(NEXT) | instid1(VALU_DEP_1)
	v_add_co_u32 v6, s0, s1, v6
	v_add_co_ci_u32_e64 v7, s0, s4, v7, s0
	v_mov_b32_e32 v2, v4
	s_delay_alu instid0(VALU_DEP_1) | instskip(SKIP_1) | instid1(VALU_DEP_2)
	v_lshlrev_b64 v[8:9], 2, v[1:2]
	v_lshlrev_b64 v[2:3], 2, v[3:4]
	v_add_co_u32 v4, s0, s25, v8
	s_delay_alu instid0(VALU_DEP_1) | instskip(NEXT) | instid1(VALU_DEP_3)
	v_add_co_ci_u32_e64 v8, s0, s26, v9, s0
	v_add_co_u32 v9, s0, s1, v2
	s_delay_alu instid0(VALU_DEP_1) | instskip(SKIP_3) | instid1(VALU_DEP_2)
	v_add_co_ci_u32_e64 v12, s0, s4, v3, s0
	v_cndmask_b32_e32 v3, v7, v11, vcc_lo
	v_cmp_gt_u32_e64 s0, s17, v1
	v_cndmask_b32_e32 v2, v6, v10, vcc_lo
	v_cndmask_b32_e64 v8, v12, v8, s0
	v_cndmask_b32_e64 v7, v9, v4, s0
	global_load_b32 v6, v[2:3], off
	global_load_b32 v8, v[7:8], off
	s_mov_b32 s0, s15
	s_delay_alu instid0(SALU_CYCLE_1)
	s_and_not1_b32 vcc_lo, exec_lo, s0
	s_cbranch_vccz .LBB90_4
	s_branch .LBB90_9
.LBB90_3:
                                        ; implicit-def: $vgpr8
                                        ; implicit-def: $vgpr6
                                        ; implicit-def: $sgpr3
	s_and_not1_b32 vcc_lo, exec_lo, s0
	s_cbranch_vccnz .LBB90_9
.LBB90_4:
	s_add_i32 s3, s24, s17
	s_mov_b32 s0, exec_lo
                                        ; implicit-def: $vgpr6
	v_cmpx_gt_u32_e64 s3, v0
	s_cbranch_execz .LBB90_6
; %bb.5:
	v_subrev_nc_u32_e32 v2, s17, v0
	v_add_co_u32 v4, s2, s25, v5
	v_mov_b32_e32 v3, 0
	s_waitcnt vmcnt(1)
	v_add_co_ci_u32_e64 v6, null, s26, 0, s2
	s_delay_alu instid0(VALU_DEP_2) | instskip(NEXT) | instid1(VALU_DEP_1)
	v_lshlrev_b64 v[2:3], 2, v[2:3]
	v_add_co_u32 v2, vcc_lo, s1, v2
	s_delay_alu instid0(VALU_DEP_2) | instskip(SKIP_1) | instid1(VALU_DEP_2)
	v_add_co_ci_u32_e32 v3, vcc_lo, s4, v3, vcc_lo
	v_cmp_gt_u32_e32 vcc_lo, s17, v0
	v_dual_cndmask_b32 v2, v2, v4 :: v_dual_cndmask_b32 v3, v3, v6
	global_load_b32 v6, v[2:3], off
.LBB90_6:
	s_or_b32 exec_lo, exec_lo, s0
	s_delay_alu instid0(SALU_CYCLE_1)
	s_mov_b32 s2, exec_lo
                                        ; implicit-def: $vgpr8
	v_cmpx_gt_u32_e64 s3, v1
	s_cbranch_execz .LBB90_8
; %bb.7:
	v_mov_b32_e32 v2, 0
	s_delay_alu instid0(VALU_DEP_1) | instskip(NEXT) | instid1(VALU_DEP_1)
	v_lshlrev_b64 v[3:4], 2, v[1:2]
	v_add_co_u32 v3, vcc_lo, s25, v3
	s_delay_alu instid0(VALU_DEP_2) | instskip(SKIP_2) | instid1(VALU_DEP_1)
	v_add_co_ci_u32_e32 v4, vcc_lo, s26, v4, vcc_lo
	v_cmp_gt_u32_e32 vcc_lo, s17, v1
	v_subrev_nc_u32_e32 v1, s17, v1
	v_lshlrev_b64 v[1:2], 2, v[1:2]
	s_delay_alu instid0(VALU_DEP_1) | instskip(NEXT) | instid1(VALU_DEP_1)
	v_add_co_u32 v1, s0, s1, v1
	v_add_co_ci_u32_e64 v2, s0, s4, v2, s0
	s_delay_alu instid0(VALU_DEP_1)
	v_dual_cndmask_b32 v1, v1, v3 :: v_dual_cndmask_b32 v2, v2, v4
	global_load_b32 v8, v[1:2], off
.LBB90_8:
	s_or_b32 exec_lo, exec_lo, s2
.LBB90_9:
	v_lshlrev_b32_e32 v7, 1, v0
	s_mov_b32 s0, exec_lo
	s_waitcnt vmcnt(0)
	ds_store_2addr_stride64_b32 v5, v6, v8 offset1:8
	s_waitcnt lgkmcnt(0)
	s_barrier
	v_min_u32_e32 v2, s3, v7
	buffer_gl0_inv
	v_sub_nc_u32_e64 v1, v2, s24 clamp
	v_min_u32_e32 v3, s17, v2
	s_delay_alu instid0(VALU_DEP_1)
	v_cmpx_lt_u32_e64 v1, v3
	s_cbranch_execz .LBB90_13
; %bb.10:
	v_lshlrev_b32_e32 v4, 2, v2
	s_mov_b32 s1, 0
	s_delay_alu instid0(VALU_DEP_1)
	v_lshl_add_u32 v4, s17, 2, v4
	.p2align	6
.LBB90_11:                              ; =>This Inner Loop Header: Depth=1
	v_add_nc_u32_e32 v9, v3, v1
	s_delay_alu instid0(VALU_DEP_1) | instskip(NEXT) | instid1(VALU_DEP_1)
	v_lshrrev_b32_e32 v9, 1, v9
	v_not_b32_e32 v10, v9
	v_lshlrev_b32_e32 v11, 2, v9
	v_add_nc_u32_e32 v12, 1, v9
	s_delay_alu instid0(VALU_DEP_3)
	v_lshl_add_u32 v10, v10, 2, v4
	ds_load_b32 v11, v11
	ds_load_b32 v10, v10
	s_waitcnt lgkmcnt(0)
	v_cmp_gt_i32_e32 vcc_lo, v11, v10
	v_cndmask_b32_e32 v3, v3, v9, vcc_lo
	v_cndmask_b32_e32 v1, v12, v1, vcc_lo
	s_delay_alu instid0(VALU_DEP_1) | instskip(SKIP_1) | instid1(SALU_CYCLE_1)
	v_cmp_ge_u32_e32 vcc_lo, v1, v3
	s_or_b32 s1, vcc_lo, s1
	s_and_not1_b32 exec_lo, exec_lo, s1
	s_cbranch_execnz .LBB90_11
; %bb.12:
	s_or_b32 exec_lo, exec_lo, s1
.LBB90_13:
	s_delay_alu instid0(SALU_CYCLE_1) | instskip(SKIP_2) | instid1(VALU_DEP_2)
	s_or_b32 exec_lo, exec_lo, s0
	v_sub_nc_u32_e32 v2, v2, v1
	v_cmp_ge_u32_e32 vcc_lo, s17, v1
                                        ; implicit-def: $vgpr10
                                        ; implicit-def: $vgpr11
	v_add_nc_u32_e32 v2, s17, v2
	s_delay_alu instid0(VALU_DEP_1) | instskip(NEXT) | instid1(VALU_DEP_1)
	v_cmp_ge_u32_e64 s0, s3, v2
	s_or_b32 s0, vcc_lo, s0
	s_delay_alu instid0(SALU_CYCLE_1)
	s_and_saveexec_b32 s4, s0
	s_cbranch_execz .LBB90_19
; %bb.14:
	v_cmp_gt_u32_e32 vcc_lo, s17, v1
                                        ; implicit-def: $vgpr3
	s_and_saveexec_b32 s0, vcc_lo
	s_cbranch_execz .LBB90_16
; %bb.15:
	v_lshlrev_b32_e32 v3, 2, v1
	ds_load_b32 v3, v3
.LBB90_16:
	s_or_b32 exec_lo, exec_lo, s0
	v_cmp_le_u32_e64 s0, s3, v2
	s_mov_b32 s2, exec_lo
                                        ; implicit-def: $vgpr4
	v_cmpx_gt_u32_e64 s3, v2
	s_cbranch_execz .LBB90_18
; %bb.17:
	v_lshlrev_b32_e32 v4, 2, v2
	ds_load_b32 v4, v4
.LBB90_18:
	s_or_b32 exec_lo, exec_lo, s2
	s_waitcnt lgkmcnt(0)
	v_cmp_le_i32_e64 s1, v3, v4
	s_delay_alu instid0(VALU_DEP_1) | instskip(NEXT) | instid1(SALU_CYCLE_1)
	s_and_b32 s1, vcc_lo, s1
	s_or_b32 vcc_lo, s0, s1
	v_dual_mov_b32 v6, s17 :: v_dual_cndmask_b32 v11, v2, v1
	s_delay_alu instid0(VALU_DEP_1) | instskip(NEXT) | instid1(VALU_DEP_2)
	v_cndmask_b32_e32 v6, s3, v6, vcc_lo
	v_add_nc_u32_e32 v8, 1, v11
	s_delay_alu instid0(VALU_DEP_2) | instskip(NEXT) | instid1(VALU_DEP_1)
	v_add_nc_u32_e32 v6, -1, v6
	v_min_u32_e32 v6, v8, v6
	s_delay_alu instid0(VALU_DEP_1)
	v_lshlrev_b32_e32 v6, 2, v6
	ds_load_b32 v6, v6
	s_waitcnt lgkmcnt(0)
	v_cndmask_b32_e32 v9, v6, v4, vcc_lo
	v_dual_cndmask_b32 v1, v1, v8 :: v_dual_cndmask_b32 v12, v3, v6
	v_cndmask_b32_e32 v2, v8, v2, vcc_lo
	v_cndmask_b32_e32 v6, v4, v3, vcc_lo
	s_delay_alu instid0(VALU_DEP_3) | instskip(NEXT) | instid1(VALU_DEP_4)
	v_cmp_gt_u32_e64 s0, s17, v1
	v_cmp_le_i32_e64 s1, v12, v9
	s_delay_alu instid0(VALU_DEP_4) | instskip(NEXT) | instid1(VALU_DEP_2)
	v_cmp_le_u32_e64 s2, s3, v2
	s_and_b32 s0, s0, s1
	s_delay_alu instid0(VALU_DEP_1) | instid1(SALU_CYCLE_1)
	s_or_b32 vcc_lo, s2, s0
	v_cndmask_b32_e32 v10, v2, v1, vcc_lo
	v_cndmask_b32_e32 v8, v9, v12, vcc_lo
.LBB90_19:
	s_or_b32 exec_lo, exec_lo, s4
	s_lshl_b64 s[0:1], s[14:15], 3
	v_or_b32_e32 v9, 0x200, v0
	s_add_u32 s2, s8, s0
	s_addc_u32 s4, s9, s1
	s_lshl_b64 s[14:15], s[18:19], 3
	v_cmp_gt_u32_e64 s1, s17, v0
	v_cmp_le_u32_e64 s0, s17, v0
	s_add_u32 s8, s8, s14
	s_mov_b32 s5, 0
	s_addc_u32 s9, s9, s15
	s_and_not1_b32 vcc_lo, exec_lo, s23
	s_barrier
	buffer_gl0_inv
	s_cbranch_vccnz .LBB90_21
; %bb.20:
	v_subrev_nc_u32_e32 v1, s17, v0
	v_mov_b32_e32 v2, 0
	v_lshlrev_b32_e32 v14, 3, v0
	s_delay_alu instid0(VALU_DEP_2) | instskip(NEXT) | instid1(VALU_DEP_2)
	v_lshlrev_b64 v[3:4], 3, v[1:2]
	v_add_co_u32 v15, s5, s2, v14
	s_delay_alu instid0(VALU_DEP_1) | instskip(SKIP_1) | instid1(VALU_DEP_3)
	v_add_co_ci_u32_e64 v16, null, s4, 0, s5
	s_mov_b32 s5, -1
	v_add_co_u32 v1, vcc_lo, s8, v3
	s_delay_alu instid0(VALU_DEP_4) | instskip(NEXT) | instid1(VALU_DEP_1)
	v_add_co_ci_u32_e32 v3, vcc_lo, s9, v4, vcc_lo
	v_cndmask_b32_e64 v4, v3, v16, s1
	s_delay_alu instid0(VALU_DEP_3)
	v_cndmask_b32_e64 v3, v1, v15, s1
	v_subrev_nc_u32_e32 v1, s17, v9
	global_load_b64 v[12:13], v[3:4], off
	v_lshlrev_b64 v[1:2], 3, v[1:2]
	v_add_co_u32 v3, vcc_lo, 0x1000, v15
	v_add_co_ci_u32_e32 v4, vcc_lo, 0, v16, vcc_lo
	s_delay_alu instid0(VALU_DEP_3) | instskip(NEXT) | instid1(VALU_DEP_4)
	v_add_co_u32 v1, vcc_lo, s8, v1
	v_add_co_ci_u32_e32 v2, vcc_lo, s9, v2, vcc_lo
	v_cmp_gt_u32_e32 vcc_lo, s17, v9
	s_delay_alu instid0(VALU_DEP_2)
	v_dual_cndmask_b32 v1, v1, v3 :: v_dual_cndmask_b32 v2, v2, v4
	v_or_b32_e32 v4, 0x1000, v14
	s_waitcnt vmcnt(0)
	ds_store_b64 v14, v[12:13]
	s_cbranch_execz .LBB90_22
	s_branch .LBB90_33
.LBB90_21:
                                        ; implicit-def: $vgpr4
                                        ; implicit-def: $vgpr1_vgpr2
.LBB90_22:
	s_mov_b32 s1, 0
                                        ; implicit-def: $vgpr1_vgpr2
	s_and_saveexec_b32 s13, s0
	s_delay_alu instid0(SALU_CYCLE_1)
	s_xor_b32 s0, exec_lo, s13
	s_cbranch_execnz .LBB90_54
; %bb.23:
	s_and_not1_saveexec_b32 s0, s0
	s_cbranch_execnz .LBB90_57
.LBB90_24:
	s_or_b32 exec_lo, exec_lo, s0
	v_lshl_add_u32 v12, v0, 2, v5
	s_and_saveexec_b32 s0, s1
	s_cbranch_execz .LBB90_26
.LBB90_25:
	global_load_b64 v[1:2], v[1:2], off
	s_waitcnt vmcnt(0)
	ds_store_b64 v12, v[1:2]
.LBB90_26:
	s_or_b32 exec_lo, exec_lo, s0
	s_delay_alu instid0(SALU_CYCLE_1)
	s_mov_b32 s0, exec_lo
                                        ; implicit-def: $vgpr4
                                        ; implicit-def: $vgpr1_vgpr2
	v_cmpx_le_u32_e64 s17, v9
	s_xor_b32 s0, exec_lo, s0
	s_cbranch_execz .LBB90_30
; %bb.27:
	v_subrev_nc_u32_e32 v3, s17, v9
	s_mov_b32 s13, s5
	s_mov_b32 s1, exec_lo
                                        ; implicit-def: $vgpr4
                                        ; implicit-def: $vgpr1_vgpr2
	s_delay_alu instid0(VALU_DEP_1)
	v_cmpx_gt_u32_e64 s24, v3
; %bb.28:
	v_mov_b32_e32 v4, 0
	s_or_b32 s13, s5, exec_lo
	s_delay_alu instid0(VALU_DEP_1) | instskip(SKIP_1) | instid1(VALU_DEP_2)
	v_lshlrev_b64 v[1:2], 3, v[3:4]
	v_or_b32_e32 v4, 0x1000, v12
	v_add_co_u32 v1, vcc_lo, s8, v1
	s_delay_alu instid0(VALU_DEP_3)
	v_add_co_ci_u32_e32 v2, vcc_lo, s9, v2, vcc_lo
; %bb.29:
	s_or_b32 exec_lo, exec_lo, s1
	s_delay_alu instid0(SALU_CYCLE_1) | instskip(SKIP_1) | instid1(SALU_CYCLE_1)
	s_and_not1_b32 s1, s5, exec_lo
	s_and_b32 s5, s13, exec_lo
                                        ; implicit-def: $vgpr12
	s_or_b32 s5, s1, s5
.LBB90_30:
	s_and_not1_saveexec_b32 s0, s0
; %bb.31:
	v_lshlrev_b32_e32 v1, 3, v9
	v_or_b32_e32 v4, 0x1000, v12
	s_or_b32 s5, s5, exec_lo
	s_delay_alu instid0(VALU_DEP_2) | instskip(NEXT) | instid1(VALU_DEP_1)
	v_add_co_u32 v1, s1, s2, v1
	v_add_co_ci_u32_e64 v2, null, s4, 0, s1
; %bb.32:
	s_or_b32 exec_lo, exec_lo, s0
.LBB90_33:
	s_and_saveexec_b32 s0, s5
	s_cbranch_execz .LBB90_35
; %bb.34:
	global_load_b64 v[1:2], v[1:2], off
	s_waitcnt vmcnt(0)
	ds_store_b64 v4, v[1:2]
.LBB90_35:
	s_or_b32 exec_lo, exec_lo, s0
	v_add_nc_u32_e32 v1, s12, v7
	s_and_not1_b32 vcc_lo, exec_lo, s23
	s_waitcnt lgkmcnt(0)
	s_barrier
	buffer_gl0_inv
	s_cbranch_vccnz .LBB90_37
; %bb.36:
	v_lshlrev_b32_e32 v2, 3, v11
	s_mov_b32 s0, -1
	ds_load_b64 v[3:4], v2
	v_mov_b32_e32 v2, 0
	s_delay_alu instid0(VALU_DEP_1) | instskip(NEXT) | instid1(VALU_DEP_1)
	v_lshlrev_b64 v[12:13], 3, v[1:2]
	v_add_co_u32 v12, vcc_lo, s10, v12
	s_delay_alu instid0(VALU_DEP_2)
	v_add_co_ci_u32_e32 v13, vcc_lo, s11, v13, vcc_lo
	s_waitcnt lgkmcnt(0)
	global_store_b64 v[12:13], v[3:4], off
	s_cbranch_execz .LBB90_38
	s_branch .LBB90_43
.LBB90_37:
	s_mov_b32 s0, 0
.LBB90_38:
	s_mov_b32 s1, exec_lo
	v_cmpx_gt_u32_e64 s3, v7
	s_cbranch_execz .LBB90_40
; %bb.39:
	v_lshlrev_b32_e32 v2, 3, v11
	ds_load_b64 v[3:4], v2
	v_mov_b32_e32 v2, 0
	s_delay_alu instid0(VALU_DEP_1) | instskip(NEXT) | instid1(VALU_DEP_1)
	v_lshlrev_b64 v[11:12], 3, v[1:2]
	v_add_co_u32 v11, vcc_lo, s10, v11
	s_delay_alu instid0(VALU_DEP_2)
	v_add_co_ci_u32_e32 v12, vcc_lo, s11, v12, vcc_lo
	s_waitcnt lgkmcnt(0)
	global_store_b64 v[11:12], v[3:4], off
.LBB90_40:
	s_or_b32 exec_lo, exec_lo, s1
	v_or_b32_e32 v2, 1, v7
	s_mov_b32 s1, exec_lo
	s_delay_alu instid0(VALU_DEP_1)
	v_cmpx_gt_u32_e64 s3, v2
; %bb.41:
	v_mov_b32_e32 v2, 0
	s_or_b32 s0, s0, exec_lo
; %bb.42:
	s_or_b32 exec_lo, exec_lo, s1
.LBB90_43:
	s_and_saveexec_b32 s1, s0
	s_cbranch_execz .LBB90_45
; %bb.44:
	v_lshlrev_b32_e32 v3, 3, v10
	v_lshlrev_b64 v[1:2], 3, v[1:2]
	ds_load_b64 v[3:4], v3
	v_add_co_u32 v1, vcc_lo, s10, v1
	v_add_co_ci_u32_e32 v2, vcc_lo, s11, v2, vcc_lo
	s_waitcnt lgkmcnt(0)
	global_store_b64 v[1:2], v[3:4], off offset:8
.LBB90_45:
	s_or_b32 exec_lo, exec_lo, s1
	v_lshrrev_b32_e32 v1, 2, v0
	v_lshrrev_b32_e32 v2, 3, v0
	;; [unrolled: 1-line block ×3, first 2 shown]
	s_mov_b32 s13, 0
	s_waitcnt_vscnt null, 0x0
	v_and_b32_e32 v1, 0x7c, v1
	s_lshl_b64 s[0:1], s[12:13], 2
	v_and_b32_e32 v2, 60, v2
	v_and_b32_e32 v4, 0x7c, v3
	s_add_u32 s0, s6, s0
	v_lshl_add_u32 v1, v7, 2, v1
	s_barrier
	buffer_gl0_inv
	s_barrier
	buffer_gl0_inv
	s_addc_u32 s1, s7, s1
	ds_store_2addr_b32 v1, v6, v8 offset1:1
	v_add_co_u32 v1, s0, s0, v5
	v_add_nc_u32_e32 v3, v5, v2
	v_add_nc_u32_e32 v6, v5, v4
	v_add_co_ci_u32_e64 v2, null, s1, 0, s0
	s_and_b32 vcc_lo, exec_lo, s23
	s_waitcnt lgkmcnt(0)
	s_cbranch_vccz .LBB90_47
; %bb.46:
	s_barrier
	buffer_gl0_inv
	ds_load_b32 v5, v3
	ds_load_b32 v4, v6 offset:2048
	s_mov_b32 s13, -1
	s_waitcnt lgkmcnt(1)
	global_store_b32 v[1:2], v5, off
	s_cbranch_execz .LBB90_48
	s_branch .LBB90_51
.LBB90_47:
                                        ; implicit-def: $vgpr4
.LBB90_48:
	s_waitcnt lgkmcnt(0)
	s_waitcnt_vscnt null, 0x0
	s_barrier
	buffer_gl0_inv
	ds_load_b32 v4, v6 offset:2048
	s_sub_i32 s0, s16, s12
	s_mov_b32 s1, exec_lo
	v_cmpx_gt_u32_e64 s0, v0
	s_cbranch_execz .LBB90_50
; %bb.49:
	ds_load_b32 v0, v3
	s_waitcnt lgkmcnt(0)
	global_store_b32 v[1:2], v0, off
.LBB90_50:
	s_or_b32 exec_lo, exec_lo, s1
	v_cmp_gt_u32_e64 s13, s0, v9
.LBB90_51:
	s_delay_alu instid0(VALU_DEP_1)
	s_and_saveexec_b32 s0, s13
	s_cbranch_execz .LBB90_53
; %bb.52:
	s_waitcnt lgkmcnt(0)
	global_store_b32 v[1:2], v4, off offset:2048
.LBB90_53:
	s_nop 0
	s_sendmsg sendmsg(MSG_DEALLOC_VGPRS)
	s_endpgm
.LBB90_54:
	v_subrev_nc_u32_e32 v3, s17, v0
	s_mov_b32 s13, exec_lo
                                        ; implicit-def: $vgpr1_vgpr2
	s_delay_alu instid0(VALU_DEP_1)
	v_cmpx_gt_u32_e64 s24, v3
	s_xor_b32 s13, exec_lo, s13
; %bb.55:
	v_mov_b32_e32 v4, 0
	s_mov_b32 s1, exec_lo
	s_delay_alu instid0(VALU_DEP_1) | instskip(NEXT) | instid1(VALU_DEP_1)
	v_lshlrev_b64 v[1:2], 3, v[3:4]
	v_add_co_u32 v1, vcc_lo, s8, v1
	s_delay_alu instid0(VALU_DEP_2)
	v_add_co_ci_u32_e32 v2, vcc_lo, s9, v2, vcc_lo
; %bb.56:
	s_or_b32 exec_lo, exec_lo, s13
	s_delay_alu instid0(SALU_CYCLE_1)
	s_and_b32 s1, s1, exec_lo
	s_and_not1_saveexec_b32 s0, s0
	s_cbranch_execz .LBB90_24
.LBB90_57:
	v_lshlrev_b32_e32 v1, 3, v0
	s_or_b32 s1, s1, exec_lo
	s_delay_alu instid0(VALU_DEP_1) | instskip(NEXT) | instid1(VALU_DEP_1)
	v_add_co_u32 v1, s13, s2, v1
	v_add_co_ci_u32_e64 v2, null, s4, 0, s13
	s_or_b32 exec_lo, exec_lo, s0
	v_lshl_add_u32 v12, v0, 2, v5
	s_and_saveexec_b32 s0, s1
	s_cbranch_execnz .LBB90_25
	s_branch .LBB90_26
	.section	.rodata,"a",@progbits
	.p2align	6, 0x0
	.amdhsa_kernel _ZN7rocprim17ROCPRIM_304000_NS6detail35device_block_merge_mergepath_kernelINS1_37wrapped_merge_sort_block_merge_configINS0_14default_configEiN2at4cuda3cub6detail10OpaqueTypeILi8EEEEEPiSC_PSA_SD_jNS1_19radix_merge_compareILb0ELb0EiNS0_19identity_decomposerEEEEEvT0_T1_T2_T3_T4_SL_jT5_PKSL_NS1_7vsmem_tE
		.amdhsa_group_segment_fixed_size 8208
		.amdhsa_private_segment_fixed_size 0
		.amdhsa_kernarg_size 320
		.amdhsa_user_sgpr_count 13
		.amdhsa_user_sgpr_dispatch_ptr 0
		.amdhsa_user_sgpr_queue_ptr 0
		.amdhsa_user_sgpr_kernarg_segment_ptr 1
		.amdhsa_user_sgpr_dispatch_id 0
		.amdhsa_user_sgpr_private_segment_size 0
		.amdhsa_wavefront_size32 1
		.amdhsa_uses_dynamic_stack 0
		.amdhsa_enable_private_segment 0
		.amdhsa_system_sgpr_workgroup_id_x 1
		.amdhsa_system_sgpr_workgroup_id_y 1
		.amdhsa_system_sgpr_workgroup_id_z 1
		.amdhsa_system_sgpr_workgroup_info 0
		.amdhsa_system_vgpr_workitem_id 0
		.amdhsa_next_free_vgpr 17
		.amdhsa_next_free_sgpr 30
		.amdhsa_reserve_vcc 1
		.amdhsa_float_round_mode_32 0
		.amdhsa_float_round_mode_16_64 0
		.amdhsa_float_denorm_mode_32 3
		.amdhsa_float_denorm_mode_16_64 3
		.amdhsa_dx10_clamp 1
		.amdhsa_ieee_mode 1
		.amdhsa_fp16_overflow 0
		.amdhsa_workgroup_processor_mode 1
		.amdhsa_memory_ordered 1
		.amdhsa_forward_progress 0
		.amdhsa_shared_vgpr_count 0
		.amdhsa_exception_fp_ieee_invalid_op 0
		.amdhsa_exception_fp_denorm_src 0
		.amdhsa_exception_fp_ieee_div_zero 0
		.amdhsa_exception_fp_ieee_overflow 0
		.amdhsa_exception_fp_ieee_underflow 0
		.amdhsa_exception_fp_ieee_inexact 0
		.amdhsa_exception_int_div_zero 0
	.end_amdhsa_kernel
	.section	.text._ZN7rocprim17ROCPRIM_304000_NS6detail35device_block_merge_mergepath_kernelINS1_37wrapped_merge_sort_block_merge_configINS0_14default_configEiN2at4cuda3cub6detail10OpaqueTypeILi8EEEEEPiSC_PSA_SD_jNS1_19radix_merge_compareILb0ELb0EiNS0_19identity_decomposerEEEEEvT0_T1_T2_T3_T4_SL_jT5_PKSL_NS1_7vsmem_tE,"axG",@progbits,_ZN7rocprim17ROCPRIM_304000_NS6detail35device_block_merge_mergepath_kernelINS1_37wrapped_merge_sort_block_merge_configINS0_14default_configEiN2at4cuda3cub6detail10OpaqueTypeILi8EEEEEPiSC_PSA_SD_jNS1_19radix_merge_compareILb0ELb0EiNS0_19identity_decomposerEEEEEvT0_T1_T2_T3_T4_SL_jT5_PKSL_NS1_7vsmem_tE,comdat
.Lfunc_end90:
	.size	_ZN7rocprim17ROCPRIM_304000_NS6detail35device_block_merge_mergepath_kernelINS1_37wrapped_merge_sort_block_merge_configINS0_14default_configEiN2at4cuda3cub6detail10OpaqueTypeILi8EEEEEPiSC_PSA_SD_jNS1_19radix_merge_compareILb0ELb0EiNS0_19identity_decomposerEEEEEvT0_T1_T2_T3_T4_SL_jT5_PKSL_NS1_7vsmem_tE, .Lfunc_end90-_ZN7rocprim17ROCPRIM_304000_NS6detail35device_block_merge_mergepath_kernelINS1_37wrapped_merge_sort_block_merge_configINS0_14default_configEiN2at4cuda3cub6detail10OpaqueTypeILi8EEEEEPiSC_PSA_SD_jNS1_19radix_merge_compareILb0ELb0EiNS0_19identity_decomposerEEEEEvT0_T1_T2_T3_T4_SL_jT5_PKSL_NS1_7vsmem_tE
                                        ; -- End function
	.section	.AMDGPU.csdata,"",@progbits
; Kernel info:
; codeLenInByte = 2436
; NumSgprs: 32
; NumVgprs: 17
; ScratchSize: 0
; MemoryBound: 1
; FloatMode: 240
; IeeeMode: 1
; LDSByteSize: 8208 bytes/workgroup (compile time only)
; SGPRBlocks: 3
; VGPRBlocks: 2
; NumSGPRsForWavesPerEU: 32
; NumVGPRsForWavesPerEU: 17
; Occupancy: 16
; WaveLimiterHint : 1
; COMPUTE_PGM_RSRC2:SCRATCH_EN: 0
; COMPUTE_PGM_RSRC2:USER_SGPR: 13
; COMPUTE_PGM_RSRC2:TRAP_HANDLER: 0
; COMPUTE_PGM_RSRC2:TGID_X_EN: 1
; COMPUTE_PGM_RSRC2:TGID_Y_EN: 1
; COMPUTE_PGM_RSRC2:TGID_Z_EN: 1
; COMPUTE_PGM_RSRC2:TIDIG_COMP_CNT: 0
	.section	.text._ZN7rocprim17ROCPRIM_304000_NS6detail33device_block_merge_oddeven_kernelINS1_37wrapped_merge_sort_block_merge_configINS0_14default_configEiN2at4cuda3cub6detail10OpaqueTypeILi8EEEEEPiSC_PSA_SD_jNS1_19radix_merge_compareILb0ELb0EiNS0_19identity_decomposerEEEEEvT0_T1_T2_T3_T4_SL_T5_,"axG",@progbits,_ZN7rocprim17ROCPRIM_304000_NS6detail33device_block_merge_oddeven_kernelINS1_37wrapped_merge_sort_block_merge_configINS0_14default_configEiN2at4cuda3cub6detail10OpaqueTypeILi8EEEEEPiSC_PSA_SD_jNS1_19radix_merge_compareILb0ELb0EiNS0_19identity_decomposerEEEEEvT0_T1_T2_T3_T4_SL_T5_,comdat
	.protected	_ZN7rocprim17ROCPRIM_304000_NS6detail33device_block_merge_oddeven_kernelINS1_37wrapped_merge_sort_block_merge_configINS0_14default_configEiN2at4cuda3cub6detail10OpaqueTypeILi8EEEEEPiSC_PSA_SD_jNS1_19radix_merge_compareILb0ELb0EiNS0_19identity_decomposerEEEEEvT0_T1_T2_T3_T4_SL_T5_ ; -- Begin function _ZN7rocprim17ROCPRIM_304000_NS6detail33device_block_merge_oddeven_kernelINS1_37wrapped_merge_sort_block_merge_configINS0_14default_configEiN2at4cuda3cub6detail10OpaqueTypeILi8EEEEEPiSC_PSA_SD_jNS1_19radix_merge_compareILb0ELb0EiNS0_19identity_decomposerEEEEEvT0_T1_T2_T3_T4_SL_T5_
	.globl	_ZN7rocprim17ROCPRIM_304000_NS6detail33device_block_merge_oddeven_kernelINS1_37wrapped_merge_sort_block_merge_configINS0_14default_configEiN2at4cuda3cub6detail10OpaqueTypeILi8EEEEEPiSC_PSA_SD_jNS1_19radix_merge_compareILb0ELb0EiNS0_19identity_decomposerEEEEEvT0_T1_T2_T3_T4_SL_T5_
	.p2align	8
	.type	_ZN7rocprim17ROCPRIM_304000_NS6detail33device_block_merge_oddeven_kernelINS1_37wrapped_merge_sort_block_merge_configINS0_14default_configEiN2at4cuda3cub6detail10OpaqueTypeILi8EEEEEPiSC_PSA_SD_jNS1_19radix_merge_compareILb0ELb0EiNS0_19identity_decomposerEEEEEvT0_T1_T2_T3_T4_SL_T5_,@function
_ZN7rocprim17ROCPRIM_304000_NS6detail33device_block_merge_oddeven_kernelINS1_37wrapped_merge_sort_block_merge_configINS0_14default_configEiN2at4cuda3cub6detail10OpaqueTypeILi8EEEEEPiSC_PSA_SD_jNS1_19radix_merge_compareILb0ELb0EiNS0_19identity_decomposerEEEEEvT0_T1_T2_T3_T4_SL_T5_: ; @_ZN7rocprim17ROCPRIM_304000_NS6detail33device_block_merge_oddeven_kernelINS1_37wrapped_merge_sort_block_merge_configINS0_14default_configEiN2at4cuda3cub6detail10OpaqueTypeILi8EEEEEPiSC_PSA_SD_jNS1_19radix_merge_compareILb0ELb0EiNS0_19identity_decomposerEEEEEvT0_T1_T2_T3_T4_SL_T5_
; %bb.0:
	s_load_b64 s[16:17], s[0:1], 0x20
	s_waitcnt lgkmcnt(0)
	s_lshr_b32 s2, s16, 8
	s_delay_alu instid0(SALU_CYCLE_1) | instskip(SKIP_4) | instid1(SALU_CYCLE_1)
	s_cmp_lg_u32 s15, s2
	s_cselect_b32 s4, -1, 0
	s_cmp_eq_u32 s15, s2
	s_cselect_b32 s3, -1, 0
	s_lshl_b32 s12, s15, 8
	s_sub_i32 s2, s16, s12
	s_delay_alu instid0(SALU_CYCLE_1) | instskip(NEXT) | instid1(VALU_DEP_1)
	v_cmp_gt_u32_e64 s2, s2, v0
	s_or_b32 s4, s4, s2
	s_delay_alu instid0(SALU_CYCLE_1)
	s_and_saveexec_b32 s5, s4
	s_cbranch_execz .LBB91_26
; %bb.1:
	s_load_b256 s[4:11], s[0:1], 0x0
	s_mov_b32 s13, 0
	v_lshlrev_b32_e32 v1, 3, v0
	s_lshl_b64 s[0:1], s[12:13], 2
	v_lshlrev_b32_e32 v3, 2, v0
	v_add_nc_u32_e32 v5, s12, v0
	s_waitcnt lgkmcnt(0)
	s_add_u32 s0, s4, s0
	s_addc_u32 s1, s5, s1
	s_lshl_b64 s[18:19], s[12:13], 3
	s_delay_alu instid0(SALU_CYCLE_1) | instskip(SKIP_4) | instid1(SALU_CYCLE_1)
	s_add_u32 s8, s8, s18
	s_addc_u32 s9, s9, s19
	global_load_b64 v[1:2], v1, s[8:9]
	global_load_b32 v7, v3, s[0:1]
	s_lshr_b32 s0, s17, 8
	s_sub_i32 s1, 0, s0
	s_delay_alu instid0(SALU_CYCLE_1) | instskip(NEXT) | instid1(SALU_CYCLE_1)
	s_and_b32 s1, s15, s1
	s_and_b32 s0, s1, s0
	s_lshl_b32 s9, s1, 8
	s_sub_i32 s1, 0, s17
	s_cmp_eq_u32 s0, 0
	s_cselect_b32 s0, -1, 0
	s_delay_alu instid0(SALU_CYCLE_1) | instskip(SKIP_1) | instid1(SALU_CYCLE_1)
	s_and_b32 s8, s0, exec_lo
	s_cselect_b32 s1, s17, s1
	s_add_i32 s1, s1, s9
	s_delay_alu instid0(SALU_CYCLE_1)
	s_cmp_lt_u32 s1, s16
	s_cbranch_scc1 .LBB91_6
; %bb.2:
	s_and_b32 vcc_lo, exec_lo, s3
	s_cbranch_vccz .LBB91_7
; %bb.3:
	s_mov_b32 s8, 0
	s_mov_b32 s12, exec_lo
                                        ; implicit-def: $vgpr3_vgpr4
	v_cmpx_gt_u32_e64 s16, v5
	s_cbranch_execz .LBB91_5
; %bb.4:
	v_mov_b32_e32 v6, 0
	s_mov_b32 s13, exec_lo
	s_delay_alu instid0(VALU_DEP_1) | instskip(SKIP_1) | instid1(VALU_DEP_2)
	v_lshlrev_b64 v[3:4], 2, v[5:6]
	v_lshlrev_b64 v[8:9], 3, v[5:6]
	v_add_co_u32 v10, vcc_lo, s6, v3
	s_delay_alu instid0(VALU_DEP_3) | instskip(NEXT) | instid1(VALU_DEP_3)
	v_add_co_ci_u32_e32 v11, vcc_lo, s7, v4, vcc_lo
	v_add_co_u32 v3, vcc_lo, s10, v8
	s_delay_alu instid0(VALU_DEP_4)
	v_add_co_ci_u32_e32 v4, vcc_lo, s11, v9, vcc_lo
	s_waitcnt vmcnt(0)
	global_store_b32 v[10:11], v7, off
.LBB91_5:
	s_or_b32 exec_lo, exec_lo, s12
	s_delay_alu instid0(SALU_CYCLE_1)
	s_and_b32 vcc_lo, exec_lo, s8
	s_cbranch_vccnz .LBB91_8
	s_branch .LBB91_9
.LBB91_6:
                                        ; implicit-def: $vgpr3_vgpr4
	s_cbranch_execnz .LBB91_10
	s_branch .LBB91_24
.LBB91_7:
                                        ; implicit-def: $vgpr3_vgpr4
	s_cbranch_execz .LBB91_9
.LBB91_8:
	v_mov_b32_e32 v6, 0
	s_or_b32 s13, s13, exec_lo
	s_delay_alu instid0(VALU_DEP_1) | instskip(SKIP_1) | instid1(VALU_DEP_2)
	v_lshlrev_b64 v[3:4], 2, v[5:6]
	v_lshlrev_b64 v[8:9], 3, v[5:6]
	v_add_co_u32 v10, vcc_lo, s6, v3
	s_delay_alu instid0(VALU_DEP_3) | instskip(NEXT) | instid1(VALU_DEP_3)
	v_add_co_ci_u32_e32 v11, vcc_lo, s7, v4, vcc_lo
	v_add_co_u32 v3, vcc_lo, s10, v8
	s_delay_alu instid0(VALU_DEP_4)
	v_add_co_ci_u32_e32 v4, vcc_lo, s11, v9, vcc_lo
	s_waitcnt vmcnt(0)
	global_store_b32 v[10:11], v7, off
.LBB91_9:
	s_branch .LBB91_24
.LBB91_10:
	s_min_u32 s8, s1, s16
	s_and_b32 vcc_lo, exec_lo, s3
	s_add_i32 s12, s9, s8
	s_min_u32 s9, s9, s8
	v_subrev_nc_u32_e32 v0, s12, v5
	s_add_i32 s12, s8, s17
	s_delay_alu instid0(SALU_CYCLE_1) | instskip(NEXT) | instid1(VALU_DEP_1)
	s_min_u32 s3, s12, s16
	v_add_nc_u32_e32 v0, s9, v0
	s_cbranch_vccz .LBB91_18
; %bb.11:
                                        ; implicit-def: $vgpr3_vgpr4
	s_and_saveexec_b32 s9, s2
	s_cbranch_execz .LBB91_17
; %bb.12:
	v_mov_b32_e32 v5, s8
	s_cmp_ge_u32 s1, s3
	s_cbranch_scc1 .LBB91_16
; %bb.13:
	v_dual_mov_b32 v6, s3 :: v_dual_mov_b32 v5, s8
	v_mov_b32_e32 v4, 0
	s_mov_b32 s2, 0
	.p2align	6
.LBB91_14:                              ; =>This Inner Loop Header: Depth=1
	s_delay_alu instid0(VALU_DEP_2) | instskip(NEXT) | instid1(VALU_DEP_1)
	v_add_nc_u32_e32 v3, v5, v6
	v_lshrrev_b32_e32 v3, 1, v3
	s_delay_alu instid0(VALU_DEP_1) | instskip(NEXT) | instid1(VALU_DEP_1)
	v_lshlrev_b64 v[8:9], 2, v[3:4]
	v_add_co_u32 v8, vcc_lo, s4, v8
	s_delay_alu instid0(VALU_DEP_2)
	v_add_co_ci_u32_e32 v9, vcc_lo, s5, v9, vcc_lo
	global_load_b32 v8, v[8:9], off
	s_waitcnt vmcnt(0)
	v_cmp_gt_i32_e32 vcc_lo, v7, v8
	v_cndmask_b32_e64 v9, 0, 1, vcc_lo
	v_cmp_le_i32_e32 vcc_lo, v8, v7
	v_cndmask_b32_e64 v8, 0, 1, vcc_lo
	s_delay_alu instid0(VALU_DEP_1) | instskip(SKIP_1) | instid1(VALU_DEP_2)
	v_cndmask_b32_e64 v8, v8, v9, s0
	v_add_nc_u32_e32 v9, 1, v3
	v_and_b32_e32 v8, 1, v8
	s_delay_alu instid0(VALU_DEP_1) | instskip(NEXT) | instid1(VALU_DEP_3)
	v_cmp_eq_u32_e32 vcc_lo, 1, v8
	v_dual_cndmask_b32 v6, v3, v6 :: v_dual_cndmask_b32 v5, v5, v9
	s_delay_alu instid0(VALU_DEP_1) | instskip(SKIP_1) | instid1(SALU_CYCLE_1)
	v_cmp_ge_u32_e32 vcc_lo, v5, v6
	s_or_b32 s2, vcc_lo, s2
	s_and_not1_b32 exec_lo, exec_lo, s2
	s_cbranch_execnz .LBB91_14
; %bb.15:
	s_or_b32 exec_lo, exec_lo, s2
.LBB91_16:
	s_delay_alu instid0(VALU_DEP_1) | instskip(SKIP_1) | instid1(VALU_DEP_1)
	v_dual_mov_b32 v4, 0 :: v_dual_add_nc_u32 v3, v5, v0
	s_or_b32 s13, s13, exec_lo
	v_lshlrev_b64 v[5:6], 2, v[3:4]
	v_lshlrev_b64 v[3:4], 3, v[3:4]
	s_delay_alu instid0(VALU_DEP_2) | instskip(NEXT) | instid1(VALU_DEP_3)
	v_add_co_u32 v5, vcc_lo, s6, v5
	v_add_co_ci_u32_e32 v6, vcc_lo, s7, v6, vcc_lo
	s_delay_alu instid0(VALU_DEP_3) | instskip(NEXT) | instid1(VALU_DEP_4)
	v_add_co_u32 v3, vcc_lo, s10, v3
	v_add_co_ci_u32_e32 v4, vcc_lo, s11, v4, vcc_lo
	s_waitcnt vmcnt(0)
	global_store_b32 v[5:6], v7, off
.LBB91_17:
	s_or_b32 exec_lo, exec_lo, s9
	s_branch .LBB91_24
.LBB91_18:
                                        ; implicit-def: $vgpr3_vgpr4
	s_cbranch_execz .LBB91_24
; %bb.19:
	v_mov_b32_e32 v5, s8
	s_cmp_ge_u32 s1, s3
	s_cbranch_scc1 .LBB91_23
; %bb.20:
	v_dual_mov_b32 v6, s3 :: v_dual_mov_b32 v5, s8
	v_mov_b32_e32 v4, 0
	s_mov_b32 s1, 0
	.p2align	6
.LBB91_21:                              ; =>This Inner Loop Header: Depth=1
	s_delay_alu instid0(VALU_DEP_2) | instskip(NEXT) | instid1(VALU_DEP_1)
	v_add_nc_u32_e32 v3, v5, v6
	v_lshrrev_b32_e32 v3, 1, v3
	s_delay_alu instid0(VALU_DEP_1) | instskip(NEXT) | instid1(VALU_DEP_1)
	v_lshlrev_b64 v[8:9], 2, v[3:4]
	v_add_co_u32 v8, vcc_lo, s4, v8
	s_delay_alu instid0(VALU_DEP_2)
	v_add_co_ci_u32_e32 v9, vcc_lo, s5, v9, vcc_lo
	global_load_b32 v8, v[8:9], off
	s_waitcnt vmcnt(0)
	v_cmp_gt_i32_e32 vcc_lo, v7, v8
	v_cndmask_b32_e64 v9, 0, 1, vcc_lo
	v_cmp_le_i32_e32 vcc_lo, v8, v7
	v_cndmask_b32_e64 v8, 0, 1, vcc_lo
	s_delay_alu instid0(VALU_DEP_1) | instskip(SKIP_1) | instid1(VALU_DEP_2)
	v_cndmask_b32_e64 v8, v8, v9, s0
	v_add_nc_u32_e32 v9, 1, v3
	v_and_b32_e32 v8, 1, v8
	s_delay_alu instid0(VALU_DEP_1) | instskip(NEXT) | instid1(VALU_DEP_3)
	v_cmp_eq_u32_e32 vcc_lo, 1, v8
	v_dual_cndmask_b32 v6, v3, v6 :: v_dual_cndmask_b32 v5, v5, v9
	s_delay_alu instid0(VALU_DEP_1) | instskip(SKIP_1) | instid1(SALU_CYCLE_1)
	v_cmp_ge_u32_e32 vcc_lo, v5, v6
	s_or_b32 s1, vcc_lo, s1
	s_and_not1_b32 exec_lo, exec_lo, s1
	s_cbranch_execnz .LBB91_21
; %bb.22:
	s_or_b32 exec_lo, exec_lo, s1
.LBB91_23:
	s_delay_alu instid0(VALU_DEP_1) | instskip(SKIP_1) | instid1(VALU_DEP_1)
	v_dual_mov_b32 v4, 0 :: v_dual_add_nc_u32 v3, v5, v0
	s_mov_b32 s13, -1
	v_lshlrev_b64 v[5:6], 2, v[3:4]
	v_lshlrev_b64 v[3:4], 3, v[3:4]
	s_delay_alu instid0(VALU_DEP_2) | instskip(NEXT) | instid1(VALU_DEP_3)
	v_add_co_u32 v5, vcc_lo, s6, v5
	v_add_co_ci_u32_e32 v6, vcc_lo, s7, v6, vcc_lo
	s_delay_alu instid0(VALU_DEP_3) | instskip(NEXT) | instid1(VALU_DEP_4)
	v_add_co_u32 v3, vcc_lo, s10, v3
	v_add_co_ci_u32_e32 v4, vcc_lo, s11, v4, vcc_lo
	s_waitcnt vmcnt(0)
	global_store_b32 v[5:6], v7, off
.LBB91_24:
	s_and_b32 exec_lo, exec_lo, s13
	s_cbranch_execz .LBB91_26
; %bb.25:
	s_waitcnt vmcnt(1)
	global_store_b64 v[3:4], v[1:2], off
.LBB91_26:
	s_nop 0
	s_sendmsg sendmsg(MSG_DEALLOC_VGPRS)
	s_endpgm
	.section	.rodata,"a",@progbits
	.p2align	6, 0x0
	.amdhsa_kernel _ZN7rocprim17ROCPRIM_304000_NS6detail33device_block_merge_oddeven_kernelINS1_37wrapped_merge_sort_block_merge_configINS0_14default_configEiN2at4cuda3cub6detail10OpaqueTypeILi8EEEEEPiSC_PSA_SD_jNS1_19radix_merge_compareILb0ELb0EiNS0_19identity_decomposerEEEEEvT0_T1_T2_T3_T4_SL_T5_
		.amdhsa_group_segment_fixed_size 0
		.amdhsa_private_segment_fixed_size 0
		.amdhsa_kernarg_size 44
		.amdhsa_user_sgpr_count 15
		.amdhsa_user_sgpr_dispatch_ptr 0
		.amdhsa_user_sgpr_queue_ptr 0
		.amdhsa_user_sgpr_kernarg_segment_ptr 1
		.amdhsa_user_sgpr_dispatch_id 0
		.amdhsa_user_sgpr_private_segment_size 0
		.amdhsa_wavefront_size32 1
		.amdhsa_uses_dynamic_stack 0
		.amdhsa_enable_private_segment 0
		.amdhsa_system_sgpr_workgroup_id_x 1
		.amdhsa_system_sgpr_workgroup_id_y 0
		.amdhsa_system_sgpr_workgroup_id_z 0
		.amdhsa_system_sgpr_workgroup_info 0
		.amdhsa_system_vgpr_workitem_id 0
		.amdhsa_next_free_vgpr 12
		.amdhsa_next_free_sgpr 20
		.amdhsa_reserve_vcc 1
		.amdhsa_float_round_mode_32 0
		.amdhsa_float_round_mode_16_64 0
		.amdhsa_float_denorm_mode_32 3
		.amdhsa_float_denorm_mode_16_64 3
		.amdhsa_dx10_clamp 1
		.amdhsa_ieee_mode 1
		.amdhsa_fp16_overflow 0
		.amdhsa_workgroup_processor_mode 1
		.amdhsa_memory_ordered 1
		.amdhsa_forward_progress 0
		.amdhsa_shared_vgpr_count 0
		.amdhsa_exception_fp_ieee_invalid_op 0
		.amdhsa_exception_fp_denorm_src 0
		.amdhsa_exception_fp_ieee_div_zero 0
		.amdhsa_exception_fp_ieee_overflow 0
		.amdhsa_exception_fp_ieee_underflow 0
		.amdhsa_exception_fp_ieee_inexact 0
		.amdhsa_exception_int_div_zero 0
	.end_amdhsa_kernel
	.section	.text._ZN7rocprim17ROCPRIM_304000_NS6detail33device_block_merge_oddeven_kernelINS1_37wrapped_merge_sort_block_merge_configINS0_14default_configEiN2at4cuda3cub6detail10OpaqueTypeILi8EEEEEPiSC_PSA_SD_jNS1_19radix_merge_compareILb0ELb0EiNS0_19identity_decomposerEEEEEvT0_T1_T2_T3_T4_SL_T5_,"axG",@progbits,_ZN7rocprim17ROCPRIM_304000_NS6detail33device_block_merge_oddeven_kernelINS1_37wrapped_merge_sort_block_merge_configINS0_14default_configEiN2at4cuda3cub6detail10OpaqueTypeILi8EEEEEPiSC_PSA_SD_jNS1_19radix_merge_compareILb0ELb0EiNS0_19identity_decomposerEEEEEvT0_T1_T2_T3_T4_SL_T5_,comdat
.Lfunc_end91:
	.size	_ZN7rocprim17ROCPRIM_304000_NS6detail33device_block_merge_oddeven_kernelINS1_37wrapped_merge_sort_block_merge_configINS0_14default_configEiN2at4cuda3cub6detail10OpaqueTypeILi8EEEEEPiSC_PSA_SD_jNS1_19radix_merge_compareILb0ELb0EiNS0_19identity_decomposerEEEEEvT0_T1_T2_T3_T4_SL_T5_, .Lfunc_end91-_ZN7rocprim17ROCPRIM_304000_NS6detail33device_block_merge_oddeven_kernelINS1_37wrapped_merge_sort_block_merge_configINS0_14default_configEiN2at4cuda3cub6detail10OpaqueTypeILi8EEEEEPiSC_PSA_SD_jNS1_19radix_merge_compareILb0ELb0EiNS0_19identity_decomposerEEEEEvT0_T1_T2_T3_T4_SL_T5_
                                        ; -- End function
	.section	.AMDGPU.csdata,"",@progbits
; Kernel info:
; codeLenInByte = 988
; NumSgprs: 22
; NumVgprs: 12
; ScratchSize: 0
; MemoryBound: 0
; FloatMode: 240
; IeeeMode: 1
; LDSByteSize: 0 bytes/workgroup (compile time only)
; SGPRBlocks: 2
; VGPRBlocks: 1
; NumSGPRsForWavesPerEU: 22
; NumVGPRsForWavesPerEU: 12
; Occupancy: 16
; WaveLimiterHint : 0
; COMPUTE_PGM_RSRC2:SCRATCH_EN: 0
; COMPUTE_PGM_RSRC2:USER_SGPR: 15
; COMPUTE_PGM_RSRC2:TRAP_HANDLER: 0
; COMPUTE_PGM_RSRC2:TGID_X_EN: 1
; COMPUTE_PGM_RSRC2:TGID_Y_EN: 0
; COMPUTE_PGM_RSRC2:TGID_Z_EN: 0
; COMPUTE_PGM_RSRC2:TIDIG_COMP_CNT: 0
	.section	.text._ZN7rocprim17ROCPRIM_304000_NS6detail45device_block_merge_mergepath_partition_kernelINS1_37wrapped_merge_sort_block_merge_configINS0_14default_configEiN2at4cuda3cub6detail10OpaqueTypeILi8EEEEEPijNS1_19radix_merge_compareILb0ELb1EiNS0_19identity_decomposerEEEEEvT0_T1_jPSH_T2_SH_,"axG",@progbits,_ZN7rocprim17ROCPRIM_304000_NS6detail45device_block_merge_mergepath_partition_kernelINS1_37wrapped_merge_sort_block_merge_configINS0_14default_configEiN2at4cuda3cub6detail10OpaqueTypeILi8EEEEEPijNS1_19radix_merge_compareILb0ELb1EiNS0_19identity_decomposerEEEEEvT0_T1_jPSH_T2_SH_,comdat
	.protected	_ZN7rocprim17ROCPRIM_304000_NS6detail45device_block_merge_mergepath_partition_kernelINS1_37wrapped_merge_sort_block_merge_configINS0_14default_configEiN2at4cuda3cub6detail10OpaqueTypeILi8EEEEEPijNS1_19radix_merge_compareILb0ELb1EiNS0_19identity_decomposerEEEEEvT0_T1_jPSH_T2_SH_ ; -- Begin function _ZN7rocprim17ROCPRIM_304000_NS6detail45device_block_merge_mergepath_partition_kernelINS1_37wrapped_merge_sort_block_merge_configINS0_14default_configEiN2at4cuda3cub6detail10OpaqueTypeILi8EEEEEPijNS1_19radix_merge_compareILb0ELb1EiNS0_19identity_decomposerEEEEEvT0_T1_jPSH_T2_SH_
	.globl	_ZN7rocprim17ROCPRIM_304000_NS6detail45device_block_merge_mergepath_partition_kernelINS1_37wrapped_merge_sort_block_merge_configINS0_14default_configEiN2at4cuda3cub6detail10OpaqueTypeILi8EEEEEPijNS1_19radix_merge_compareILb0ELb1EiNS0_19identity_decomposerEEEEEvT0_T1_jPSH_T2_SH_
	.p2align	8
	.type	_ZN7rocprim17ROCPRIM_304000_NS6detail45device_block_merge_mergepath_partition_kernelINS1_37wrapped_merge_sort_block_merge_configINS0_14default_configEiN2at4cuda3cub6detail10OpaqueTypeILi8EEEEEPijNS1_19radix_merge_compareILb0ELb1EiNS0_19identity_decomposerEEEEEvT0_T1_jPSH_T2_SH_,@function
_ZN7rocprim17ROCPRIM_304000_NS6detail45device_block_merge_mergepath_partition_kernelINS1_37wrapped_merge_sort_block_merge_configINS0_14default_configEiN2at4cuda3cub6detail10OpaqueTypeILi8EEEEEPijNS1_19radix_merge_compareILb0ELb1EiNS0_19identity_decomposerEEEEEvT0_T1_jPSH_T2_SH_: ; @_ZN7rocprim17ROCPRIM_304000_NS6detail45device_block_merge_mergepath_partition_kernelINS1_37wrapped_merge_sort_block_merge_configINS0_14default_configEiN2at4cuda3cub6detail10OpaqueTypeILi8EEEEEPijNS1_19radix_merge_compareILb0ELb1EiNS0_19identity_decomposerEEEEEvT0_T1_jPSH_T2_SH_
; %bb.0:
	s_load_b64 s[4:5], s[0:1], 0x8
	v_lshl_or_b32 v0, s15, 7, v0
	s_mov_b32 s2, exec_lo
	s_waitcnt lgkmcnt(0)
	s_delay_alu instid0(VALU_DEP_1)
	v_cmpx_gt_u32_e64 s5, v0
	s_cbranch_execz .LBB92_6
; %bb.1:
	s_load_b64 s[2:3], s[0:1], 0x18
	s_waitcnt lgkmcnt(0)
	s_lshr_b32 s5, s3, 9
	s_delay_alu instid0(SALU_CYCLE_1) | instskip(NEXT) | instid1(SALU_CYCLE_1)
	s_and_b32 s5, s5, 0x7ffffe
	s_sub_i32 s6, 0, s5
	s_add_i32 s5, s5, -1
	v_and_b32_e32 v1, s6, v0
	v_and_b32_e32 v5, s5, v0
	s_delay_alu instid0(VALU_DEP_2) | instskip(NEXT) | instid1(VALU_DEP_1)
	v_lshlrev_b32_e32 v1, 10, v1
	v_add_nc_u32_e32 v2, s3, v1
	s_delay_alu instid0(VALU_DEP_1) | instskip(SKIP_1) | instid1(VALU_DEP_2)
	v_min_u32_e32 v4, s4, v2
	v_min_u32_e32 v2, s4, v1
	v_add_nc_u32_e32 v3, s3, v4
	s_mov_b32 s3, exec_lo
	s_delay_alu instid0(VALU_DEP_1) | instskip(SKIP_1) | instid1(VALU_DEP_2)
	v_min_u32_e32 v1, s4, v3
	v_lshlrev_b32_e32 v3, 10, v5
	v_sub_nc_u32_e32 v5, v1, v2
	v_sub_nc_u32_e32 v6, v1, v4
	s_delay_alu instid0(VALU_DEP_2) | instskip(SKIP_1) | instid1(VALU_DEP_2)
	v_min_u32_e32 v1, v5, v3
	v_sub_nc_u32_e32 v3, v4, v2
	v_sub_nc_u32_e64 v6, v1, v6 clamp
	s_delay_alu instid0(VALU_DEP_2) | instskip(NEXT) | instid1(VALU_DEP_1)
	v_min_u32_e32 v7, v1, v3
	v_cmpx_lt_u32_e64 v6, v7
	s_cbranch_execz .LBB92_5
; %bb.2:
	s_load_b64 s[4:5], s[0:1], 0x0
	v_mov_b32_e32 v5, 0
	s_delay_alu instid0(VALU_DEP_1) | instskip(SKIP_1) | instid1(VALU_DEP_2)
	v_mov_b32_e32 v3, v5
	v_lshlrev_b64 v[10:11], 2, v[4:5]
	v_lshlrev_b64 v[8:9], 2, v[2:3]
	s_waitcnt lgkmcnt(0)
	s_delay_alu instid0(VALU_DEP_1) | instskip(NEXT) | instid1(VALU_DEP_2)
	v_add_co_u32 v3, vcc_lo, s4, v8
	v_add_co_ci_u32_e32 v8, vcc_lo, s5, v9, vcc_lo
	s_delay_alu instid0(VALU_DEP_4)
	v_add_co_u32 v9, vcc_lo, s4, v10
	v_add_co_ci_u32_e32 v10, vcc_lo, s5, v11, vcc_lo
	s_mov_b32 s4, 0
	.p2align	6
.LBB92_3:                               ; =>This Inner Loop Header: Depth=1
	v_add_nc_u32_e32 v4, v7, v6
	v_mov_b32_e32 v12, v5
	s_delay_alu instid0(VALU_DEP_2) | instskip(NEXT) | instid1(VALU_DEP_1)
	v_lshrrev_b32_e32 v4, 1, v4
	v_xad_u32 v11, v4, -1, v1
	v_lshlrev_b64 v[13:14], 2, v[4:5]
	s_delay_alu instid0(VALU_DEP_2) | instskip(NEXT) | instid1(VALU_DEP_2)
	v_lshlrev_b64 v[11:12], 2, v[11:12]
	v_add_co_u32 v13, vcc_lo, v3, v13
	s_delay_alu instid0(VALU_DEP_3) | instskip(NEXT) | instid1(VALU_DEP_3)
	v_add_co_ci_u32_e32 v14, vcc_lo, v8, v14, vcc_lo
	v_add_co_u32 v11, vcc_lo, v9, v11
	s_delay_alu instid0(VALU_DEP_4)
	v_add_co_ci_u32_e32 v12, vcc_lo, v10, v12, vcc_lo
	s_clause 0x1
	global_load_b32 v13, v[13:14], off
	global_load_b32 v11, v[11:12], off
	s_waitcnt vmcnt(1)
	v_and_b32_e32 v12, s2, v13
	s_waitcnt vmcnt(0)
	v_and_b32_e32 v11, s2, v11
	v_add_nc_u32_e32 v13, 1, v4
	s_delay_alu instid0(VALU_DEP_2) | instskip(NEXT) | instid1(VALU_DEP_2)
	v_cmp_gt_i32_e32 vcc_lo, v12, v11
	v_dual_cndmask_b32 v7, v7, v4 :: v_dual_cndmask_b32 v6, v13, v6
	s_delay_alu instid0(VALU_DEP_1) | instskip(SKIP_1) | instid1(SALU_CYCLE_1)
	v_cmp_ge_u32_e32 vcc_lo, v6, v7
	s_or_b32 s4, vcc_lo, s4
	s_and_not1_b32 exec_lo, exec_lo, s4
	s_cbranch_execnz .LBB92_3
; %bb.4:
	s_or_b32 exec_lo, exec_lo, s4
.LBB92_5:
	s_delay_alu instid0(SALU_CYCLE_1) | instskip(SKIP_2) | instid1(VALU_DEP_1)
	s_or_b32 exec_lo, exec_lo, s3
	s_load_b64 s[0:1], s[0:1], 0x10
	v_dual_mov_b32 v1, 0 :: v_dual_add_nc_u32 v2, v6, v2
	v_lshlrev_b64 v[0:1], 2, v[0:1]
	s_waitcnt lgkmcnt(0)
	s_delay_alu instid0(VALU_DEP_1) | instskip(NEXT) | instid1(VALU_DEP_2)
	v_add_co_u32 v0, vcc_lo, s0, v0
	v_add_co_ci_u32_e32 v1, vcc_lo, s1, v1, vcc_lo
	global_store_b32 v[0:1], v2, off
.LBB92_6:
	s_nop 0
	s_sendmsg sendmsg(MSG_DEALLOC_VGPRS)
	s_endpgm
	.section	.rodata,"a",@progbits
	.p2align	6, 0x0
	.amdhsa_kernel _ZN7rocprim17ROCPRIM_304000_NS6detail45device_block_merge_mergepath_partition_kernelINS1_37wrapped_merge_sort_block_merge_configINS0_14default_configEiN2at4cuda3cub6detail10OpaqueTypeILi8EEEEEPijNS1_19radix_merge_compareILb0ELb1EiNS0_19identity_decomposerEEEEEvT0_T1_jPSH_T2_SH_
		.amdhsa_group_segment_fixed_size 0
		.amdhsa_private_segment_fixed_size 0
		.amdhsa_kernarg_size 32
		.amdhsa_user_sgpr_count 15
		.amdhsa_user_sgpr_dispatch_ptr 0
		.amdhsa_user_sgpr_queue_ptr 0
		.amdhsa_user_sgpr_kernarg_segment_ptr 1
		.amdhsa_user_sgpr_dispatch_id 0
		.amdhsa_user_sgpr_private_segment_size 0
		.amdhsa_wavefront_size32 1
		.amdhsa_uses_dynamic_stack 0
		.amdhsa_enable_private_segment 0
		.amdhsa_system_sgpr_workgroup_id_x 1
		.amdhsa_system_sgpr_workgroup_id_y 0
		.amdhsa_system_sgpr_workgroup_id_z 0
		.amdhsa_system_sgpr_workgroup_info 0
		.amdhsa_system_vgpr_workitem_id 0
		.amdhsa_next_free_vgpr 15
		.amdhsa_next_free_sgpr 16
		.amdhsa_reserve_vcc 1
		.amdhsa_float_round_mode_32 0
		.amdhsa_float_round_mode_16_64 0
		.amdhsa_float_denorm_mode_32 3
		.amdhsa_float_denorm_mode_16_64 3
		.amdhsa_dx10_clamp 1
		.amdhsa_ieee_mode 1
		.amdhsa_fp16_overflow 0
		.amdhsa_workgroup_processor_mode 1
		.amdhsa_memory_ordered 1
		.amdhsa_forward_progress 0
		.amdhsa_shared_vgpr_count 0
		.amdhsa_exception_fp_ieee_invalid_op 0
		.amdhsa_exception_fp_denorm_src 0
		.amdhsa_exception_fp_ieee_div_zero 0
		.amdhsa_exception_fp_ieee_overflow 0
		.amdhsa_exception_fp_ieee_underflow 0
		.amdhsa_exception_fp_ieee_inexact 0
		.amdhsa_exception_int_div_zero 0
	.end_amdhsa_kernel
	.section	.text._ZN7rocprim17ROCPRIM_304000_NS6detail45device_block_merge_mergepath_partition_kernelINS1_37wrapped_merge_sort_block_merge_configINS0_14default_configEiN2at4cuda3cub6detail10OpaqueTypeILi8EEEEEPijNS1_19radix_merge_compareILb0ELb1EiNS0_19identity_decomposerEEEEEvT0_T1_jPSH_T2_SH_,"axG",@progbits,_ZN7rocprim17ROCPRIM_304000_NS6detail45device_block_merge_mergepath_partition_kernelINS1_37wrapped_merge_sort_block_merge_configINS0_14default_configEiN2at4cuda3cub6detail10OpaqueTypeILi8EEEEEPijNS1_19radix_merge_compareILb0ELb1EiNS0_19identity_decomposerEEEEEvT0_T1_jPSH_T2_SH_,comdat
.Lfunc_end92:
	.size	_ZN7rocprim17ROCPRIM_304000_NS6detail45device_block_merge_mergepath_partition_kernelINS1_37wrapped_merge_sort_block_merge_configINS0_14default_configEiN2at4cuda3cub6detail10OpaqueTypeILi8EEEEEPijNS1_19radix_merge_compareILb0ELb1EiNS0_19identity_decomposerEEEEEvT0_T1_jPSH_T2_SH_, .Lfunc_end92-_ZN7rocprim17ROCPRIM_304000_NS6detail45device_block_merge_mergepath_partition_kernelINS1_37wrapped_merge_sort_block_merge_configINS0_14default_configEiN2at4cuda3cub6detail10OpaqueTypeILi8EEEEEPijNS1_19radix_merge_compareILb0ELb1EiNS0_19identity_decomposerEEEEEvT0_T1_jPSH_T2_SH_
                                        ; -- End function
	.section	.AMDGPU.csdata,"",@progbits
; Kernel info:
; codeLenInByte = 480
; NumSgprs: 18
; NumVgprs: 15
; ScratchSize: 0
; MemoryBound: 0
; FloatMode: 240
; IeeeMode: 1
; LDSByteSize: 0 bytes/workgroup (compile time only)
; SGPRBlocks: 2
; VGPRBlocks: 1
; NumSGPRsForWavesPerEU: 18
; NumVGPRsForWavesPerEU: 15
; Occupancy: 16
; WaveLimiterHint : 0
; COMPUTE_PGM_RSRC2:SCRATCH_EN: 0
; COMPUTE_PGM_RSRC2:USER_SGPR: 15
; COMPUTE_PGM_RSRC2:TRAP_HANDLER: 0
; COMPUTE_PGM_RSRC2:TGID_X_EN: 1
; COMPUTE_PGM_RSRC2:TGID_Y_EN: 0
; COMPUTE_PGM_RSRC2:TGID_Z_EN: 0
; COMPUTE_PGM_RSRC2:TIDIG_COMP_CNT: 0
	.section	.text._ZN7rocprim17ROCPRIM_304000_NS6detail35device_block_merge_mergepath_kernelINS1_37wrapped_merge_sort_block_merge_configINS0_14default_configEiN2at4cuda3cub6detail10OpaqueTypeILi8EEEEEPiSC_PSA_SD_jNS1_19radix_merge_compareILb0ELb1EiNS0_19identity_decomposerEEEEEvT0_T1_T2_T3_T4_SL_jT5_PKSL_NS1_7vsmem_tE,"axG",@progbits,_ZN7rocprim17ROCPRIM_304000_NS6detail35device_block_merge_mergepath_kernelINS1_37wrapped_merge_sort_block_merge_configINS0_14default_configEiN2at4cuda3cub6detail10OpaqueTypeILi8EEEEEPiSC_PSA_SD_jNS1_19radix_merge_compareILb0ELb1EiNS0_19identity_decomposerEEEEEvT0_T1_T2_T3_T4_SL_jT5_PKSL_NS1_7vsmem_tE,comdat
	.protected	_ZN7rocprim17ROCPRIM_304000_NS6detail35device_block_merge_mergepath_kernelINS1_37wrapped_merge_sort_block_merge_configINS0_14default_configEiN2at4cuda3cub6detail10OpaqueTypeILi8EEEEEPiSC_PSA_SD_jNS1_19radix_merge_compareILb0ELb1EiNS0_19identity_decomposerEEEEEvT0_T1_T2_T3_T4_SL_jT5_PKSL_NS1_7vsmem_tE ; -- Begin function _ZN7rocprim17ROCPRIM_304000_NS6detail35device_block_merge_mergepath_kernelINS1_37wrapped_merge_sort_block_merge_configINS0_14default_configEiN2at4cuda3cub6detail10OpaqueTypeILi8EEEEEPiSC_PSA_SD_jNS1_19radix_merge_compareILb0ELb1EiNS0_19identity_decomposerEEEEEvT0_T1_T2_T3_T4_SL_jT5_PKSL_NS1_7vsmem_tE
	.globl	_ZN7rocprim17ROCPRIM_304000_NS6detail35device_block_merge_mergepath_kernelINS1_37wrapped_merge_sort_block_merge_configINS0_14default_configEiN2at4cuda3cub6detail10OpaqueTypeILi8EEEEEPiSC_PSA_SD_jNS1_19radix_merge_compareILb0ELb1EiNS0_19identity_decomposerEEEEEvT0_T1_T2_T3_T4_SL_jT5_PKSL_NS1_7vsmem_tE
	.p2align	8
	.type	_ZN7rocprim17ROCPRIM_304000_NS6detail35device_block_merge_mergepath_kernelINS1_37wrapped_merge_sort_block_merge_configINS0_14default_configEiN2at4cuda3cub6detail10OpaqueTypeILi8EEEEEPiSC_PSA_SD_jNS1_19radix_merge_compareILb0ELb1EiNS0_19identity_decomposerEEEEEvT0_T1_T2_T3_T4_SL_jT5_PKSL_NS1_7vsmem_tE,@function
_ZN7rocprim17ROCPRIM_304000_NS6detail35device_block_merge_mergepath_kernelINS1_37wrapped_merge_sort_block_merge_configINS0_14default_configEiN2at4cuda3cub6detail10OpaqueTypeILi8EEEEEPiSC_PSA_SD_jNS1_19radix_merge_compareILb0ELb1EiNS0_19identity_decomposerEEEEEvT0_T1_T2_T3_T4_SL_jT5_PKSL_NS1_7vsmem_tE: ; @_ZN7rocprim17ROCPRIM_304000_NS6detail35device_block_merge_mergepath_kernelINS1_37wrapped_merge_sort_block_merge_configINS0_14default_configEiN2at4cuda3cub6detail10OpaqueTypeILi8EEEEEPiSC_PSA_SD_jNS1_19radix_merge_compareILb0ELb1EiNS0_19identity_decomposerEEEEEvT0_T1_T2_T3_T4_SL_jT5_PKSL_NS1_7vsmem_tE
; %bb.0:
	s_clause 0x1
	s_load_b64 s[24:25], s[0:1], 0x40
	s_load_b128 s[16:19], s[0:1], 0x20
	s_add_u32 s22, s0, 64
	s_addc_u32 s23, s1, 0
	s_waitcnt lgkmcnt(0)
	s_mul_i32 s2, s25, s15
	s_delay_alu instid0(SALU_CYCLE_1) | instskip(NEXT) | instid1(SALU_CYCLE_1)
	s_add_i32 s2, s2, s14
	s_mul_i32 s2, s2, s24
	s_delay_alu instid0(SALU_CYCLE_1) | instskip(NEXT) | instid1(SALU_CYCLE_1)
	s_add_i32 s2, s2, s13
	s_cmp_ge_u32 s2, s18
	s_cbranch_scc1 .LBB93_53
; %bb.1:
	s_load_b64 s[4:5], s[0:1], 0x30
	s_lshr_b32 s30, s16, 10
	s_mov_b32 s15, 0
	s_cmp_lg_u32 s2, s30
	s_mov_b32 s3, s15
	s_cselect_b32 s18, -1, 0
	s_lshl_b64 s[6:7], s[2:3], 2
	v_mov_b32_e32 v4, 0
	s_mov_b32 s21, s15
	v_lshlrev_b32_e32 v5, 2, v0
	s_waitcnt lgkmcnt(0)
	s_add_u32 s4, s4, s6
	s_addc_u32 s5, s5, s7
	s_lshl_b32 s12, s2, 10
	s_load_b64 s[26:27], s[4:5], 0x0
	s_load_b256 s[4:11], s[0:1], 0x0
	global_load_b32 v1, v4, s[22:23] offset:14
	s_lshr_b32 s0, s17, 9
	s_delay_alu instid0(SALU_CYCLE_1) | instskip(NEXT) | instid1(SALU_CYCLE_1)
	s_and_b32 s0, s0, 0x7ffffe
	s_sub_i32 s0, 0, s0
	s_delay_alu instid0(SALU_CYCLE_1)
	s_and_b32 s1, s2, s0
	s_or_b32 s0, s2, s0
	s_lshl_b32 s3, s1, 11
	s_lshl_b32 s1, s1, 10
	s_add_i32 s3, s3, s17
	s_sub_i32 s14, s12, s1
	s_sub_i32 s1, s3, s1
	s_add_i32 s3, s3, s14
	s_min_u32 s25, s16, s1
	s_add_i32 s1, s1, s17
	s_waitcnt lgkmcnt(0)
	s_sub_i32 s14, s3, s26
	s_sub_i32 s3, s3, s27
	s_min_u32 s20, s16, s14
	s_addk_i32 s3, 0x400
	s_cmp_eq_u32 s0, -1
	s_mov_b32 s14, s26
	s_cselect_b32 s3, s1, s3
	s_cselect_b32 s17, s25, s27
	s_min_u32 s3, s3, s16
	s_lshl_b64 s[0:1], s[14:15], 2
	s_sub_i32 s17, s17, s26
	s_sub_i32 s25, s3, s20
	s_add_u32 s26, s4, s0
	s_addc_u32 s27, s5, s1
	s_lshl_b64 s[28:29], s[20:21], 2
	v_cmp_gt_u32_e32 vcc_lo, s17, v0
	s_add_u32 s1, s4, s28
	s_addc_u32 s4, s5, s29
	s_cmp_lt_u32 s13, s24
	s_cselect_b32 s0, 12, 18
	s_delay_alu instid0(SALU_CYCLE_1)
	s_add_u32 s22, s22, s0
	s_addc_u32 s23, s23, 0
	s_cmp_eq_u32 s2, s30
	s_mov_b32 s0, -1
	s_waitcnt vmcnt(0)
	v_lshrrev_b32_e32 v3, 16, v1
	v_and_b32_e32 v1, 0xffff, v1
	global_load_u16 v2, v4, s[22:23]
	v_mul_lo_u32 v1, v1, v3
	s_waitcnt vmcnt(0)
	s_delay_alu instid0(VALU_DEP_1) | instskip(NEXT) | instid1(VALU_DEP_1)
	v_mul_lo_u32 v1, v1, v2
	v_add_nc_u32_e32 v1, v1, v0
	s_cbranch_scc1 .LBB93_3
; %bb.2:
	v_subrev_nc_u32_e32 v3, s17, v0
	v_add_co_u32 v10, s0, s26, v5
	s_delay_alu instid0(VALU_DEP_1) | instskip(NEXT) | instid1(VALU_DEP_3)
	v_add_co_ci_u32_e64 v11, null, s27, 0, s0
	v_lshlrev_b64 v[6:7], 2, v[3:4]
	v_subrev_nc_u32_e32 v3, s17, v1
	s_add_i32 s3, s25, s17
	s_delay_alu instid0(VALU_DEP_2) | instskip(NEXT) | instid1(VALU_DEP_1)
	v_add_co_u32 v6, s0, s1, v6
	v_add_co_ci_u32_e64 v7, s0, s4, v7, s0
	v_mov_b32_e32 v2, v4
	s_delay_alu instid0(VALU_DEP_1) | instskip(SKIP_1) | instid1(VALU_DEP_2)
	v_lshlrev_b64 v[8:9], 2, v[1:2]
	v_lshlrev_b64 v[2:3], 2, v[3:4]
	v_add_co_u32 v4, s0, s26, v8
	s_delay_alu instid0(VALU_DEP_1) | instskip(NEXT) | instid1(VALU_DEP_3)
	v_add_co_ci_u32_e64 v8, s0, s27, v9, s0
	v_add_co_u32 v9, s0, s1, v2
	s_delay_alu instid0(VALU_DEP_1) | instskip(SKIP_3) | instid1(VALU_DEP_2)
	v_add_co_ci_u32_e64 v12, s0, s4, v3, s0
	v_cndmask_b32_e32 v3, v7, v11, vcc_lo
	v_cmp_gt_u32_e64 s0, s17, v1
	v_cndmask_b32_e32 v2, v6, v10, vcc_lo
	v_cndmask_b32_e64 v8, v12, v8, s0
	v_cndmask_b32_e64 v7, v9, v4, s0
	global_load_b32 v6, v[2:3], off
	global_load_b32 v8, v[7:8], off
	s_mov_b32 s0, s15
	s_delay_alu instid0(SALU_CYCLE_1)
	s_and_not1_b32 vcc_lo, exec_lo, s0
	s_cbranch_vccz .LBB93_4
	s_branch .LBB93_9
.LBB93_3:
                                        ; implicit-def: $vgpr8
                                        ; implicit-def: $vgpr6
                                        ; implicit-def: $sgpr3
	s_and_not1_b32 vcc_lo, exec_lo, s0
	s_cbranch_vccnz .LBB93_9
.LBB93_4:
	s_add_i32 s3, s25, s17
	s_mov_b32 s0, exec_lo
                                        ; implicit-def: $vgpr6
	v_cmpx_gt_u32_e64 s3, v0
	s_cbranch_execz .LBB93_6
; %bb.5:
	v_subrev_nc_u32_e32 v2, s17, v0
	v_add_co_u32 v4, s2, s26, v5
	v_mov_b32_e32 v3, 0
	s_waitcnt vmcnt(1)
	v_add_co_ci_u32_e64 v6, null, s27, 0, s2
	s_delay_alu instid0(VALU_DEP_2) | instskip(NEXT) | instid1(VALU_DEP_1)
	v_lshlrev_b64 v[2:3], 2, v[2:3]
	v_add_co_u32 v2, vcc_lo, s1, v2
	s_delay_alu instid0(VALU_DEP_2) | instskip(SKIP_1) | instid1(VALU_DEP_2)
	v_add_co_ci_u32_e32 v3, vcc_lo, s4, v3, vcc_lo
	v_cmp_gt_u32_e32 vcc_lo, s17, v0
	v_dual_cndmask_b32 v2, v2, v4 :: v_dual_cndmask_b32 v3, v3, v6
	global_load_b32 v6, v[2:3], off
.LBB93_6:
	s_or_b32 exec_lo, exec_lo, s0
	s_delay_alu instid0(SALU_CYCLE_1)
	s_mov_b32 s2, exec_lo
                                        ; implicit-def: $vgpr8
	v_cmpx_gt_u32_e64 s3, v1
	s_cbranch_execz .LBB93_8
; %bb.7:
	v_mov_b32_e32 v2, 0
	s_delay_alu instid0(VALU_DEP_1) | instskip(NEXT) | instid1(VALU_DEP_1)
	v_lshlrev_b64 v[3:4], 2, v[1:2]
	v_add_co_u32 v3, vcc_lo, s26, v3
	s_delay_alu instid0(VALU_DEP_2) | instskip(SKIP_2) | instid1(VALU_DEP_1)
	v_add_co_ci_u32_e32 v4, vcc_lo, s27, v4, vcc_lo
	v_cmp_gt_u32_e32 vcc_lo, s17, v1
	v_subrev_nc_u32_e32 v1, s17, v1
	v_lshlrev_b64 v[1:2], 2, v[1:2]
	s_delay_alu instid0(VALU_DEP_1) | instskip(NEXT) | instid1(VALU_DEP_1)
	v_add_co_u32 v1, s0, s1, v1
	v_add_co_ci_u32_e64 v2, s0, s4, v2, s0
	s_delay_alu instid0(VALU_DEP_1)
	v_dual_cndmask_b32 v1, v1, v3 :: v_dual_cndmask_b32 v2, v2, v4
	global_load_b32 v8, v[1:2], off
.LBB93_8:
	s_or_b32 exec_lo, exec_lo, s2
.LBB93_9:
	v_lshlrev_b32_e32 v7, 1, v0
	s_mov_b32 s0, exec_lo
	s_waitcnt vmcnt(0)
	ds_store_2addr_stride64_b32 v5, v6, v8 offset1:8
	s_waitcnt lgkmcnt(0)
	s_barrier
	v_min_u32_e32 v2, s3, v7
	buffer_gl0_inv
	v_sub_nc_u32_e64 v1, v2, s25 clamp
	v_min_u32_e32 v3, s17, v2
	s_delay_alu instid0(VALU_DEP_1)
	v_cmpx_lt_u32_e64 v1, v3
	s_cbranch_execz .LBB93_13
; %bb.10:
	v_lshlrev_b32_e32 v4, 2, v2
	s_mov_b32 s1, 0
	s_delay_alu instid0(VALU_DEP_1)
	v_lshl_add_u32 v4, s17, 2, v4
	.p2align	6
.LBB93_11:                              ; =>This Inner Loop Header: Depth=1
	v_add_nc_u32_e32 v9, v3, v1
	s_delay_alu instid0(VALU_DEP_1) | instskip(NEXT) | instid1(VALU_DEP_1)
	v_lshrrev_b32_e32 v9, 1, v9
	v_not_b32_e32 v10, v9
	v_lshlrev_b32_e32 v11, 2, v9
	v_add_nc_u32_e32 v12, 1, v9
	s_delay_alu instid0(VALU_DEP_3)
	v_lshl_add_u32 v10, v10, 2, v4
	ds_load_b32 v11, v11
	ds_load_b32 v10, v10
	s_waitcnt lgkmcnt(1)
	v_and_b32_e32 v11, s19, v11
	s_waitcnt lgkmcnt(0)
	v_and_b32_e32 v10, s19, v10
	s_delay_alu instid0(VALU_DEP_1) | instskip(SKIP_2) | instid1(VALU_DEP_1)
	v_cmp_gt_i32_e32 vcc_lo, v11, v10
	v_cndmask_b32_e32 v3, v3, v9, vcc_lo
	v_cndmask_b32_e32 v1, v12, v1, vcc_lo
	v_cmp_ge_u32_e32 vcc_lo, v1, v3
	s_or_b32 s1, vcc_lo, s1
	s_delay_alu instid0(SALU_CYCLE_1)
	s_and_not1_b32 exec_lo, exec_lo, s1
	s_cbranch_execnz .LBB93_11
; %bb.12:
	s_or_b32 exec_lo, exec_lo, s1
.LBB93_13:
	s_delay_alu instid0(SALU_CYCLE_1) | instskip(SKIP_2) | instid1(VALU_DEP_2)
	s_or_b32 exec_lo, exec_lo, s0
	v_sub_nc_u32_e32 v2, v2, v1
	v_cmp_ge_u32_e32 vcc_lo, s17, v1
                                        ; implicit-def: $vgpr10
                                        ; implicit-def: $vgpr11
	v_add_nc_u32_e32 v2, s17, v2
	s_delay_alu instid0(VALU_DEP_1) | instskip(NEXT) | instid1(VALU_DEP_1)
	v_cmp_ge_u32_e64 s0, s3, v2
	s_or_b32 s0, vcc_lo, s0
	s_delay_alu instid0(SALU_CYCLE_1)
	s_and_saveexec_b32 s4, s0
	s_cbranch_execz .LBB93_19
; %bb.14:
	v_cmp_gt_u32_e32 vcc_lo, s17, v1
                                        ; implicit-def: $vgpr3
	s_and_saveexec_b32 s0, vcc_lo
	s_cbranch_execz .LBB93_16
; %bb.15:
	v_lshlrev_b32_e32 v3, 2, v1
	ds_load_b32 v3, v3
.LBB93_16:
	s_or_b32 exec_lo, exec_lo, s0
	v_cmp_le_u32_e64 s0, s3, v2
	s_mov_b32 s2, exec_lo
                                        ; implicit-def: $vgpr4
	v_cmpx_gt_u32_e64 s3, v2
	s_cbranch_execz .LBB93_18
; %bb.17:
	v_lshlrev_b32_e32 v4, 2, v2
	ds_load_b32 v4, v4
.LBB93_18:
	s_or_b32 exec_lo, exec_lo, s2
	s_waitcnt lgkmcnt(0)
	v_and_b32_e32 v6, s19, v4
	v_and_b32_e32 v8, s19, v3
	s_delay_alu instid0(VALU_DEP_1) | instskip(NEXT) | instid1(VALU_DEP_1)
	v_cmp_le_i32_e64 s1, v8, v6
	s_and_b32 s1, vcc_lo, s1
	s_delay_alu instid0(SALU_CYCLE_1) | instskip(SKIP_1) | instid1(VALU_DEP_1)
	s_or_b32 vcc_lo, s0, s1
	v_cndmask_b32_e32 v11, v2, v1, vcc_lo
	v_add_nc_u32_e32 v8, 1, v11
	s_delay_alu instid0(VALU_DEP_1) | instskip(NEXT) | instid1(VALU_DEP_1)
	v_dual_mov_b32 v6, s17 :: v_dual_cndmask_b32 v1, v1, v8
	v_cndmask_b32_e32 v6, s3, v6, vcc_lo
	v_cndmask_b32_e32 v2, v8, v2, vcc_lo
	s_delay_alu instid0(VALU_DEP_3) | instskip(NEXT) | instid1(VALU_DEP_3)
	v_cmp_gt_u32_e64 s0, s17, v1
	v_add_nc_u32_e32 v6, -1, v6
	s_delay_alu instid0(VALU_DEP_3) | instskip(NEXT) | instid1(VALU_DEP_2)
	v_cmp_le_u32_e64 s2, s3, v2
	v_min_u32_e32 v6, v8, v6
	s_delay_alu instid0(VALU_DEP_1) | instskip(SKIP_3) | instid1(VALU_DEP_1)
	v_lshlrev_b32_e32 v6, 2, v6
	ds_load_b32 v6, v6
	s_waitcnt lgkmcnt(0)
	v_dual_cndmask_b32 v9, v6, v4 :: v_dual_cndmask_b32 v12, v3, v6
	v_and_b32_e32 v6, s19, v9
	s_delay_alu instid0(VALU_DEP_2) | instskip(NEXT) | instid1(VALU_DEP_1)
	v_and_b32_e32 v10, s19, v12
	v_cmp_le_i32_e64 s1, v10, v6
	v_cndmask_b32_e32 v6, v4, v3, vcc_lo
	s_delay_alu instid0(VALU_DEP_2) | instskip(NEXT) | instid1(SALU_CYCLE_1)
	s_and_b32 s0, s0, s1
	s_or_b32 vcc_lo, s2, s0
	v_cndmask_b32_e32 v10, v2, v1, vcc_lo
	v_cndmask_b32_e32 v8, v9, v12, vcc_lo
.LBB93_19:
	s_or_b32 exec_lo, exec_lo, s4
	s_lshl_b64 s[0:1], s[14:15], 3
	v_or_b32_e32 v9, 0x200, v0
	s_add_u32 s2, s8, s0
	s_addc_u32 s4, s9, s1
	s_lshl_b64 s[14:15], s[20:21], 3
	v_cmp_gt_u32_e64 s1, s17, v0
	v_cmp_le_u32_e64 s0, s17, v0
	s_add_u32 s8, s8, s14
	s_mov_b32 s5, 0
	s_addc_u32 s9, s9, s15
	s_and_not1_b32 vcc_lo, exec_lo, s18
	s_barrier
	buffer_gl0_inv
	s_cbranch_vccnz .LBB93_21
; %bb.20:
	v_subrev_nc_u32_e32 v1, s17, v0
	v_mov_b32_e32 v2, 0
	v_lshlrev_b32_e32 v14, 3, v0
	s_delay_alu instid0(VALU_DEP_2) | instskip(NEXT) | instid1(VALU_DEP_2)
	v_lshlrev_b64 v[3:4], 3, v[1:2]
	v_add_co_u32 v15, s5, s2, v14
	s_delay_alu instid0(VALU_DEP_1) | instskip(SKIP_1) | instid1(VALU_DEP_3)
	v_add_co_ci_u32_e64 v16, null, s4, 0, s5
	s_mov_b32 s5, -1
	v_add_co_u32 v1, vcc_lo, s8, v3
	s_delay_alu instid0(VALU_DEP_4) | instskip(NEXT) | instid1(VALU_DEP_1)
	v_add_co_ci_u32_e32 v3, vcc_lo, s9, v4, vcc_lo
	v_cndmask_b32_e64 v4, v3, v16, s1
	s_delay_alu instid0(VALU_DEP_3)
	v_cndmask_b32_e64 v3, v1, v15, s1
	v_subrev_nc_u32_e32 v1, s17, v9
	global_load_b64 v[12:13], v[3:4], off
	v_lshlrev_b64 v[1:2], 3, v[1:2]
	v_add_co_u32 v3, vcc_lo, 0x1000, v15
	v_add_co_ci_u32_e32 v4, vcc_lo, 0, v16, vcc_lo
	s_delay_alu instid0(VALU_DEP_3) | instskip(NEXT) | instid1(VALU_DEP_4)
	v_add_co_u32 v1, vcc_lo, s8, v1
	v_add_co_ci_u32_e32 v2, vcc_lo, s9, v2, vcc_lo
	v_cmp_gt_u32_e32 vcc_lo, s17, v9
	s_delay_alu instid0(VALU_DEP_2)
	v_dual_cndmask_b32 v1, v1, v3 :: v_dual_cndmask_b32 v2, v2, v4
	v_or_b32_e32 v4, 0x1000, v14
	s_waitcnt vmcnt(0)
	ds_store_b64 v14, v[12:13]
	s_cbranch_execz .LBB93_22
	s_branch .LBB93_33
.LBB93_21:
                                        ; implicit-def: $vgpr4
                                        ; implicit-def: $vgpr1_vgpr2
.LBB93_22:
	s_mov_b32 s1, 0
                                        ; implicit-def: $vgpr1_vgpr2
	s_and_saveexec_b32 s13, s0
	s_delay_alu instid0(SALU_CYCLE_1)
	s_xor_b32 s0, exec_lo, s13
	s_cbranch_execnz .LBB93_54
; %bb.23:
	s_and_not1_saveexec_b32 s0, s0
	s_cbranch_execnz .LBB93_57
.LBB93_24:
	s_or_b32 exec_lo, exec_lo, s0
	v_lshl_add_u32 v12, v0, 2, v5
	s_and_saveexec_b32 s0, s1
	s_cbranch_execz .LBB93_26
.LBB93_25:
	global_load_b64 v[1:2], v[1:2], off
	s_waitcnt vmcnt(0)
	ds_store_b64 v12, v[1:2]
.LBB93_26:
	s_or_b32 exec_lo, exec_lo, s0
	s_delay_alu instid0(SALU_CYCLE_1)
	s_mov_b32 s0, exec_lo
                                        ; implicit-def: $vgpr4
                                        ; implicit-def: $vgpr1_vgpr2
	v_cmpx_le_u32_e64 s17, v9
	s_xor_b32 s0, exec_lo, s0
	s_cbranch_execz .LBB93_30
; %bb.27:
	v_subrev_nc_u32_e32 v3, s17, v9
	s_mov_b32 s13, s5
	s_mov_b32 s1, exec_lo
                                        ; implicit-def: $vgpr4
                                        ; implicit-def: $vgpr1_vgpr2
	s_delay_alu instid0(VALU_DEP_1)
	v_cmpx_gt_u32_e64 s25, v3
; %bb.28:
	v_mov_b32_e32 v4, 0
	s_or_b32 s13, s5, exec_lo
	s_delay_alu instid0(VALU_DEP_1) | instskip(SKIP_1) | instid1(VALU_DEP_2)
	v_lshlrev_b64 v[1:2], 3, v[3:4]
	v_or_b32_e32 v4, 0x1000, v12
	v_add_co_u32 v1, vcc_lo, s8, v1
	s_delay_alu instid0(VALU_DEP_3)
	v_add_co_ci_u32_e32 v2, vcc_lo, s9, v2, vcc_lo
; %bb.29:
	s_or_b32 exec_lo, exec_lo, s1
	s_delay_alu instid0(SALU_CYCLE_1) | instskip(SKIP_1) | instid1(SALU_CYCLE_1)
	s_and_not1_b32 s1, s5, exec_lo
	s_and_b32 s5, s13, exec_lo
                                        ; implicit-def: $vgpr12
	s_or_b32 s5, s1, s5
.LBB93_30:
	s_and_not1_saveexec_b32 s0, s0
; %bb.31:
	v_lshlrev_b32_e32 v1, 3, v9
	v_or_b32_e32 v4, 0x1000, v12
	s_or_b32 s5, s5, exec_lo
	s_delay_alu instid0(VALU_DEP_2) | instskip(NEXT) | instid1(VALU_DEP_1)
	v_add_co_u32 v1, s1, s2, v1
	v_add_co_ci_u32_e64 v2, null, s4, 0, s1
; %bb.32:
	s_or_b32 exec_lo, exec_lo, s0
.LBB93_33:
	s_and_saveexec_b32 s0, s5
	s_cbranch_execz .LBB93_35
; %bb.34:
	global_load_b64 v[1:2], v[1:2], off
	s_waitcnt vmcnt(0)
	ds_store_b64 v4, v[1:2]
.LBB93_35:
	s_or_b32 exec_lo, exec_lo, s0
	v_add_nc_u32_e32 v1, s12, v7
	s_and_not1_b32 vcc_lo, exec_lo, s18
	s_waitcnt lgkmcnt(0)
	s_barrier
	buffer_gl0_inv
	s_cbranch_vccnz .LBB93_37
; %bb.36:
	v_lshlrev_b32_e32 v2, 3, v11
	s_mov_b32 s0, -1
	ds_load_b64 v[3:4], v2
	v_mov_b32_e32 v2, 0
	s_delay_alu instid0(VALU_DEP_1) | instskip(NEXT) | instid1(VALU_DEP_1)
	v_lshlrev_b64 v[12:13], 3, v[1:2]
	v_add_co_u32 v12, vcc_lo, s10, v12
	s_delay_alu instid0(VALU_DEP_2)
	v_add_co_ci_u32_e32 v13, vcc_lo, s11, v13, vcc_lo
	s_waitcnt lgkmcnt(0)
	global_store_b64 v[12:13], v[3:4], off
	s_cbranch_execz .LBB93_38
	s_branch .LBB93_43
.LBB93_37:
	s_mov_b32 s0, 0
.LBB93_38:
	s_mov_b32 s1, exec_lo
	v_cmpx_gt_u32_e64 s3, v7
	s_cbranch_execz .LBB93_40
; %bb.39:
	v_lshlrev_b32_e32 v2, 3, v11
	ds_load_b64 v[3:4], v2
	v_mov_b32_e32 v2, 0
	s_delay_alu instid0(VALU_DEP_1) | instskip(NEXT) | instid1(VALU_DEP_1)
	v_lshlrev_b64 v[11:12], 3, v[1:2]
	v_add_co_u32 v11, vcc_lo, s10, v11
	s_delay_alu instid0(VALU_DEP_2)
	v_add_co_ci_u32_e32 v12, vcc_lo, s11, v12, vcc_lo
	s_waitcnt lgkmcnt(0)
	global_store_b64 v[11:12], v[3:4], off
.LBB93_40:
	s_or_b32 exec_lo, exec_lo, s1
	v_or_b32_e32 v2, 1, v7
	s_mov_b32 s1, exec_lo
	s_delay_alu instid0(VALU_DEP_1)
	v_cmpx_gt_u32_e64 s3, v2
; %bb.41:
	v_mov_b32_e32 v2, 0
	s_or_b32 s0, s0, exec_lo
; %bb.42:
	s_or_b32 exec_lo, exec_lo, s1
.LBB93_43:
	s_and_saveexec_b32 s1, s0
	s_cbranch_execz .LBB93_45
; %bb.44:
	v_lshlrev_b32_e32 v3, 3, v10
	v_lshlrev_b64 v[1:2], 3, v[1:2]
	ds_load_b64 v[3:4], v3
	v_add_co_u32 v1, vcc_lo, s10, v1
	v_add_co_ci_u32_e32 v2, vcc_lo, s11, v2, vcc_lo
	s_waitcnt lgkmcnt(0)
	global_store_b64 v[1:2], v[3:4], off offset:8
.LBB93_45:
	s_or_b32 exec_lo, exec_lo, s1
	v_lshrrev_b32_e32 v1, 2, v0
	v_lshrrev_b32_e32 v2, 3, v0
	;; [unrolled: 1-line block ×3, first 2 shown]
	s_mov_b32 s13, 0
	s_waitcnt_vscnt null, 0x0
	v_and_b32_e32 v1, 0x7c, v1
	s_lshl_b64 s[0:1], s[12:13], 2
	v_and_b32_e32 v2, 60, v2
	v_and_b32_e32 v4, 0x7c, v3
	s_add_u32 s0, s6, s0
	v_lshl_add_u32 v1, v7, 2, v1
	s_barrier
	buffer_gl0_inv
	s_barrier
	buffer_gl0_inv
	s_addc_u32 s1, s7, s1
	ds_store_2addr_b32 v1, v6, v8 offset1:1
	v_add_co_u32 v1, s0, s0, v5
	v_add_nc_u32_e32 v3, v5, v2
	v_add_nc_u32_e32 v6, v5, v4
	v_add_co_ci_u32_e64 v2, null, s1, 0, s0
	s_and_b32 vcc_lo, exec_lo, s18
	s_waitcnt lgkmcnt(0)
	s_cbranch_vccz .LBB93_47
; %bb.46:
	s_barrier
	buffer_gl0_inv
	ds_load_b32 v5, v3
	ds_load_b32 v4, v6 offset:2048
	s_mov_b32 s13, -1
	s_waitcnt lgkmcnt(1)
	global_store_b32 v[1:2], v5, off
	s_cbranch_execz .LBB93_48
	s_branch .LBB93_51
.LBB93_47:
                                        ; implicit-def: $vgpr4
.LBB93_48:
	s_waitcnt lgkmcnt(0)
	s_waitcnt_vscnt null, 0x0
	s_barrier
	buffer_gl0_inv
	ds_load_b32 v4, v6 offset:2048
	s_sub_i32 s0, s16, s12
	s_mov_b32 s1, exec_lo
	v_cmpx_gt_u32_e64 s0, v0
	s_cbranch_execz .LBB93_50
; %bb.49:
	ds_load_b32 v0, v3
	s_waitcnt lgkmcnt(0)
	global_store_b32 v[1:2], v0, off
.LBB93_50:
	s_or_b32 exec_lo, exec_lo, s1
	v_cmp_gt_u32_e64 s13, s0, v9
.LBB93_51:
	s_delay_alu instid0(VALU_DEP_1)
	s_and_saveexec_b32 s0, s13
	s_cbranch_execz .LBB93_53
; %bb.52:
	s_waitcnt lgkmcnt(0)
	global_store_b32 v[1:2], v4, off offset:2048
.LBB93_53:
	s_nop 0
	s_sendmsg sendmsg(MSG_DEALLOC_VGPRS)
	s_endpgm
.LBB93_54:
	v_subrev_nc_u32_e32 v3, s17, v0
	s_mov_b32 s13, exec_lo
                                        ; implicit-def: $vgpr1_vgpr2
	s_delay_alu instid0(VALU_DEP_1)
	v_cmpx_gt_u32_e64 s25, v3
	s_xor_b32 s13, exec_lo, s13
; %bb.55:
	v_mov_b32_e32 v4, 0
	s_mov_b32 s1, exec_lo
	s_delay_alu instid0(VALU_DEP_1) | instskip(NEXT) | instid1(VALU_DEP_1)
	v_lshlrev_b64 v[1:2], 3, v[3:4]
	v_add_co_u32 v1, vcc_lo, s8, v1
	s_delay_alu instid0(VALU_DEP_2)
	v_add_co_ci_u32_e32 v2, vcc_lo, s9, v2, vcc_lo
; %bb.56:
	s_or_b32 exec_lo, exec_lo, s13
	s_delay_alu instid0(SALU_CYCLE_1)
	s_and_b32 s1, s1, exec_lo
	s_and_not1_saveexec_b32 s0, s0
	s_cbranch_execz .LBB93_24
.LBB93_57:
	v_lshlrev_b32_e32 v1, 3, v0
	s_or_b32 s1, s1, exec_lo
	s_delay_alu instid0(VALU_DEP_1) | instskip(NEXT) | instid1(VALU_DEP_1)
	v_add_co_u32 v1, s13, s2, v1
	v_add_co_ci_u32_e64 v2, null, s4, 0, s13
	s_or_b32 exec_lo, exec_lo, s0
	v_lshl_add_u32 v12, v0, 2, v5
	s_and_saveexec_b32 s0, s1
	s_cbranch_execnz .LBB93_25
	s_branch .LBB93_26
	.section	.rodata,"a",@progbits
	.p2align	6, 0x0
	.amdhsa_kernel _ZN7rocprim17ROCPRIM_304000_NS6detail35device_block_merge_mergepath_kernelINS1_37wrapped_merge_sort_block_merge_configINS0_14default_configEiN2at4cuda3cub6detail10OpaqueTypeILi8EEEEEPiSC_PSA_SD_jNS1_19radix_merge_compareILb0ELb1EiNS0_19identity_decomposerEEEEEvT0_T1_T2_T3_T4_SL_jT5_PKSL_NS1_7vsmem_tE
		.amdhsa_group_segment_fixed_size 8208
		.amdhsa_private_segment_fixed_size 0
		.amdhsa_kernarg_size 320
		.amdhsa_user_sgpr_count 13
		.amdhsa_user_sgpr_dispatch_ptr 0
		.amdhsa_user_sgpr_queue_ptr 0
		.amdhsa_user_sgpr_kernarg_segment_ptr 1
		.amdhsa_user_sgpr_dispatch_id 0
		.amdhsa_user_sgpr_private_segment_size 0
		.amdhsa_wavefront_size32 1
		.amdhsa_uses_dynamic_stack 0
		.amdhsa_enable_private_segment 0
		.amdhsa_system_sgpr_workgroup_id_x 1
		.amdhsa_system_sgpr_workgroup_id_y 1
		.amdhsa_system_sgpr_workgroup_id_z 1
		.amdhsa_system_sgpr_workgroup_info 0
		.amdhsa_system_vgpr_workitem_id 0
		.amdhsa_next_free_vgpr 17
		.amdhsa_next_free_sgpr 31
		.amdhsa_reserve_vcc 1
		.amdhsa_float_round_mode_32 0
		.amdhsa_float_round_mode_16_64 0
		.amdhsa_float_denorm_mode_32 3
		.amdhsa_float_denorm_mode_16_64 3
		.amdhsa_dx10_clamp 1
		.amdhsa_ieee_mode 1
		.amdhsa_fp16_overflow 0
		.amdhsa_workgroup_processor_mode 1
		.amdhsa_memory_ordered 1
		.amdhsa_forward_progress 0
		.amdhsa_shared_vgpr_count 0
		.amdhsa_exception_fp_ieee_invalid_op 0
		.amdhsa_exception_fp_denorm_src 0
		.amdhsa_exception_fp_ieee_div_zero 0
		.amdhsa_exception_fp_ieee_overflow 0
		.amdhsa_exception_fp_ieee_underflow 0
		.amdhsa_exception_fp_ieee_inexact 0
		.amdhsa_exception_int_div_zero 0
	.end_amdhsa_kernel
	.section	.text._ZN7rocprim17ROCPRIM_304000_NS6detail35device_block_merge_mergepath_kernelINS1_37wrapped_merge_sort_block_merge_configINS0_14default_configEiN2at4cuda3cub6detail10OpaqueTypeILi8EEEEEPiSC_PSA_SD_jNS1_19radix_merge_compareILb0ELb1EiNS0_19identity_decomposerEEEEEvT0_T1_T2_T3_T4_SL_jT5_PKSL_NS1_7vsmem_tE,"axG",@progbits,_ZN7rocprim17ROCPRIM_304000_NS6detail35device_block_merge_mergepath_kernelINS1_37wrapped_merge_sort_block_merge_configINS0_14default_configEiN2at4cuda3cub6detail10OpaqueTypeILi8EEEEEPiSC_PSA_SD_jNS1_19radix_merge_compareILb0ELb1EiNS0_19identity_decomposerEEEEEvT0_T1_T2_T3_T4_SL_jT5_PKSL_NS1_7vsmem_tE,comdat
.Lfunc_end93:
	.size	_ZN7rocprim17ROCPRIM_304000_NS6detail35device_block_merge_mergepath_kernelINS1_37wrapped_merge_sort_block_merge_configINS0_14default_configEiN2at4cuda3cub6detail10OpaqueTypeILi8EEEEEPiSC_PSA_SD_jNS1_19radix_merge_compareILb0ELb1EiNS0_19identity_decomposerEEEEEvT0_T1_T2_T3_T4_SL_jT5_PKSL_NS1_7vsmem_tE, .Lfunc_end93-_ZN7rocprim17ROCPRIM_304000_NS6detail35device_block_merge_mergepath_kernelINS1_37wrapped_merge_sort_block_merge_configINS0_14default_configEiN2at4cuda3cub6detail10OpaqueTypeILi8EEEEEPiSC_PSA_SD_jNS1_19radix_merge_compareILb0ELb1EiNS0_19identity_decomposerEEEEEvT0_T1_T2_T3_T4_SL_jT5_PKSL_NS1_7vsmem_tE
                                        ; -- End function
	.section	.AMDGPU.csdata,"",@progbits
; Kernel info:
; codeLenInByte = 2472
; NumSgprs: 33
; NumVgprs: 17
; ScratchSize: 0
; MemoryBound: 1
; FloatMode: 240
; IeeeMode: 1
; LDSByteSize: 8208 bytes/workgroup (compile time only)
; SGPRBlocks: 4
; VGPRBlocks: 2
; NumSGPRsForWavesPerEU: 33
; NumVGPRsForWavesPerEU: 17
; Occupancy: 16
; WaveLimiterHint : 1
; COMPUTE_PGM_RSRC2:SCRATCH_EN: 0
; COMPUTE_PGM_RSRC2:USER_SGPR: 13
; COMPUTE_PGM_RSRC2:TRAP_HANDLER: 0
; COMPUTE_PGM_RSRC2:TGID_X_EN: 1
; COMPUTE_PGM_RSRC2:TGID_Y_EN: 1
; COMPUTE_PGM_RSRC2:TGID_Z_EN: 1
; COMPUTE_PGM_RSRC2:TIDIG_COMP_CNT: 0
	.section	.text._ZN7rocprim17ROCPRIM_304000_NS6detail33device_block_merge_oddeven_kernelINS1_37wrapped_merge_sort_block_merge_configINS0_14default_configEiN2at4cuda3cub6detail10OpaqueTypeILi8EEEEEPiSC_PSA_SD_jNS1_19radix_merge_compareILb0ELb1EiNS0_19identity_decomposerEEEEEvT0_T1_T2_T3_T4_SL_T5_,"axG",@progbits,_ZN7rocprim17ROCPRIM_304000_NS6detail33device_block_merge_oddeven_kernelINS1_37wrapped_merge_sort_block_merge_configINS0_14default_configEiN2at4cuda3cub6detail10OpaqueTypeILi8EEEEEPiSC_PSA_SD_jNS1_19radix_merge_compareILb0ELb1EiNS0_19identity_decomposerEEEEEvT0_T1_T2_T3_T4_SL_T5_,comdat
	.protected	_ZN7rocprim17ROCPRIM_304000_NS6detail33device_block_merge_oddeven_kernelINS1_37wrapped_merge_sort_block_merge_configINS0_14default_configEiN2at4cuda3cub6detail10OpaqueTypeILi8EEEEEPiSC_PSA_SD_jNS1_19radix_merge_compareILb0ELb1EiNS0_19identity_decomposerEEEEEvT0_T1_T2_T3_T4_SL_T5_ ; -- Begin function _ZN7rocprim17ROCPRIM_304000_NS6detail33device_block_merge_oddeven_kernelINS1_37wrapped_merge_sort_block_merge_configINS0_14default_configEiN2at4cuda3cub6detail10OpaqueTypeILi8EEEEEPiSC_PSA_SD_jNS1_19radix_merge_compareILb0ELb1EiNS0_19identity_decomposerEEEEEvT0_T1_T2_T3_T4_SL_T5_
	.globl	_ZN7rocprim17ROCPRIM_304000_NS6detail33device_block_merge_oddeven_kernelINS1_37wrapped_merge_sort_block_merge_configINS0_14default_configEiN2at4cuda3cub6detail10OpaqueTypeILi8EEEEEPiSC_PSA_SD_jNS1_19radix_merge_compareILb0ELb1EiNS0_19identity_decomposerEEEEEvT0_T1_T2_T3_T4_SL_T5_
	.p2align	8
	.type	_ZN7rocprim17ROCPRIM_304000_NS6detail33device_block_merge_oddeven_kernelINS1_37wrapped_merge_sort_block_merge_configINS0_14default_configEiN2at4cuda3cub6detail10OpaqueTypeILi8EEEEEPiSC_PSA_SD_jNS1_19radix_merge_compareILb0ELb1EiNS0_19identity_decomposerEEEEEvT0_T1_T2_T3_T4_SL_T5_,@function
_ZN7rocprim17ROCPRIM_304000_NS6detail33device_block_merge_oddeven_kernelINS1_37wrapped_merge_sort_block_merge_configINS0_14default_configEiN2at4cuda3cub6detail10OpaqueTypeILi8EEEEEPiSC_PSA_SD_jNS1_19radix_merge_compareILb0ELb1EiNS0_19identity_decomposerEEEEEvT0_T1_T2_T3_T4_SL_T5_: ; @_ZN7rocprim17ROCPRIM_304000_NS6detail33device_block_merge_oddeven_kernelINS1_37wrapped_merge_sort_block_merge_configINS0_14default_configEiN2at4cuda3cub6detail10OpaqueTypeILi8EEEEEPiSC_PSA_SD_jNS1_19radix_merge_compareILb0ELb1EiNS0_19identity_decomposerEEEEEvT0_T1_T2_T3_T4_SL_T5_
; %bb.0:
	s_load_b128 s[16:19], s[0:1], 0x20
	s_waitcnt lgkmcnt(0)
	s_lshr_b32 s2, s16, 8
	s_delay_alu instid0(SALU_CYCLE_1) | instskip(SKIP_4) | instid1(SALU_CYCLE_1)
	s_cmp_lg_u32 s15, s2
	s_cselect_b32 s4, -1, 0
	s_cmp_eq_u32 s15, s2
	s_cselect_b32 s3, -1, 0
	s_lshl_b32 s12, s15, 8
	s_sub_i32 s2, s16, s12
	s_delay_alu instid0(SALU_CYCLE_1) | instskip(NEXT) | instid1(VALU_DEP_1)
	v_cmp_gt_u32_e64 s2, s2, v0
	s_or_b32 s4, s4, s2
	s_delay_alu instid0(SALU_CYCLE_1)
	s_and_saveexec_b32 s5, s4
	s_cbranch_execz .LBB94_26
; %bb.1:
	s_load_b256 s[4:11], s[0:1], 0x0
	s_mov_b32 s13, 0
	v_lshlrev_b32_e32 v1, 3, v0
	s_lshl_b64 s[0:1], s[12:13], 2
	v_lshlrev_b32_e32 v3, 2, v0
	v_add_nc_u32_e32 v5, s12, v0
	s_waitcnt lgkmcnt(0)
	s_add_u32 s0, s4, s0
	s_addc_u32 s1, s5, s1
	s_lshl_b64 s[20:21], s[12:13], 3
	s_delay_alu instid0(SALU_CYCLE_1) | instskip(SKIP_4) | instid1(SALU_CYCLE_1)
	s_add_u32 s8, s8, s20
	s_addc_u32 s9, s9, s21
	global_load_b64 v[1:2], v1, s[8:9]
	global_load_b32 v7, v3, s[0:1]
	s_lshr_b32 s0, s17, 8
	s_sub_i32 s1, 0, s0
	s_delay_alu instid0(SALU_CYCLE_1) | instskip(NEXT) | instid1(SALU_CYCLE_1)
	s_and_b32 s1, s15, s1
	s_and_b32 s0, s1, s0
	s_lshl_b32 s9, s1, 8
	s_sub_i32 s1, 0, s17
	s_cmp_eq_u32 s0, 0
	s_cselect_b32 s0, -1, 0
	s_delay_alu instid0(SALU_CYCLE_1) | instskip(SKIP_1) | instid1(SALU_CYCLE_1)
	s_and_b32 s8, s0, exec_lo
	s_cselect_b32 s1, s17, s1
	s_add_i32 s1, s1, s9
	s_delay_alu instid0(SALU_CYCLE_1)
	s_cmp_lt_u32 s1, s16
	s_cbranch_scc1 .LBB94_6
; %bb.2:
	s_and_b32 vcc_lo, exec_lo, s3
	s_cbranch_vccz .LBB94_7
; %bb.3:
	s_mov_b32 s8, 0
	s_mov_b32 s12, exec_lo
                                        ; implicit-def: $vgpr3_vgpr4
	v_cmpx_gt_u32_e64 s16, v5
	s_cbranch_execz .LBB94_5
; %bb.4:
	v_mov_b32_e32 v6, 0
	s_mov_b32 s13, exec_lo
	s_delay_alu instid0(VALU_DEP_1) | instskip(SKIP_1) | instid1(VALU_DEP_2)
	v_lshlrev_b64 v[3:4], 2, v[5:6]
	v_lshlrev_b64 v[8:9], 3, v[5:6]
	v_add_co_u32 v10, vcc_lo, s6, v3
	s_delay_alu instid0(VALU_DEP_3) | instskip(NEXT) | instid1(VALU_DEP_3)
	v_add_co_ci_u32_e32 v11, vcc_lo, s7, v4, vcc_lo
	v_add_co_u32 v3, vcc_lo, s10, v8
	s_delay_alu instid0(VALU_DEP_4)
	v_add_co_ci_u32_e32 v4, vcc_lo, s11, v9, vcc_lo
	s_waitcnt vmcnt(0)
	global_store_b32 v[10:11], v7, off
.LBB94_5:
	s_or_b32 exec_lo, exec_lo, s12
	s_delay_alu instid0(SALU_CYCLE_1)
	s_and_b32 vcc_lo, exec_lo, s8
	s_cbranch_vccnz .LBB94_8
	s_branch .LBB94_9
.LBB94_6:
                                        ; implicit-def: $vgpr3_vgpr4
	s_cbranch_execnz .LBB94_10
	s_branch .LBB94_24
.LBB94_7:
                                        ; implicit-def: $vgpr3_vgpr4
	s_cbranch_execz .LBB94_9
.LBB94_8:
	v_mov_b32_e32 v6, 0
	s_or_b32 s13, s13, exec_lo
	s_delay_alu instid0(VALU_DEP_1) | instskip(SKIP_1) | instid1(VALU_DEP_2)
	v_lshlrev_b64 v[3:4], 2, v[5:6]
	v_lshlrev_b64 v[8:9], 3, v[5:6]
	v_add_co_u32 v10, vcc_lo, s6, v3
	s_delay_alu instid0(VALU_DEP_3) | instskip(NEXT) | instid1(VALU_DEP_3)
	v_add_co_ci_u32_e32 v11, vcc_lo, s7, v4, vcc_lo
	v_add_co_u32 v3, vcc_lo, s10, v8
	s_delay_alu instid0(VALU_DEP_4)
	v_add_co_ci_u32_e32 v4, vcc_lo, s11, v9, vcc_lo
	s_waitcnt vmcnt(0)
	global_store_b32 v[10:11], v7, off
.LBB94_9:
	s_branch .LBB94_24
.LBB94_10:
	s_min_u32 s8, s1, s16
	s_and_b32 vcc_lo, exec_lo, s3
	s_add_i32 s12, s9, s8
	s_min_u32 s9, s9, s8
	v_subrev_nc_u32_e32 v0, s12, v5
	s_add_i32 s12, s8, s17
	s_delay_alu instid0(SALU_CYCLE_1) | instskip(NEXT) | instid1(VALU_DEP_1)
	s_min_u32 s3, s12, s16
	v_add_nc_u32_e32 v0, s9, v0
	s_cbranch_vccz .LBB94_18
; %bb.11:
                                        ; implicit-def: $vgpr3_vgpr4
	s_and_saveexec_b32 s9, s2
	s_cbranch_execz .LBB94_17
; %bb.12:
	v_mov_b32_e32 v5, s8
	s_cmp_ge_u32 s1, s3
	s_cbranch_scc1 .LBB94_16
; %bb.13:
	s_waitcnt vmcnt(0)
	v_dual_mov_b32 v5, s8 :: v_dual_and_b32 v6, s18, v7
	v_mov_b32_e32 v8, s3
	v_mov_b32_e32 v4, 0
	s_mov_b32 s2, 0
	.p2align	6
.LBB94_14:                              ; =>This Inner Loop Header: Depth=1
	s_delay_alu instid0(VALU_DEP_2) | instskip(NEXT) | instid1(VALU_DEP_1)
	v_add_nc_u32_e32 v3, v5, v8
	v_lshrrev_b32_e32 v3, 1, v3
	s_delay_alu instid0(VALU_DEP_1) | instskip(NEXT) | instid1(VALU_DEP_1)
	v_lshlrev_b64 v[9:10], 2, v[3:4]
	v_add_co_u32 v9, vcc_lo, s4, v9
	s_delay_alu instid0(VALU_DEP_2) | instskip(SKIP_3) | instid1(VALU_DEP_1)
	v_add_co_ci_u32_e32 v10, vcc_lo, s5, v10, vcc_lo
	global_load_b32 v9, v[9:10], off
	s_waitcnt vmcnt(0)
	v_and_b32_e32 v9, s18, v9
	v_cmp_gt_i32_e32 vcc_lo, v6, v9
	v_cndmask_b32_e64 v10, 0, 1, vcc_lo
	v_cmp_le_i32_e32 vcc_lo, v9, v6
	v_cndmask_b32_e64 v9, 0, 1, vcc_lo
	s_delay_alu instid0(VALU_DEP_1) | instskip(SKIP_1) | instid1(VALU_DEP_2)
	v_cndmask_b32_e64 v9, v9, v10, s0
	v_add_nc_u32_e32 v10, 1, v3
	v_and_b32_e32 v9, 1, v9
	s_delay_alu instid0(VALU_DEP_1) | instskip(NEXT) | instid1(VALU_DEP_3)
	v_cmp_eq_u32_e32 vcc_lo, 1, v9
	v_dual_cndmask_b32 v8, v3, v8 :: v_dual_cndmask_b32 v5, v5, v10
	s_delay_alu instid0(VALU_DEP_1) | instskip(SKIP_1) | instid1(SALU_CYCLE_1)
	v_cmp_ge_u32_e32 vcc_lo, v5, v8
	s_or_b32 s2, vcc_lo, s2
	s_and_not1_b32 exec_lo, exec_lo, s2
	s_cbranch_execnz .LBB94_14
; %bb.15:
	s_or_b32 exec_lo, exec_lo, s2
.LBB94_16:
	s_delay_alu instid0(VALU_DEP_1) | instskip(SKIP_1) | instid1(VALU_DEP_1)
	v_dual_mov_b32 v4, 0 :: v_dual_add_nc_u32 v3, v5, v0
	s_or_b32 s13, s13, exec_lo
	v_lshlrev_b64 v[5:6], 2, v[3:4]
	v_lshlrev_b64 v[3:4], 3, v[3:4]
	s_delay_alu instid0(VALU_DEP_2) | instskip(NEXT) | instid1(VALU_DEP_3)
	v_add_co_u32 v5, vcc_lo, s6, v5
	v_add_co_ci_u32_e32 v6, vcc_lo, s7, v6, vcc_lo
	s_delay_alu instid0(VALU_DEP_3) | instskip(NEXT) | instid1(VALU_DEP_4)
	v_add_co_u32 v3, vcc_lo, s10, v3
	v_add_co_ci_u32_e32 v4, vcc_lo, s11, v4, vcc_lo
	s_waitcnt vmcnt(0)
	global_store_b32 v[5:6], v7, off
.LBB94_17:
	s_or_b32 exec_lo, exec_lo, s9
	s_branch .LBB94_24
.LBB94_18:
                                        ; implicit-def: $vgpr3_vgpr4
	s_cbranch_execz .LBB94_24
; %bb.19:
	v_mov_b32_e32 v5, s8
	s_cmp_ge_u32 s1, s3
	s_cbranch_scc1 .LBB94_23
; %bb.20:
	s_waitcnt vmcnt(0)
	v_dual_mov_b32 v5, s8 :: v_dual_and_b32 v6, s18, v7
	v_mov_b32_e32 v8, s3
	v_mov_b32_e32 v4, 0
	s_mov_b32 s1, 0
	.p2align	6
.LBB94_21:                              ; =>This Inner Loop Header: Depth=1
	s_delay_alu instid0(VALU_DEP_2) | instskip(NEXT) | instid1(VALU_DEP_1)
	v_add_nc_u32_e32 v3, v5, v8
	v_lshrrev_b32_e32 v3, 1, v3
	s_delay_alu instid0(VALU_DEP_1) | instskip(NEXT) | instid1(VALU_DEP_1)
	v_lshlrev_b64 v[9:10], 2, v[3:4]
	v_add_co_u32 v9, vcc_lo, s4, v9
	s_delay_alu instid0(VALU_DEP_2) | instskip(SKIP_3) | instid1(VALU_DEP_1)
	v_add_co_ci_u32_e32 v10, vcc_lo, s5, v10, vcc_lo
	global_load_b32 v9, v[9:10], off
	s_waitcnt vmcnt(0)
	v_and_b32_e32 v9, s18, v9
	v_cmp_gt_i32_e32 vcc_lo, v6, v9
	v_cndmask_b32_e64 v10, 0, 1, vcc_lo
	v_cmp_le_i32_e32 vcc_lo, v9, v6
	v_cndmask_b32_e64 v9, 0, 1, vcc_lo
	s_delay_alu instid0(VALU_DEP_1) | instskip(SKIP_1) | instid1(VALU_DEP_2)
	v_cndmask_b32_e64 v9, v9, v10, s0
	v_add_nc_u32_e32 v10, 1, v3
	v_and_b32_e32 v9, 1, v9
	s_delay_alu instid0(VALU_DEP_1) | instskip(NEXT) | instid1(VALU_DEP_3)
	v_cmp_eq_u32_e32 vcc_lo, 1, v9
	v_dual_cndmask_b32 v8, v3, v8 :: v_dual_cndmask_b32 v5, v5, v10
	s_delay_alu instid0(VALU_DEP_1) | instskip(SKIP_1) | instid1(SALU_CYCLE_1)
	v_cmp_ge_u32_e32 vcc_lo, v5, v8
	s_or_b32 s1, vcc_lo, s1
	s_and_not1_b32 exec_lo, exec_lo, s1
	s_cbranch_execnz .LBB94_21
; %bb.22:
	s_or_b32 exec_lo, exec_lo, s1
.LBB94_23:
	s_delay_alu instid0(VALU_DEP_1) | instskip(SKIP_1) | instid1(VALU_DEP_1)
	v_dual_mov_b32 v4, 0 :: v_dual_add_nc_u32 v3, v5, v0
	s_mov_b32 s13, -1
	v_lshlrev_b64 v[5:6], 2, v[3:4]
	v_lshlrev_b64 v[3:4], 3, v[3:4]
	s_delay_alu instid0(VALU_DEP_2) | instskip(NEXT) | instid1(VALU_DEP_3)
	v_add_co_u32 v5, vcc_lo, s6, v5
	v_add_co_ci_u32_e32 v6, vcc_lo, s7, v6, vcc_lo
	s_delay_alu instid0(VALU_DEP_3) | instskip(NEXT) | instid1(VALU_DEP_4)
	v_add_co_u32 v3, vcc_lo, s10, v3
	v_add_co_ci_u32_e32 v4, vcc_lo, s11, v4, vcc_lo
	s_waitcnt vmcnt(0)
	global_store_b32 v[5:6], v7, off
.LBB94_24:
	s_and_b32 exec_lo, exec_lo, s13
	s_cbranch_execz .LBB94_26
; %bb.25:
	s_waitcnt vmcnt(1)
	global_store_b64 v[3:4], v[1:2], off
.LBB94_26:
	s_nop 0
	s_sendmsg sendmsg(MSG_DEALLOC_VGPRS)
	s_endpgm
	.section	.rodata,"a",@progbits
	.p2align	6, 0x0
	.amdhsa_kernel _ZN7rocprim17ROCPRIM_304000_NS6detail33device_block_merge_oddeven_kernelINS1_37wrapped_merge_sort_block_merge_configINS0_14default_configEiN2at4cuda3cub6detail10OpaqueTypeILi8EEEEEPiSC_PSA_SD_jNS1_19radix_merge_compareILb0ELb1EiNS0_19identity_decomposerEEEEEvT0_T1_T2_T3_T4_SL_T5_
		.amdhsa_group_segment_fixed_size 0
		.amdhsa_private_segment_fixed_size 0
		.amdhsa_kernarg_size 44
		.amdhsa_user_sgpr_count 15
		.amdhsa_user_sgpr_dispatch_ptr 0
		.amdhsa_user_sgpr_queue_ptr 0
		.amdhsa_user_sgpr_kernarg_segment_ptr 1
		.amdhsa_user_sgpr_dispatch_id 0
		.amdhsa_user_sgpr_private_segment_size 0
		.amdhsa_wavefront_size32 1
		.amdhsa_uses_dynamic_stack 0
		.amdhsa_enable_private_segment 0
		.amdhsa_system_sgpr_workgroup_id_x 1
		.amdhsa_system_sgpr_workgroup_id_y 0
		.amdhsa_system_sgpr_workgroup_id_z 0
		.amdhsa_system_sgpr_workgroup_info 0
		.amdhsa_system_vgpr_workitem_id 0
		.amdhsa_next_free_vgpr 12
		.amdhsa_next_free_sgpr 22
		.amdhsa_reserve_vcc 1
		.amdhsa_float_round_mode_32 0
		.amdhsa_float_round_mode_16_64 0
		.amdhsa_float_denorm_mode_32 3
		.amdhsa_float_denorm_mode_16_64 3
		.amdhsa_dx10_clamp 1
		.amdhsa_ieee_mode 1
		.amdhsa_fp16_overflow 0
		.amdhsa_workgroup_processor_mode 1
		.amdhsa_memory_ordered 1
		.amdhsa_forward_progress 0
		.amdhsa_shared_vgpr_count 0
		.amdhsa_exception_fp_ieee_invalid_op 0
		.amdhsa_exception_fp_denorm_src 0
		.amdhsa_exception_fp_ieee_div_zero 0
		.amdhsa_exception_fp_ieee_overflow 0
		.amdhsa_exception_fp_ieee_underflow 0
		.amdhsa_exception_fp_ieee_inexact 0
		.amdhsa_exception_int_div_zero 0
	.end_amdhsa_kernel
	.section	.text._ZN7rocprim17ROCPRIM_304000_NS6detail33device_block_merge_oddeven_kernelINS1_37wrapped_merge_sort_block_merge_configINS0_14default_configEiN2at4cuda3cub6detail10OpaqueTypeILi8EEEEEPiSC_PSA_SD_jNS1_19radix_merge_compareILb0ELb1EiNS0_19identity_decomposerEEEEEvT0_T1_T2_T3_T4_SL_T5_,"axG",@progbits,_ZN7rocprim17ROCPRIM_304000_NS6detail33device_block_merge_oddeven_kernelINS1_37wrapped_merge_sort_block_merge_configINS0_14default_configEiN2at4cuda3cub6detail10OpaqueTypeILi8EEEEEPiSC_PSA_SD_jNS1_19radix_merge_compareILb0ELb1EiNS0_19identity_decomposerEEEEEvT0_T1_T2_T3_T4_SL_T5_,comdat
.Lfunc_end94:
	.size	_ZN7rocprim17ROCPRIM_304000_NS6detail33device_block_merge_oddeven_kernelINS1_37wrapped_merge_sort_block_merge_configINS0_14default_configEiN2at4cuda3cub6detail10OpaqueTypeILi8EEEEEPiSC_PSA_SD_jNS1_19radix_merge_compareILb0ELb1EiNS0_19identity_decomposerEEEEEvT0_T1_T2_T3_T4_SL_T5_, .Lfunc_end94-_ZN7rocprim17ROCPRIM_304000_NS6detail33device_block_merge_oddeven_kernelINS1_37wrapped_merge_sort_block_merge_configINS0_14default_configEiN2at4cuda3cub6detail10OpaqueTypeILi8EEEEEPiSC_PSA_SD_jNS1_19radix_merge_compareILb0ELb1EiNS0_19identity_decomposerEEEEEvT0_T1_T2_T3_T4_SL_T5_
                                        ; -- End function
	.section	.AMDGPU.csdata,"",@progbits
; Kernel info:
; codeLenInByte = 1012
; NumSgprs: 24
; NumVgprs: 12
; ScratchSize: 0
; MemoryBound: 0
; FloatMode: 240
; IeeeMode: 1
; LDSByteSize: 0 bytes/workgroup (compile time only)
; SGPRBlocks: 2
; VGPRBlocks: 1
; NumSGPRsForWavesPerEU: 24
; NumVGPRsForWavesPerEU: 12
; Occupancy: 16
; WaveLimiterHint : 0
; COMPUTE_PGM_RSRC2:SCRATCH_EN: 0
; COMPUTE_PGM_RSRC2:USER_SGPR: 15
; COMPUTE_PGM_RSRC2:TRAP_HANDLER: 0
; COMPUTE_PGM_RSRC2:TGID_X_EN: 1
; COMPUTE_PGM_RSRC2:TGID_Y_EN: 0
; COMPUTE_PGM_RSRC2:TGID_Z_EN: 0
; COMPUTE_PGM_RSRC2:TIDIG_COMP_CNT: 0
	.section	.text._ZN7rocprim17ROCPRIM_304000_NS6detail26onesweep_histograms_kernelINS1_34wrapped_radix_sort_onesweep_configINS0_14default_configEiN2at4cuda3cub6detail10OpaqueTypeILi8EEEEELb0EPKimNS0_19identity_decomposerEEEvT1_PT2_SG_SG_T3_jj,"axG",@progbits,_ZN7rocprim17ROCPRIM_304000_NS6detail26onesweep_histograms_kernelINS1_34wrapped_radix_sort_onesweep_configINS0_14default_configEiN2at4cuda3cub6detail10OpaqueTypeILi8EEEEELb0EPKimNS0_19identity_decomposerEEEvT1_PT2_SG_SG_T3_jj,comdat
	.protected	_ZN7rocprim17ROCPRIM_304000_NS6detail26onesweep_histograms_kernelINS1_34wrapped_radix_sort_onesweep_configINS0_14default_configEiN2at4cuda3cub6detail10OpaqueTypeILi8EEEEELb0EPKimNS0_19identity_decomposerEEEvT1_PT2_SG_SG_T3_jj ; -- Begin function _ZN7rocprim17ROCPRIM_304000_NS6detail26onesweep_histograms_kernelINS1_34wrapped_radix_sort_onesweep_configINS0_14default_configEiN2at4cuda3cub6detail10OpaqueTypeILi8EEEEELb0EPKimNS0_19identity_decomposerEEEvT1_PT2_SG_SG_T3_jj
	.globl	_ZN7rocprim17ROCPRIM_304000_NS6detail26onesweep_histograms_kernelINS1_34wrapped_radix_sort_onesweep_configINS0_14default_configEiN2at4cuda3cub6detail10OpaqueTypeILi8EEEEELb0EPKimNS0_19identity_decomposerEEEvT1_PT2_SG_SG_T3_jj
	.p2align	8
	.type	_ZN7rocprim17ROCPRIM_304000_NS6detail26onesweep_histograms_kernelINS1_34wrapped_radix_sort_onesweep_configINS0_14default_configEiN2at4cuda3cub6detail10OpaqueTypeILi8EEEEELb0EPKimNS0_19identity_decomposerEEEvT1_PT2_SG_SG_T3_jj,@function
_ZN7rocprim17ROCPRIM_304000_NS6detail26onesweep_histograms_kernelINS1_34wrapped_radix_sort_onesweep_configINS0_14default_configEiN2at4cuda3cub6detail10OpaqueTypeILi8EEEEELb0EPKimNS0_19identity_decomposerEEEvT1_PT2_SG_SG_T3_jj: ; @_ZN7rocprim17ROCPRIM_304000_NS6detail26onesweep_histograms_kernelINS1_34wrapped_radix_sort_onesweep_configINS0_14default_configEiN2at4cuda3cub6detail10OpaqueTypeILi8EEEEELb0EPKimNS0_19identity_decomposerEEEvT1_PT2_SG_SG_T3_jj
; %bb.0:
	s_clause 0x1
	s_load_b256 s[4:11], s[0:1], 0x0
	s_load_b64 s[12:13], s[0:1], 0x24
	s_mov_b32 s2, s15
	s_mov_b32 s3, 0
	v_lshlrev_b32_e32 v7, 2, v0
	s_lshl_b64 s[0:1], s[2:3], 14
	s_waitcnt lgkmcnt(0)
	v_cmp_ge_u64_e64 s9, s[2:3], s[10:11]
	s_add_u32 s4, s4, s0
	s_addc_u32 s5, s5, s1
	s_mov_b32 s0, -1
	s_delay_alu instid0(VALU_DEP_1)
	s_and_b32 vcc_lo, exec_lo, s9
	s_cbranch_vccz .LBB95_34
; %bb.1:
	v_lshlrev_b32_e32 v8, 2, v0
	s_lshl_b32 s0, s10, 12
                                        ; implicit-def: $vgpr1_vgpr2_vgpr3_vgpr4
	s_delay_alu instid0(SALU_CYCLE_1) | instskip(NEXT) | instid1(SALU_CYCLE_1)
	s_sub_i32 s3, s8, s0
	v_cmp_gt_u32_e64 s2, s3, v0
	s_delay_alu instid0(VALU_DEP_2) | instskip(NEXT) | instid1(VALU_DEP_1)
	v_add_co_u32 v5, s0, s4, v8
	v_add_co_ci_u32_e64 v6, null, s5, 0, s0
	s_delay_alu instid0(VALU_DEP_3)
	s_and_saveexec_b32 s0, s2
	s_cbranch_execz .LBB95_3
; %bb.2:
	global_load_b32 v1, v[5:6], off
.LBB95_3:
	s_or_b32 exec_lo, exec_lo, s0
	v_or_b32_e32 v9, 0x400, v0
	s_delay_alu instid0(VALU_DEP_1) | instskip(NEXT) | instid1(VALU_DEP_1)
	v_cmp_gt_u32_e64 s1, s3, v9
	s_and_saveexec_b32 s0, s1
	s_cbranch_execz .LBB95_5
; %bb.4:
	v_add_co_u32 v9, vcc_lo, 0x1000, v5
	v_add_co_ci_u32_e32 v10, vcc_lo, 0, v6, vcc_lo
	global_load_b32 v2, v[9:10], off
.LBB95_5:
	s_or_b32 exec_lo, exec_lo, s0
	v_or_b32_e32 v9, 0x800, v0
	s_delay_alu instid0(VALU_DEP_1) | instskip(NEXT) | instid1(VALU_DEP_1)
	v_cmp_gt_u32_e64 s0, s3, v9
	s_and_saveexec_b32 s8, s0
	s_cbranch_execz .LBB95_7
; %bb.6:
	v_add_co_u32 v9, vcc_lo, 0x2000, v5
	v_add_co_ci_u32_e32 v10, vcc_lo, 0, v6, vcc_lo
	global_load_b32 v3, v[9:10], off
.LBB95_7:
	s_or_b32 exec_lo, exec_lo, s8
	v_or_b32_e32 v9, 0xc00, v0
	s_delay_alu instid0(VALU_DEP_1)
	v_cmp_gt_u32_e32 vcc_lo, s3, v9
	s_and_saveexec_b32 s8, vcc_lo
	s_cbranch_execz .LBB95_9
; %bb.8:
	v_add_co_u32 v4, s3, 0x3000, v5
	s_delay_alu instid0(VALU_DEP_1)
	v_add_co_ci_u32_e64 v5, s3, 0, v6, s3
	global_load_b32 v4, v[4:5], off
.LBB95_9:
	s_or_b32 exec_lo, exec_lo, s8
	v_or_b32_e32 v5, 0xfffffc00, v0
	v_mov_b32_e32 v6, 0
	s_mov_b32 s8, 0
.LBB95_10:                              ; =>This Inner Loop Header: Depth=1
	s_delay_alu instid0(VALU_DEP_2) | instskip(SKIP_3) | instid1(VALU_DEP_1)
	v_add_nc_u32_e32 v5, 0x400, v5
	ds_store_b32 v8, v6
	v_add_nc_u32_e32 v8, 0x1000, v8
	v_cmp_lt_u32_e64 s3, 0xbff, v5
	s_or_b32 s8, s3, s8
	s_delay_alu instid0(SALU_CYCLE_1)
	s_and_not1_b32 exec_lo, exec_lo, s8
	s_cbranch_execnz .LBB95_10
; %bb.11:
	s_or_b32 exec_lo, exec_lo, s8
	s_cmp_gt_u32 s13, s12
	s_waitcnt vmcnt(0) lgkmcnt(0)
	s_cselect_b32 s3, -1, 0
	s_cmp_le_u32 s13, s12
	s_barrier
	buffer_gl0_inv
	s_cbranch_scc1 .LBB95_28
; %bb.12:
	v_dual_mov_b32 v6, 1 :: v_dual_and_b32 v5, 3, v0
	v_xor_b32_e32 v1, 0x80000000, v1
	s_sub_i32 s8, s13, s12
	s_mov_b32 s10, s12
	s_delay_alu instid0(VALU_DEP_2) | instskip(SKIP_1) | instid1(VALU_DEP_1)
	v_lshlrev_b32_e32 v5, 2, v5
	s_mov_b32 s9, s8
	v_mov_b32_e32 v8, v5
	s_branch .LBB95_14
	.p2align	6
.LBB95_13:                              ;   in Loop: Header=BB95_14 Depth=1
	s_or_b32 exec_lo, exec_lo, s11
	v_add_nc_u32_e32 v8, 0x1000, v8
	s_add_i32 s10, s10, 8
	s_add_i32 s9, s9, -8
	s_cmp_lt_u32 s10, s13
	s_cbranch_scc0 .LBB95_16
.LBB95_14:                              ; =>This Inner Loop Header: Depth=1
	s_and_saveexec_b32 s11, s2
	s_cbranch_execz .LBB95_13
; %bb.15:                               ;   in Loop: Header=BB95_14 Depth=1
	v_lshrrev_b32_e32 v9, s10, v1
	s_min_u32 s14, s9, 8
	s_delay_alu instid0(VALU_DEP_1) | instid1(SALU_CYCLE_1)
	v_bfe_u32 v9, v9, 0, s14
	s_delay_alu instid0(VALU_DEP_1)
	v_lshl_add_u32 v9, v9, 4, v8
	ds_add_u32 v9, v6
	s_branch .LBB95_13
.LBB95_16:
	v_xor_b32_e32 v1, 0x80000000, v2
	v_mov_b32_e32 v2, 1
	v_mov_b32_e32 v6, v5
	s_mov_b32 s2, s8
	s_mov_b32 s9, s12
	s_branch .LBB95_18
	.p2align	6
.LBB95_17:                              ;   in Loop: Header=BB95_18 Depth=1
	s_or_b32 exec_lo, exec_lo, s10
	v_add_nc_u32_e32 v6, 0x1000, v6
	s_add_i32 s9, s9, 8
	s_add_i32 s2, s2, -8
	s_cmp_lt_u32 s9, s13
	s_cbranch_scc0 .LBB95_20
.LBB95_18:                              ; =>This Inner Loop Header: Depth=1
	s_and_saveexec_b32 s10, s1
	s_cbranch_execz .LBB95_17
; %bb.19:                               ;   in Loop: Header=BB95_18 Depth=1
	v_lshrrev_b32_e32 v8, s9, v1
	s_min_u32 s11, s2, 8
	s_delay_alu instid0(VALU_DEP_1) | instid1(SALU_CYCLE_1)
	v_bfe_u32 v8, v8, 0, s11
	s_delay_alu instid0(VALU_DEP_1)
	v_lshl_add_u32 v8, v8, 4, v6
	ds_add_u32 v8, v2
	s_branch .LBB95_17
.LBB95_20:
	v_xor_b32_e32 v1, 0x80000000, v3
	v_dual_mov_b32 v2, 1 :: v_dual_mov_b32 v3, v5
	s_mov_b32 s1, s8
	s_mov_b32 s2, s12
	s_branch .LBB95_22
	.p2align	6
.LBB95_21:                              ;   in Loop: Header=BB95_22 Depth=1
	s_or_b32 exec_lo, exec_lo, s9
	v_add_nc_u32_e32 v3, 0x1000, v3
	s_add_i32 s2, s2, 8
	s_add_i32 s1, s1, -8
	s_cmp_lt_u32 s2, s13
	s_cbranch_scc0 .LBB95_24
.LBB95_22:                              ; =>This Inner Loop Header: Depth=1
	s_and_saveexec_b32 s9, s0
	s_cbranch_execz .LBB95_21
; %bb.23:                               ;   in Loop: Header=BB95_22 Depth=1
	v_lshrrev_b32_e32 v6, s2, v1
	s_min_u32 s10, s1, 8
	s_delay_alu instid0(VALU_DEP_1) | instid1(SALU_CYCLE_1)
	v_bfe_u32 v6, v6, 0, s10
	s_delay_alu instid0(VALU_DEP_1)
	v_lshl_add_u32 v6, v6, 4, v3
	ds_add_u32 v6, v2
	s_branch .LBB95_21
.LBB95_24:
	v_xor_b32_e32 v1, 0x80000000, v4
	v_mov_b32_e32 v2, 1
	s_mov_b32 s0, s12
	s_branch .LBB95_26
	.p2align	6
.LBB95_25:                              ;   in Loop: Header=BB95_26 Depth=1
	s_or_b32 exec_lo, exec_lo, s1
	v_add_nc_u32_e32 v5, 0x1000, v5
	s_add_i32 s0, s0, 8
	s_add_i32 s8, s8, -8
	s_cmp_lt_u32 s0, s13
	s_cbranch_scc0 .LBB95_28
.LBB95_26:                              ; =>This Inner Loop Header: Depth=1
	s_and_saveexec_b32 s1, vcc_lo
	s_cbranch_execz .LBB95_25
; %bb.27:                               ;   in Loop: Header=BB95_26 Depth=1
	v_lshrrev_b32_e32 v3, s0, v1
	s_min_u32 s2, s8, 8
	s_delay_alu instid0(VALU_DEP_1) | instid1(SALU_CYCLE_1)
	v_bfe_u32 v3, v3, 0, s2
	s_delay_alu instid0(VALU_DEP_1)
	v_lshl_add_u32 v3, v3, 4, v5
	ds_add_u32 v3, v2
	s_branch .LBB95_25
.LBB95_28:
	s_and_b32 vcc_lo, exec_lo, s3
	s_waitcnt lgkmcnt(0)
	s_barrier
	buffer_gl0_inv
	s_cbranch_vccz .LBB95_33
; %bb.29:
	v_cmp_gt_u32_e32 vcc_lo, 0x100, v0
	v_dual_mov_b32 v2, 0 :: v_dual_lshlrev_b32 v3, 4, v0
	v_mov_b32_e32 v1, v0
	s_mov_b32 s1, s12
	s_set_inst_prefetch_distance 0x1
	s_branch .LBB95_31
	.p2align	6
.LBB95_30:                              ;   in Loop: Header=BB95_31 Depth=1
	s_or_b32 exec_lo, exec_lo, s2
	v_add_nc_u32_e32 v1, 0x100, v1
	v_add_nc_u32_e32 v3, 0x1000, v3
	s_add_i32 s1, s1, 8
	s_delay_alu instid0(SALU_CYCLE_1)
	s_cmp_lt_u32 s1, s13
	s_cbranch_scc0 .LBB95_33
.LBB95_31:                              ; =>This Inner Loop Header: Depth=1
	s_and_saveexec_b32 s2, vcc_lo
	s_cbranch_execz .LBB95_30
; %bb.32:                               ;   in Loop: Header=BB95_31 Depth=1
	ds_load_2addr_b32 v[4:5], v3 offset1:1
	ds_load_2addr_b32 v[8:9], v3 offset0:2 offset1:3
	v_lshlrev_b64 v[10:11], 3, v[1:2]
	s_waitcnt lgkmcnt(1)
	v_add_nc_u32_e32 v6, v5, v4
	s_delay_alu instid0(VALU_DEP_2) | instskip(NEXT) | instid1(VALU_DEP_1)
	v_add_co_u32 v4, s0, s6, v10
	v_add_co_ci_u32_e64 v5, s0, s7, v11, s0
	s_waitcnt lgkmcnt(0)
	s_delay_alu instid0(VALU_DEP_3)
	v_add3_u32 v8, v6, v8, v9
	v_mov_b32_e32 v9, v2
	global_atomic_add_u64 v[4:5], v[8:9], off
	s_branch .LBB95_30
.LBB95_33:
	s_set_inst_prefetch_distance 0x2
	s_mov_b32 s0, 0
.LBB95_34:
	s_delay_alu instid0(SALU_CYCLE_1)
	s_and_b32 vcc_lo, exec_lo, s0
	s_cbranch_vccz .LBB95_58
; %bb.35:
	v_add_co_u32 v3, s0, s4, v7
	s_delay_alu instid0(VALU_DEP_1) | instskip(SKIP_1) | instid1(VALU_DEP_2)
	v_add_co_ci_u32_e64 v4, null, s5, 0, s0
	s_cmp_eq_u32 s12, 0
	v_add_co_u32 v1, vcc_lo, v3, 0x2000
	s_delay_alu instid0(VALU_DEP_2)
	v_add_co_ci_u32_e32 v2, vcc_lo, 0, v4, vcc_lo
	v_add_co_u32 v8, vcc_lo, 0x3000, v3
	v_add_co_ci_u32_e32 v9, vcc_lo, 0, v4, vcc_lo
	s_clause 0x3
	global_load_b32 v6, v7, s[4:5]
	global_load_b32 v4, v[1:2], off
	global_load_b32 v5, v[1:2], off offset:-4096
	global_load_b32 v3, v[8:9], off
	s_cselect_b32 s0, -1, 0
	s_cmp_eq_u32 s13, 32
	v_or_b32_e32 v8, 0xfffffc00, v0
	s_cselect_b32 s1, -1, 0
	s_delay_alu instid0(SALU_CYCLE_1)
	s_and_b32 s1, s0, s1
	s_mov_b32 s0, 0
	s_and_b32 vcc_lo, exec_lo, s1
	s_mov_b32 s1, -1
	s_cbranch_vccnz .LBB95_53
; %bb.36:
	v_or_b32_e32 v1, 0xfffffc00, v0
	v_mov_b32_e32 v2, 0
.LBB95_37:                              ; =>This Inner Loop Header: Depth=1
	s_delay_alu instid0(VALU_DEP_2) | instskip(SKIP_4) | instid1(SALU_CYCLE_1)
	v_add_nc_u32_e32 v1, 0x400, v1
	ds_store_b32 v7, v2
	v_add_nc_u32_e32 v7, 0x1000, v7
	v_cmp_lt_u32_e32 vcc_lo, 0xbff, v1
	s_or_b32 s0, vcc_lo, s0
	s_and_not1_b32 exec_lo, exec_lo, s0
	s_cbranch_execnz .LBB95_37
; %bb.38:
	s_or_b32 exec_lo, exec_lo, s0
	s_cmp_gt_u32 s13, s12
	s_waitcnt vmcnt(0) lgkmcnt(0)
	s_waitcnt_vscnt null, 0x0
	s_cselect_b32 s0, -1, 0
	s_cmp_le_u32 s13, s12
	s_barrier
	buffer_gl0_inv
	s_cbranch_scc1 .LBB95_47
; %bb.39:
	v_and_b32_e32 v1, 3, v0
	v_xor_b32_e32 v2, 0x80000000, v6
	v_mov_b32_e32 v7, 1
	s_sub_i32 s1, s13, s12
	s_mov_b32 s3, s12
	v_lshlrev_b32_e32 v1, 2, v1
	s_mov_b32 s2, s1
	s_delay_alu instid0(VALU_DEP_1)
	v_mov_b32_e32 v9, v1
.LBB95_40:                              ; =>This Inner Loop Header: Depth=1
	v_lshrrev_b32_e32 v10, s3, v2
	s_min_u32 s4, s2, 8
	s_add_i32 s3, s3, 8
	s_add_i32 s2, s2, -8
	s_cmp_lt_u32 s3, s13
	v_bfe_u32 v10, v10, 0, s4
	s_delay_alu instid0(VALU_DEP_1)
	v_lshl_add_u32 v10, v10, 4, v9
	v_add_nc_u32_e32 v9, 0x1000, v9
	ds_add_u32 v10, v7
	s_cbranch_scc1 .LBB95_40
; %bb.41:
	v_xor_b32_e32 v2, 0x80000000, v5
	v_mov_b32_e32 v7, 1
	v_mov_b32_e32 v9, v1
	s_mov_b32 s2, s1
	s_mov_b32 s3, s12
.LBB95_42:                              ; =>This Inner Loop Header: Depth=1
	s_delay_alu instid0(SALU_CYCLE_1)
	v_lshrrev_b32_e32 v10, s3, v2
	s_min_u32 s4, s2, 8
	s_add_i32 s3, s3, 8
	s_add_i32 s2, s2, -8
	s_cmp_lt_u32 s3, s13
	v_bfe_u32 v10, v10, 0, s4
	s_delay_alu instid0(VALU_DEP_1)
	v_lshl_add_u32 v10, v10, 4, v9
	v_add_nc_u32_e32 v9, 0x1000, v9
	ds_add_u32 v10, v7
	s_cbranch_scc1 .LBB95_42
; %bb.43:
	v_xor_b32_e32 v2, 0x80000000, v4
	v_mov_b32_e32 v7, 1
	v_mov_b32_e32 v9, v1
	s_mov_b32 s2, s1
	s_mov_b32 s3, s12
.LBB95_44:                              ; =>This Inner Loop Header: Depth=1
	s_delay_alu instid0(SALU_CYCLE_1)
	v_lshrrev_b32_e32 v10, s3, v2
	s_min_u32 s4, s2, 8
	s_add_i32 s3, s3, 8
	s_add_i32 s2, s2, -8
	s_cmp_lt_u32 s3, s13
	v_bfe_u32 v10, v10, 0, s4
	s_delay_alu instid0(VALU_DEP_1)
	v_lshl_add_u32 v10, v10, 4, v9
	v_add_nc_u32_e32 v9, 0x1000, v9
	ds_add_u32 v10, v7
	s_cbranch_scc1 .LBB95_44
; %bb.45:
	v_xor_b32_e32 v2, 0x80000000, v3
	v_mov_b32_e32 v7, 1
	s_mov_b32 s2, s12
.LBB95_46:                              ; =>This Inner Loop Header: Depth=1
	s_delay_alu instid0(VALU_DEP_2) | instid1(SALU_CYCLE_1)
	v_lshrrev_b32_e32 v9, s2, v2
	s_min_u32 s3, s1, 8
	s_add_i32 s2, s2, 8
	s_add_i32 s1, s1, -8
	s_cmp_lt_u32 s2, s13
	v_bfe_u32 v9, v9, 0, s3
	s_delay_alu instid0(VALU_DEP_1)
	v_lshl_add_u32 v9, v9, 4, v1
	v_add_nc_u32_e32 v1, 0x1000, v1
	ds_add_u32 v9, v7
	s_cbranch_scc1 .LBB95_46
.LBB95_47:
	s_and_b32 vcc_lo, exec_lo, s0
	s_waitcnt lgkmcnt(0)
	s_barrier
	buffer_gl0_inv
	s_cbranch_vccz .LBB95_52
; %bb.48:
	v_cmp_gt_u32_e32 vcc_lo, 0x100, v0
	v_dual_mov_b32 v2, 0 :: v_dual_lshlrev_b32 v7, 4, v0
	v_mov_b32_e32 v1, v0
	s_set_inst_prefetch_distance 0x1
	s_branch .LBB95_50
	.p2align	6
.LBB95_49:                              ;   in Loop: Header=BB95_50 Depth=1
	s_or_b32 exec_lo, exec_lo, s1
	v_add_nc_u32_e32 v1, 0x100, v1
	v_add_nc_u32_e32 v7, 0x1000, v7
	s_add_i32 s12, s12, 8
	s_delay_alu instid0(SALU_CYCLE_1)
	s_cmp_ge_u32 s12, s13
	s_cbranch_scc1 .LBB95_52
.LBB95_50:                              ; =>This Inner Loop Header: Depth=1
	s_and_saveexec_b32 s1, vcc_lo
	s_cbranch_execz .LBB95_49
; %bb.51:                               ;   in Loop: Header=BB95_50 Depth=1
	ds_load_2addr_b32 v[9:10], v7 offset1:1
	ds_load_2addr_b32 v[11:12], v7 offset0:2 offset1:3
	v_lshlrev_b64 v[13:14], 3, v[1:2]
	s_waitcnt lgkmcnt(1)
	v_add_nc_u32_e32 v15, v10, v9
	s_delay_alu instid0(VALU_DEP_2) | instskip(NEXT) | instid1(VALU_DEP_1)
	v_add_co_u32 v9, s0, s6, v13
	v_add_co_ci_u32_e64 v10, s0, s7, v14, s0
	s_waitcnt lgkmcnt(0)
	s_delay_alu instid0(VALU_DEP_3)
	v_add3_u32 v11, v15, v11, v12
	v_mov_b32_e32 v12, v2
	global_atomic_add_u64 v[9:10], v[11:12], off
	s_branch .LBB95_49
.LBB95_52:
	s_set_inst_prefetch_distance 0x2
	s_mov_b32 s1, 0
.LBB95_53:
	s_delay_alu instid0(SALU_CYCLE_1)
	s_and_b32 vcc_lo, exec_lo, s1
	s_cbranch_vccz .LBB95_58
; %bb.54:
	v_dual_mov_b32 v2, 0 :: v_dual_lshlrev_b32 v1, 2, v0
	s_mov_b32 s0, 0
	s_delay_alu instid0(VALU_DEP_1)
	v_mov_b32_e32 v7, v1
.LBB95_55:                              ; =>This Inner Loop Header: Depth=1
	v_add_nc_u32_e32 v8, 0x400, v8
	ds_store_b32 v7, v2
	v_add_nc_u32_e32 v7, 0x1000, v7
	v_cmp_lt_u32_e32 vcc_lo, 0xbff, v8
	s_or_b32 s0, vcc_lo, s0
	s_delay_alu instid0(SALU_CYCLE_1)
	s_and_not1_b32 exec_lo, exec_lo, s0
	s_cbranch_execnz .LBB95_55
; %bb.56:
	s_or_b32 exec_lo, exec_lo, s0
	v_and_b32_e32 v2, 3, v0
	s_waitcnt vmcnt(3)
	v_dual_mov_b32 v8, 1 :: v_dual_lshlrev_b32 v7, 2, v6
	v_lshrrev_b32_e32 v9, 6, v6
	v_lshrrev_b32_e32 v10, 14, v6
	;; [unrolled: 1-line block ×3, first 2 shown]
	s_delay_alu instid0(VALU_DEP_4)
	v_and_or_b32 v7, 0x3fc, v7, v2
	v_or_b32_e32 v11, 0xc00, v2
	v_and_or_b32 v9, 0x3fc, v9, v2
	s_waitcnt vmcnt(0) lgkmcnt(0)
	s_waitcnt_vscnt null, 0x0
	s_barrier
	v_lshlrev_b32_e32 v7, 2, v7
	v_and_or_b32 v6, 0x3fc, v6, v11
	buffer_gl0_inv
	v_and_or_b32 v10, 0x3fc, v10, v2
	v_lshrrev_b32_e32 v12, 6, v5
	ds_add_u32 v7, v8
	v_lshlrev_b32_e32 v7, 2, v5
	v_lshlrev_b32_e32 v9, 2, v9
	v_xor_b32_e32 v6, 0x200, v6
	v_lshlrev_b32_e32 v10, 2, v10
	v_and_or_b32 v12, 0x3fc, v12, v2
	v_and_or_b32 v7, 0x3fc, v7, v2
	ds_add_u32 v9, v8 offset:4096
	ds_add_u32 v10, v8 offset:8192
	v_lshlrev_b32_e32 v6, 2, v6
	v_lshrrev_b32_e32 v10, 22, v5
	v_lshlrev_b32_e32 v7, 2, v7
	v_lshrrev_b32_e32 v5, 14, v5
	v_lshlrev_b32_e32 v9, 2, v12
	ds_add_u32 v6, v8
	ds_add_u32 v7, v8
	ds_add_u32 v9, v8 offset:4096
	v_and_or_b32 v6, 0x3fc, v10, v11
	v_and_or_b32 v5, 0x3fc, v5, v2
	v_lshlrev_b32_e32 v7, 2, v4
	v_lshrrev_b32_e32 v9, 6, v4
	v_lshrrev_b32_e32 v10, 14, v4
	v_xor_b32_e32 v6, 0x200, v6
	v_lshlrev_b32_e32 v5, 2, v5
	v_and_or_b32 v7, 0x3fc, v7, v2
	v_and_or_b32 v9, 0x3fc, v9, v2
	;; [unrolled: 1-line block ×3, first 2 shown]
	v_lshlrev_b32_e32 v6, 2, v6
	ds_add_u32 v5, v8 offset:8192
	v_lshlrev_b32_e32 v5, 2, v7
	v_lshlrev_b32_e32 v7, 2, v9
	v_lshrrev_b32_e32 v4, 22, v4
	v_lshlrev_b32_e32 v9, 2, v10
	ds_add_u32 v6, v8
	ds_add_u32 v5, v8
	ds_add_u32 v7, v8 offset:4096
	ds_add_u32 v9, v8 offset:8192
	v_lshrrev_b32_e32 v5, 22, v3
	v_and_or_b32 v4, 0x3fc, v4, v11
	v_lshlrev_b32_e32 v6, 2, v3
	v_lshrrev_b32_e32 v7, 6, v3
	v_lshrrev_b32_e32 v3, 14, v3
	v_and_or_b32 v5, 0x3fc, v5, v11
	v_xor_b32_e32 v4, 0x200, v4
	v_and_or_b32 v6, 0x3fc, v6, v2
	v_and_or_b32 v7, 0x3fc, v7, v2
	v_and_or_b32 v2, 0x3fc, v3, v2
	v_xor_b32_e32 v3, 0x200, v5
	v_lshlrev_b32_e32 v4, 2, v4
	v_lshlrev_b32_e32 v5, 2, v6
	;; [unrolled: 1-line block ×5, first 2 shown]
	ds_add_u32 v4, v8
	ds_add_u32 v5, v8
	ds_add_u32 v6, v8 offset:4096
	ds_add_u32 v2, v8 offset:8192
	ds_add_u32 v3, v8
	s_waitcnt lgkmcnt(0)
	s_barrier
	buffer_gl0_inv
	s_mov_b32 s0, exec_lo
	v_cmpx_gt_u32_e32 0x100, v0
	s_cbranch_execz .LBB95_58
; %bb.57:
	v_lshlrev_b32_e32 v6, 2, v1
	v_lshlrev_b32_e32 v7, 3, v0
	ds_load_2addr_b32 v[1:2], v6 offset1:1
	ds_load_2addr_b32 v[3:4], v6 offset0:2 offset1:3
	s_waitcnt lgkmcnt(1)
	v_dual_mov_b32 v1, 0 :: v_dual_add_nc_u32 v2, v2, v1
	s_waitcnt lgkmcnt(0)
	s_delay_alu instid0(VALU_DEP_1)
	v_add3_u32 v0, v2, v3, v4
	v_add_nc_u32_e32 v2, 0x1000, v6
	v_add_nc_u32_e32 v4, 0x1008, v6
	global_atomic_add_u64 v7, v[0:1], s[6:7]
	ds_load_2addr_b32 v[2:3], v2 offset1:1
	ds_load_2addr_b32 v[4:5], v4 offset1:1
	s_waitcnt lgkmcnt(1)
	v_add_nc_u32_e32 v0, v3, v2
	v_add_nc_u32_e32 v2, 0x2000, v6
	s_waitcnt lgkmcnt(0)
	s_delay_alu instid0(VALU_DEP_2)
	v_add3_u32 v0, v0, v4, v5
	v_add_nc_u32_e32 v4, 0x2008, v6
	global_atomic_add_u64 v7, v[0:1], s[6:7] offset:2048
	ds_load_2addr_b32 v[2:3], v2 offset1:1
	ds_load_2addr_b32 v[4:5], v4 offset1:1
	s_waitcnt lgkmcnt(1)
	v_add_nc_u32_e32 v0, v3, v2
	v_or_b32_e32 v2, 0x1000, v7
	v_add_nc_u32_e32 v3, 0x3000, v6
	s_waitcnt lgkmcnt(0)
	s_delay_alu instid0(VALU_DEP_3)
	v_add3_u32 v0, v0, v4, v5
	v_add_nc_u32_e32 v4, 0x3008, v6
	global_atomic_add_u64 v2, v[0:1], s[6:7]
	ds_load_2addr_b32 v[2:3], v3 offset1:1
	ds_load_2addr_b32 v[4:5], v4 offset1:1
	s_waitcnt lgkmcnt(1)
	v_add_nc_u32_e32 v0, v3, v2
	v_or_b32_e32 v2, 0x1800, v7
	s_waitcnt lgkmcnt(0)
	s_delay_alu instid0(VALU_DEP_2)
	v_add3_u32 v0, v0, v4, v5
	global_atomic_add_u64 v2, v[0:1], s[6:7]
.LBB95_58:
	s_nop 0
	s_sendmsg sendmsg(MSG_DEALLOC_VGPRS)
	s_endpgm
	.section	.rodata,"a",@progbits
	.p2align	6, 0x0
	.amdhsa_kernel _ZN7rocprim17ROCPRIM_304000_NS6detail26onesweep_histograms_kernelINS1_34wrapped_radix_sort_onesweep_configINS0_14default_configEiN2at4cuda3cub6detail10OpaqueTypeILi8EEEEELb0EPKimNS0_19identity_decomposerEEEvT1_PT2_SG_SG_T3_jj
		.amdhsa_group_segment_fixed_size 16384
		.amdhsa_private_segment_fixed_size 0
		.amdhsa_kernarg_size 44
		.amdhsa_user_sgpr_count 15
		.amdhsa_user_sgpr_dispatch_ptr 0
		.amdhsa_user_sgpr_queue_ptr 0
		.amdhsa_user_sgpr_kernarg_segment_ptr 1
		.amdhsa_user_sgpr_dispatch_id 0
		.amdhsa_user_sgpr_private_segment_size 0
		.amdhsa_wavefront_size32 1
		.amdhsa_uses_dynamic_stack 0
		.amdhsa_enable_private_segment 0
		.amdhsa_system_sgpr_workgroup_id_x 1
		.amdhsa_system_sgpr_workgroup_id_y 0
		.amdhsa_system_sgpr_workgroup_id_z 0
		.amdhsa_system_sgpr_workgroup_info 0
		.amdhsa_system_vgpr_workitem_id 0
		.amdhsa_next_free_vgpr 16
		.amdhsa_next_free_sgpr 16
		.amdhsa_reserve_vcc 1
		.amdhsa_float_round_mode_32 0
		.amdhsa_float_round_mode_16_64 0
		.amdhsa_float_denorm_mode_32 3
		.amdhsa_float_denorm_mode_16_64 3
		.amdhsa_dx10_clamp 1
		.amdhsa_ieee_mode 1
		.amdhsa_fp16_overflow 0
		.amdhsa_workgroup_processor_mode 1
		.amdhsa_memory_ordered 1
		.amdhsa_forward_progress 0
		.amdhsa_shared_vgpr_count 0
		.amdhsa_exception_fp_ieee_invalid_op 0
		.amdhsa_exception_fp_denorm_src 0
		.amdhsa_exception_fp_ieee_div_zero 0
		.amdhsa_exception_fp_ieee_overflow 0
		.amdhsa_exception_fp_ieee_underflow 0
		.amdhsa_exception_fp_ieee_inexact 0
		.amdhsa_exception_int_div_zero 0
	.end_amdhsa_kernel
	.section	.text._ZN7rocprim17ROCPRIM_304000_NS6detail26onesweep_histograms_kernelINS1_34wrapped_radix_sort_onesweep_configINS0_14default_configEiN2at4cuda3cub6detail10OpaqueTypeILi8EEEEELb0EPKimNS0_19identity_decomposerEEEvT1_PT2_SG_SG_T3_jj,"axG",@progbits,_ZN7rocprim17ROCPRIM_304000_NS6detail26onesweep_histograms_kernelINS1_34wrapped_radix_sort_onesweep_configINS0_14default_configEiN2at4cuda3cub6detail10OpaqueTypeILi8EEEEELb0EPKimNS0_19identity_decomposerEEEvT1_PT2_SG_SG_T3_jj,comdat
.Lfunc_end95:
	.size	_ZN7rocprim17ROCPRIM_304000_NS6detail26onesweep_histograms_kernelINS1_34wrapped_radix_sort_onesweep_configINS0_14default_configEiN2at4cuda3cub6detail10OpaqueTypeILi8EEEEELb0EPKimNS0_19identity_decomposerEEEvT1_PT2_SG_SG_T3_jj, .Lfunc_end95-_ZN7rocprim17ROCPRIM_304000_NS6detail26onesweep_histograms_kernelINS1_34wrapped_radix_sort_onesweep_configINS0_14default_configEiN2at4cuda3cub6detail10OpaqueTypeILi8EEEEELb0EPKimNS0_19identity_decomposerEEEvT1_PT2_SG_SG_T3_jj
                                        ; -- End function
	.section	.AMDGPU.csdata,"",@progbits
; Kernel info:
; codeLenInByte = 2768
; NumSgprs: 18
; NumVgprs: 16
; ScratchSize: 0
; MemoryBound: 0
; FloatMode: 240
; IeeeMode: 1
; LDSByteSize: 16384 bytes/workgroup (compile time only)
; SGPRBlocks: 2
; VGPRBlocks: 1
; NumSGPRsForWavesPerEU: 18
; NumVGPRsForWavesPerEU: 16
; Occupancy: 16
; WaveLimiterHint : 1
; COMPUTE_PGM_RSRC2:SCRATCH_EN: 0
; COMPUTE_PGM_RSRC2:USER_SGPR: 15
; COMPUTE_PGM_RSRC2:TRAP_HANDLER: 0
; COMPUTE_PGM_RSRC2:TGID_X_EN: 1
; COMPUTE_PGM_RSRC2:TGID_Y_EN: 0
; COMPUTE_PGM_RSRC2:TGID_Z_EN: 0
; COMPUTE_PGM_RSRC2:TIDIG_COMP_CNT: 0
	.section	.text._ZN7rocprim17ROCPRIM_304000_NS6detail25onesweep_iteration_kernelINS1_34wrapped_radix_sort_onesweep_configINS0_14default_configEiN2at4cuda3cub6detail10OpaqueTypeILi8EEEEELb0EPKiPiPKSA_PSA_mNS0_19identity_decomposerEEEvT1_T2_T3_T4_jPT5_SO_PNS1_23onesweep_lookback_stateET6_jjj,"axG",@progbits,_ZN7rocprim17ROCPRIM_304000_NS6detail25onesweep_iteration_kernelINS1_34wrapped_radix_sort_onesweep_configINS0_14default_configEiN2at4cuda3cub6detail10OpaqueTypeILi8EEEEELb0EPKiPiPKSA_PSA_mNS0_19identity_decomposerEEEvT1_T2_T3_T4_jPT5_SO_PNS1_23onesweep_lookback_stateET6_jjj,comdat
	.protected	_ZN7rocprim17ROCPRIM_304000_NS6detail25onesweep_iteration_kernelINS1_34wrapped_radix_sort_onesweep_configINS0_14default_configEiN2at4cuda3cub6detail10OpaqueTypeILi8EEEEELb0EPKiPiPKSA_PSA_mNS0_19identity_decomposerEEEvT1_T2_T3_T4_jPT5_SO_PNS1_23onesweep_lookback_stateET6_jjj ; -- Begin function _ZN7rocprim17ROCPRIM_304000_NS6detail25onesweep_iteration_kernelINS1_34wrapped_radix_sort_onesweep_configINS0_14default_configEiN2at4cuda3cub6detail10OpaqueTypeILi8EEEEELb0EPKiPiPKSA_PSA_mNS0_19identity_decomposerEEEvT1_T2_T3_T4_jPT5_SO_PNS1_23onesweep_lookback_stateET6_jjj
	.globl	_ZN7rocprim17ROCPRIM_304000_NS6detail25onesweep_iteration_kernelINS1_34wrapped_radix_sort_onesweep_configINS0_14default_configEiN2at4cuda3cub6detail10OpaqueTypeILi8EEEEELb0EPKiPiPKSA_PSA_mNS0_19identity_decomposerEEEvT1_T2_T3_T4_jPT5_SO_PNS1_23onesweep_lookback_stateET6_jjj
	.p2align	8
	.type	_ZN7rocprim17ROCPRIM_304000_NS6detail25onesweep_iteration_kernelINS1_34wrapped_radix_sort_onesweep_configINS0_14default_configEiN2at4cuda3cub6detail10OpaqueTypeILi8EEEEELb0EPKiPiPKSA_PSA_mNS0_19identity_decomposerEEEvT1_T2_T3_T4_jPT5_SO_PNS1_23onesweep_lookback_stateET6_jjj,@function
_ZN7rocprim17ROCPRIM_304000_NS6detail25onesweep_iteration_kernelINS1_34wrapped_radix_sort_onesweep_configINS0_14default_configEiN2at4cuda3cub6detail10OpaqueTypeILi8EEEEELb0EPKiPiPKSA_PSA_mNS0_19identity_decomposerEEEvT1_T2_T3_T4_jPT5_SO_PNS1_23onesweep_lookback_stateET6_jjj: ; @_ZN7rocprim17ROCPRIM_304000_NS6detail25onesweep_iteration_kernelINS1_34wrapped_radix_sort_onesweep_configINS0_14default_configEiN2at4cuda3cub6detail10OpaqueTypeILi8EEEEELb0EPKiPiPKSA_PSA_mNS0_19identity_decomposerEEEvT1_T2_T3_T4_jPT5_SO_PNS1_23onesweep_lookback_stateET6_jjj
; %bb.0:
	s_clause 0x3
	s_load_b128 s[28:31], s[0:1], 0x44
	s_load_b256 s[16:23], s[0:1], 0x0
	s_load_b128 s[24:27], s[0:1], 0x28
	s_load_b64 s[12:13], s[0:1], 0x38
	v_and_b32_e32 v5, 0x3ff, v0
	v_mbcnt_lo_u32_b32 v12, -1, 0
	s_waitcnt lgkmcnt(0)
	s_cmp_ge_u32 s15, s30
	s_cbranch_scc0 .LBB96_66
; %bb.1:
	s_load_b32 s8, s[0:1], 0x20
	s_brev_b32 s4, -2
	s_lshl_b32 s9, s30, 12
	s_mov_b32 s5, s4
	s_mov_b32 s6, s4
	;; [unrolled: 1-line block ×3, first 2 shown]
	v_lshlrev_b32_e32 v13, 2, v5
	s_lshl_b32 s30, s15, 12
	s_mov_b32 s31, 0
	v_lshlrev_b32_e32 v1, 2, v12
	s_lshl_b64 s[2:3], s[30:31], 2
	v_and_b32_e32 v10, 0xf80, v13
	s_delay_alu instid0(VALU_DEP_1)
	v_lshlrev_b32_e32 v2, 2, v10
	s_waitcnt lgkmcnt(0)
	s_sub_i32 s34, s8, s9
	s_add_u32 s2, s16, s2
	s_addc_u32 s3, s17, s3
	v_add_co_u32 v1, s2, s2, v1
	s_delay_alu instid0(VALU_DEP_1) | instskip(NEXT) | instid1(VALU_DEP_2)
	v_add_co_ci_u32_e64 v3, null, s3, 0, s2
	v_add_co_u32 v6, s2, v1, v2
	s_delay_alu instid0(VALU_DEP_1)
	v_add_co_ci_u32_e64 v7, s2, 0, v3, s2
	v_mov_b32_e32 v1, s4
	v_mov_b32_e32 v3, s6
	v_or_b32_e32 v8, v12, v10
	v_mov_b32_e32 v2, s5
	v_mov_b32_e32 v4, s7
	s_delay_alu instid0(VALU_DEP_3)
	v_cmp_gt_u32_e32 vcc_lo, s34, v8
	s_and_saveexec_b32 s2, vcc_lo
	s_cbranch_execz .LBB96_3
; %bb.2:
	global_load_b32 v1, v[6:7], off
	v_bfrev_b32_e32 v2, -2
	s_delay_alu instid0(VALU_DEP_1)
	v_mov_b32_e32 v3, v2
	v_mov_b32_e32 v4, v2
.LBB96_3:
	s_or_b32 exec_lo, exec_lo, s2
	v_add_nc_u32_e32 v9, 32, v8
	s_delay_alu instid0(VALU_DEP_1) | instskip(NEXT) | instid1(VALU_DEP_1)
	v_cmp_gt_u32_e64 s2, s34, v9
	s_and_saveexec_b32 s3, s2
	s_cbranch_execz .LBB96_5
; %bb.4:
	global_load_b32 v2, v[6:7], off offset:128
.LBB96_5:
	s_or_b32 exec_lo, exec_lo, s3
	v_add_nc_u32_e32 v9, 64, v8
	s_delay_alu instid0(VALU_DEP_1) | instskip(NEXT) | instid1(VALU_DEP_1)
	v_cmp_gt_u32_e64 s3, s34, v9
	s_and_saveexec_b32 s4, s3
	s_cbranch_execz .LBB96_7
; %bb.6:
	global_load_b32 v3, v[6:7], off offset:256
.LBB96_7:
	;; [unrolled: 9-line block ×3, first 2 shown]
	s_or_b32 exec_lo, exec_lo, s5
	s_clause 0x1
	s_load_b32 s5, s[0:1], 0x5c
	s_load_b32 s14, s[0:1], 0x50
	s_add_u32 s6, s0, 0x50
	s_addc_u32 s7, s1, 0
	s_waitcnt vmcnt(0)
	v_xor_b32_e32 v11, 0x80000000, v1
	s_delay_alu instid0(VALU_DEP_1) | instskip(SKIP_4) | instid1(SALU_CYCLE_1)
	v_lshrrev_b32_e32 v1, s28, v11
	s_waitcnt lgkmcnt(0)
	s_lshr_b32 s8, s5, 16
	s_cmp_lt_u32 s15, s14
	s_cselect_b32 s5, 12, 18
	s_add_u32 s6, s6, s5
	s_addc_u32 s7, s7, 0
	s_lshl_b32 s5, -1, s29
	s_delay_alu instid0(SALU_CYCLE_1) | instskip(NEXT) | instid1(SALU_CYCLE_1)
	s_not_b32 s33, s5
	v_and_b32_e32 v15, s33, v1
	v_mov_b32_e32 v9, 0
	v_bfe_u32 v1, v0, 10, 10
	s_delay_alu instid0(VALU_DEP_3)
	v_lshlrev_b32_e32 v8, 30, v15
	global_load_u16 v6, v9, s[6:7]
	v_and_b32_e32 v7, 1, v15
	v_lshlrev_b32_e32 v14, 29, v15
	v_lshlrev_b32_e32 v16, 28, v15
	v_not_b32_e32 v21, v8
	v_cmp_gt_i32_e64 s6, 0, v8
	v_add_co_u32 v7, s5, v7, -1
	s_delay_alu instid0(VALU_DEP_1)
	v_cndmask_b32_e64 v17, 0, 1, s5
	v_not_b32_e32 v8, v14
	v_ashrrev_i32_e32 v21, 31, v21
	v_lshlrev_b32_e32 v18, 27, v15
	v_lshlrev_b32_e32 v19, 26, v15
	v_cmp_ne_u32_e64 s5, 0, v17
	v_ashrrev_i32_e32 v8, 31, v8
	v_xor_b32_e32 v21, s6, v21
	v_cmp_gt_i32_e64 s6, 0, v16
	v_lshlrev_b32_e32 v20, 25, v15
	v_xor_b32_e32 v7, s5, v7
	v_cmp_gt_i32_e64 s5, 0, v14
	v_not_b32_e32 v14, v16
	v_not_b32_e32 v16, v18
	v_lshlrev_b32_e32 v17, 24, v15
	v_and_b32_e32 v7, exec_lo, v7
	v_xor_b32_e32 v8, s5, v8
	v_ashrrev_i32_e32 v14, 31, v14
	v_cmp_gt_i32_e64 s5, 0, v18
	v_not_b32_e32 v18, v19
	v_and_b32_e32 v7, v7, v21
	v_ashrrev_i32_e32 v16, 31, v16
	v_xor_b32_e32 v14, s6, v14
	v_cmp_gt_i32_e64 s6, 0, v19
	v_ashrrev_i32_e32 v18, 31, v18
	v_and_b32_e32 v7, v7, v8
	v_not_b32_e32 v8, v20
	v_xor_b32_e32 v16, s5, v16
	v_cmp_gt_i32_e64 s5, 0, v20
	v_xor_b32_e32 v18, s6, v18
	v_and_b32_e32 v7, v7, v14
	v_not_b32_e32 v14, v17
	v_ashrrev_i32_e32 v8, 31, v8
	v_cmp_gt_i32_e64 s6, 0, v17
	v_mul_u32_u24_e32 v17, 9, v5
	v_and_b32_e32 v7, v7, v16
	v_bfe_u32 v16, v0, 20, 10
	v_ashrrev_i32_e32 v14, 31, v14
	v_xor_b32_e32 v8, s5, v8
	s_delay_alu instid0(VALU_DEP_4) | instskip(NEXT) | instid1(VALU_DEP_4)
	v_and_b32_e32 v7, v7, v18
	v_mad_u32_u24 v1, v16, s8, v1
	s_delay_alu instid0(VALU_DEP_4)
	v_xor_b32_e32 v14, s6, v14
	v_lshlrev_b32_e32 v16, 2, v17
	ds_store_2addr_b32 v16, v9, v9 offset0:32 offset1:33
	ds_store_2addr_b32 v16, v9, v9 offset0:34 offset1:35
	;; [unrolled: 1-line block ×4, first 2 shown]
	v_and_b32_e32 v18, v7, v8
	ds_store_b32 v16, v9 offset:160
	s_waitcnt vmcnt(0) lgkmcnt(0)
	s_barrier
	buffer_gl0_inv
	; wave barrier
	v_mad_u64_u32 v[7:8], null, v1, v6, v[5:6]
	v_and_b32_e32 v6, v18, v14
	s_delay_alu instid0(VALU_DEP_1) | instskip(NEXT) | instid1(VALU_DEP_3)
	v_mbcnt_lo_u32_b32 v14, v6, 0
	v_lshrrev_b32_e32 v1, 5, v7
	v_lshl_add_u32 v7, v15, 5, v15
	v_cmp_ne_u32_e64 s6, 0, v6
	s_delay_alu instid0(VALU_DEP_4) | instskip(NEXT) | instid1(VALU_DEP_3)
	v_cmp_eq_u32_e64 s5, 0, v14
	v_add_lshl_u32 v17, v1, v7, 2
	s_delay_alu instid0(VALU_DEP_2) | instskip(NEXT) | instid1(SALU_CYCLE_1)
	s_and_b32 s6, s6, s5
	s_and_saveexec_b32 s5, s6
	s_cbranch_execz .LBB96_11
; %bb.10:
	v_bcnt_u32_b32 v6, v6, 0
	ds_store_b32 v17, v6 offset:128
.LBB96_11:
	s_or_b32 exec_lo, exec_lo, s5
	v_xor_b32_e32 v15, 0x80000000, v2
	; wave barrier
	s_delay_alu instid0(VALU_DEP_1) | instskip(NEXT) | instid1(VALU_DEP_1)
	v_lshrrev_b32_e32 v2, s28, v15
	v_and_b32_e32 v2, s33, v2
	s_delay_alu instid0(VALU_DEP_1)
	v_and_b32_e32 v6, 1, v2
	v_lshlrev_b32_e32 v7, 30, v2
	v_lshlrev_b32_e32 v8, 29, v2
	;; [unrolled: 1-line block ×4, first 2 shown]
	v_add_co_u32 v6, s5, v6, -1
	s_delay_alu instid0(VALU_DEP_1)
	v_cndmask_b32_e64 v18, 0, 1, s5
	v_not_b32_e32 v22, v7
	v_cmp_gt_i32_e64 s6, 0, v7
	v_not_b32_e32 v7, v8
	v_lshlrev_b32_e32 v20, 26, v2
	v_cmp_ne_u32_e64 s5, 0, v18
	v_ashrrev_i32_e32 v22, 31, v22
	v_lshlrev_b32_e32 v21, 25, v2
	v_ashrrev_i32_e32 v7, 31, v7
	v_lshlrev_b32_e32 v18, 24, v2
	v_xor_b32_e32 v6, s5, v6
	v_cmp_gt_i32_e64 s5, 0, v8
	v_not_b32_e32 v8, v9
	v_xor_b32_e32 v22, s6, v22
	v_cmp_gt_i32_e64 s6, 0, v9
	v_and_b32_e32 v6, exec_lo, v6
	v_not_b32_e32 v9, v19
	v_ashrrev_i32_e32 v8, 31, v8
	v_xor_b32_e32 v7, s5, v7
	v_cmp_gt_i32_e64 s5, 0, v19
	v_and_b32_e32 v6, v6, v22
	v_not_b32_e32 v19, v20
	v_ashrrev_i32_e32 v9, 31, v9
	v_xor_b32_e32 v8, s6, v8
	v_cmp_gt_i32_e64 s6, 0, v20
	v_and_b32_e32 v6, v6, v7
	;; [unrolled: 5-line block ×3, first 2 shown]
	v_not_b32_e32 v8, v18
	v_ashrrev_i32_e32 v7, 31, v7
	v_xor_b32_e32 v19, s6, v19
	v_lshl_add_u32 v2, v2, 5, v2
	v_and_b32_e32 v6, v6, v9
	v_cmp_gt_i32_e64 s6, 0, v18
	v_ashrrev_i32_e32 v8, 31, v8
	v_xor_b32_e32 v7, s5, v7
	v_add_lshl_u32 v21, v1, v2, 2
	v_and_b32_e32 v6, v6, v19
	s_delay_alu instid0(VALU_DEP_4) | instskip(SKIP_2) | instid1(VALU_DEP_1)
	v_xor_b32_e32 v2, s6, v8
	ds_load_b32 v18, v21 offset:128
	v_and_b32_e32 v6, v6, v7
	; wave barrier
	v_and_b32_e32 v2, v6, v2
	s_delay_alu instid0(VALU_DEP_1) | instskip(SKIP_1) | instid1(VALU_DEP_2)
	v_mbcnt_lo_u32_b32 v19, v2, 0
	v_cmp_ne_u32_e64 s6, 0, v2
	v_cmp_eq_u32_e64 s5, 0, v19
	s_delay_alu instid0(VALU_DEP_1) | instskip(NEXT) | instid1(SALU_CYCLE_1)
	s_and_b32 s6, s6, s5
	s_and_saveexec_b32 s5, s6
	s_cbranch_execz .LBB96_13
; %bb.12:
	s_waitcnt lgkmcnt(0)
	v_bcnt_u32_b32 v2, v2, v18
	ds_store_b32 v21, v2 offset:128
.LBB96_13:
	s_or_b32 exec_lo, exec_lo, s5
	v_xor_b32_e32 v20, 0x80000000, v3
	; wave barrier
	s_delay_alu instid0(VALU_DEP_1) | instskip(NEXT) | instid1(VALU_DEP_1)
	v_lshrrev_b32_e32 v2, s28, v20
	v_and_b32_e32 v2, s33, v2
	s_delay_alu instid0(VALU_DEP_1)
	v_and_b32_e32 v3, 1, v2
	v_lshlrev_b32_e32 v6, 30, v2
	v_lshlrev_b32_e32 v7, 29, v2
	;; [unrolled: 1-line block ×4, first 2 shown]
	v_add_co_u32 v3, s5, v3, -1
	s_delay_alu instid0(VALU_DEP_1)
	v_cndmask_b32_e64 v9, 0, 1, s5
	v_not_b32_e32 v25, v6
	v_cmp_gt_i32_e64 s6, 0, v6
	v_not_b32_e32 v6, v7
	v_lshlrev_b32_e32 v23, 26, v2
	v_cmp_ne_u32_e64 s5, 0, v9
	v_ashrrev_i32_e32 v25, 31, v25
	v_lshlrev_b32_e32 v24, 25, v2
	v_ashrrev_i32_e32 v6, 31, v6
	v_lshlrev_b32_e32 v9, 24, v2
	v_xor_b32_e32 v3, s5, v3
	v_cmp_gt_i32_e64 s5, 0, v7
	v_not_b32_e32 v7, v8
	v_xor_b32_e32 v25, s6, v25
	v_cmp_gt_i32_e64 s6, 0, v8
	v_and_b32_e32 v3, exec_lo, v3
	v_not_b32_e32 v8, v22
	v_ashrrev_i32_e32 v7, 31, v7
	v_xor_b32_e32 v6, s5, v6
	v_cmp_gt_i32_e64 s5, 0, v22
	v_and_b32_e32 v3, v3, v25
	v_not_b32_e32 v22, v23
	v_ashrrev_i32_e32 v8, 31, v8
	v_xor_b32_e32 v7, s6, v7
	v_cmp_gt_i32_e64 s6, 0, v23
	v_and_b32_e32 v3, v3, v6
	;; [unrolled: 5-line block ×3, first 2 shown]
	v_not_b32_e32 v7, v9
	v_ashrrev_i32_e32 v6, 31, v6
	v_xor_b32_e32 v22, s6, v22
	v_lshl_add_u32 v2, v2, 5, v2
	v_and_b32_e32 v3, v3, v8
	v_cmp_gt_i32_e64 s6, 0, v9
	v_ashrrev_i32_e32 v7, 31, v7
	v_xor_b32_e32 v6, s5, v6
	v_add_lshl_u32 v25, v1, v2, 2
	v_and_b32_e32 v3, v3, v22
	s_delay_alu instid0(VALU_DEP_4) | instskip(SKIP_2) | instid1(VALU_DEP_1)
	v_xor_b32_e32 v2, s6, v7
	ds_load_b32 v22, v25 offset:128
	v_and_b32_e32 v3, v3, v6
	; wave barrier
	v_and_b32_e32 v2, v3, v2
	s_delay_alu instid0(VALU_DEP_1) | instskip(SKIP_1) | instid1(VALU_DEP_2)
	v_mbcnt_lo_u32_b32 v23, v2, 0
	v_cmp_ne_u32_e64 s6, 0, v2
	v_cmp_eq_u32_e64 s5, 0, v23
	s_delay_alu instid0(VALU_DEP_1) | instskip(NEXT) | instid1(SALU_CYCLE_1)
	s_and_b32 s6, s6, s5
	s_and_saveexec_b32 s5, s6
	s_cbranch_execz .LBB96_15
; %bb.14:
	s_waitcnt lgkmcnt(0)
	v_bcnt_u32_b32 v2, v2, v22
	ds_store_b32 v25, v2 offset:128
.LBB96_15:
	s_or_b32 exec_lo, exec_lo, s5
	v_xor_b32_e32 v24, 0x80000000, v4
	; wave barrier
	v_add_nc_u32_e32 v29, 0x80, v16
	s_delay_alu instid0(VALU_DEP_2) | instskip(NEXT) | instid1(VALU_DEP_1)
	v_lshrrev_b32_e32 v2, s28, v24
	v_and_b32_e32 v2, s33, v2
	s_delay_alu instid0(VALU_DEP_1)
	v_and_b32_e32 v3, 1, v2
	v_lshlrev_b32_e32 v4, 30, v2
	v_lshlrev_b32_e32 v6, 29, v2
	;; [unrolled: 1-line block ×4, first 2 shown]
	v_add_co_u32 v3, s5, v3, -1
	s_delay_alu instid0(VALU_DEP_1)
	v_cndmask_b32_e64 v8, 0, 1, s5
	v_not_b32_e32 v28, v4
	v_cmp_gt_i32_e64 s6, 0, v4
	v_not_b32_e32 v4, v6
	v_lshlrev_b32_e32 v26, 26, v2
	v_cmp_ne_u32_e64 s5, 0, v8
	v_ashrrev_i32_e32 v28, 31, v28
	v_lshlrev_b32_e32 v27, 25, v2
	v_ashrrev_i32_e32 v4, 31, v4
	v_lshlrev_b32_e32 v8, 24, v2
	v_xor_b32_e32 v3, s5, v3
	v_cmp_gt_i32_e64 s5, 0, v6
	v_not_b32_e32 v6, v7
	v_xor_b32_e32 v28, s6, v28
	v_cmp_gt_i32_e64 s6, 0, v7
	v_and_b32_e32 v3, exec_lo, v3
	v_not_b32_e32 v7, v9
	v_ashrrev_i32_e32 v6, 31, v6
	v_xor_b32_e32 v4, s5, v4
	v_cmp_gt_i32_e64 s5, 0, v9
	v_and_b32_e32 v3, v3, v28
	v_not_b32_e32 v9, v26
	v_ashrrev_i32_e32 v7, 31, v7
	v_xor_b32_e32 v6, s6, v6
	v_cmp_gt_i32_e64 s6, 0, v26
	v_and_b32_e32 v3, v3, v4
	;; [unrolled: 5-line block ×3, first 2 shown]
	v_not_b32_e32 v6, v8
	v_ashrrev_i32_e32 v4, 31, v4
	v_xor_b32_e32 v9, s6, v9
	v_lshl_add_u32 v2, v2, 5, v2
	v_and_b32_e32 v3, v3, v7
	v_cmp_gt_i32_e64 s6, 0, v8
	v_ashrrev_i32_e32 v6, 31, v6
	v_xor_b32_e32 v4, s5, v4
	v_add_lshl_u32 v28, v1, v2, 2
	v_and_b32_e32 v3, v3, v9
	s_delay_alu instid0(VALU_DEP_4) | instskip(SKIP_2) | instid1(VALU_DEP_1)
	v_xor_b32_e32 v1, s6, v6
	ds_load_b32 v26, v28 offset:128
	v_and_b32_e32 v2, v3, v4
	; wave barrier
	v_and_b32_e32 v1, v2, v1
	s_delay_alu instid0(VALU_DEP_1) | instskip(SKIP_1) | instid1(VALU_DEP_2)
	v_mbcnt_lo_u32_b32 v27, v1, 0
	v_cmp_ne_u32_e64 s6, 0, v1
	v_cmp_eq_u32_e64 s5, 0, v27
	s_delay_alu instid0(VALU_DEP_1) | instskip(NEXT) | instid1(SALU_CYCLE_1)
	s_and_b32 s6, s6, s5
	s_and_saveexec_b32 s5, s6
	s_cbranch_execz .LBB96_17
; %bb.16:
	s_waitcnt lgkmcnt(0)
	v_bcnt_u32_b32 v1, v1, v26
	ds_store_b32 v28, v1 offset:128
.LBB96_17:
	s_or_b32 exec_lo, exec_lo, s5
	; wave barrier
	s_waitcnt lgkmcnt(0)
	s_barrier
	buffer_gl0_inv
	ds_load_2addr_b32 v[8:9], v16 offset0:32 offset1:33
	ds_load_2addr_b32 v[6:7], v29 offset0:2 offset1:3
	;; [unrolled: 1-line block ×4, first 2 shown]
	ds_load_b32 v30, v29 offset:32
	v_and_b32_e32 v33, 16, v12
	v_and_b32_e32 v34, 31, v5
	s_mov_b32 s11, exec_lo
	s_delay_alu instid0(VALU_DEP_2) | instskip(SKIP_3) | instid1(VALU_DEP_1)
	v_cmp_eq_u32_e64 s9, 0, v33
	s_waitcnt lgkmcnt(3)
	v_add3_u32 v31, v9, v8, v6
	s_waitcnt lgkmcnt(2)
	v_add3_u32 v31, v31, v7, v3
	s_waitcnt lgkmcnt(1)
	s_delay_alu instid0(VALU_DEP_1) | instskip(SKIP_1) | instid1(VALU_DEP_1)
	v_add3_u32 v31, v31, v4, v1
	s_waitcnt lgkmcnt(0)
	v_add3_u32 v30, v31, v2, v30
	v_and_b32_e32 v31, 15, v12
	s_delay_alu instid0(VALU_DEP_2) | instskip(NEXT) | instid1(VALU_DEP_2)
	v_mov_b32_dpp v32, v30 row_shr:1 row_mask:0xf bank_mask:0xf
	v_cmp_eq_u32_e64 s5, 0, v31
	v_cmp_lt_u32_e64 s6, 1, v31
	v_cmp_lt_u32_e64 s7, 3, v31
	;; [unrolled: 1-line block ×3, first 2 shown]
	s_delay_alu instid0(VALU_DEP_4) | instskip(NEXT) | instid1(VALU_DEP_1)
	v_cndmask_b32_e64 v32, v32, 0, s5
	v_add_nc_u32_e32 v30, v32, v30
	s_delay_alu instid0(VALU_DEP_1) | instskip(NEXT) | instid1(VALU_DEP_1)
	v_mov_b32_dpp v32, v30 row_shr:2 row_mask:0xf bank_mask:0xf
	v_cndmask_b32_e64 v32, 0, v32, s6
	s_delay_alu instid0(VALU_DEP_1) | instskip(NEXT) | instid1(VALU_DEP_1)
	v_add_nc_u32_e32 v30, v30, v32
	v_mov_b32_dpp v32, v30 row_shr:4 row_mask:0xf bank_mask:0xf
	s_delay_alu instid0(VALU_DEP_1) | instskip(NEXT) | instid1(VALU_DEP_1)
	v_cndmask_b32_e64 v32, 0, v32, s7
	v_add_nc_u32_e32 v30, v30, v32
	s_delay_alu instid0(VALU_DEP_1) | instskip(NEXT) | instid1(VALU_DEP_1)
	v_mov_b32_dpp v32, v30 row_shr:8 row_mask:0xf bank_mask:0xf
	v_cndmask_b32_e64 v31, 0, v32, s8
	v_bfe_i32 v32, v12, 4, 1
	s_delay_alu instid0(VALU_DEP_2) | instskip(SKIP_4) | instid1(VALU_DEP_2)
	v_add_nc_u32_e32 v30, v30, v31
	ds_swizzle_b32 v31, v30 offset:swizzle(BROADCAST,32,15)
	s_waitcnt lgkmcnt(0)
	v_and_b32_e32 v32, v32, v31
	v_lshrrev_b32_e32 v31, 5, v5
	v_add_nc_u32_e32 v30, v30, v32
	v_cmpx_eq_u32_e32 31, v34
	s_cbranch_execz .LBB96_19
; %bb.18:
	s_delay_alu instid0(VALU_DEP_3)
	v_lshlrev_b32_e32 v32, 2, v31
	ds_store_b32 v32, v30
.LBB96_19:
	s_or_b32 exec_lo, exec_lo, s11
	v_cmp_lt_u32_e64 s10, 31, v5
	s_mov_b32 s35, exec_lo
	s_waitcnt lgkmcnt(0)
	s_barrier
	buffer_gl0_inv
	v_cmpx_gt_u32_e32 32, v5
	s_cbranch_execz .LBB96_21
; %bb.20:
	ds_load_b32 v32, v13
	s_waitcnt lgkmcnt(0)
	v_mov_b32_dpp v33, v32 row_shr:1 row_mask:0xf bank_mask:0xf
	s_delay_alu instid0(VALU_DEP_1) | instskip(NEXT) | instid1(VALU_DEP_1)
	v_cndmask_b32_e64 v33, v33, 0, s5
	v_add_nc_u32_e32 v32, v33, v32
	s_delay_alu instid0(VALU_DEP_1) | instskip(NEXT) | instid1(VALU_DEP_1)
	v_mov_b32_dpp v33, v32 row_shr:2 row_mask:0xf bank_mask:0xf
	v_cndmask_b32_e64 v33, 0, v33, s6
	s_delay_alu instid0(VALU_DEP_1) | instskip(NEXT) | instid1(VALU_DEP_1)
	v_add_nc_u32_e32 v32, v32, v33
	v_mov_b32_dpp v33, v32 row_shr:4 row_mask:0xf bank_mask:0xf
	s_delay_alu instid0(VALU_DEP_1) | instskip(NEXT) | instid1(VALU_DEP_1)
	v_cndmask_b32_e64 v33, 0, v33, s7
	v_add_nc_u32_e32 v32, v32, v33
	s_delay_alu instid0(VALU_DEP_1) | instskip(NEXT) | instid1(VALU_DEP_1)
	v_mov_b32_dpp v33, v32 row_shr:8 row_mask:0xf bank_mask:0xf
	v_cndmask_b32_e64 v33, 0, v33, s8
	s_delay_alu instid0(VALU_DEP_1) | instskip(SKIP_3) | instid1(VALU_DEP_1)
	v_add_nc_u32_e32 v32, v32, v33
	ds_swizzle_b32 v33, v32 offset:swizzle(BROADCAST,32,15)
	s_waitcnt lgkmcnt(0)
	v_cndmask_b32_e64 v33, v33, 0, s9
	v_add_nc_u32_e32 v32, v32, v33
	ds_store_b32 v13, v32
.LBB96_21:
	s_or_b32 exec_lo, exec_lo, s35
	v_mov_b32_e32 v32, 0
	s_waitcnt lgkmcnt(0)
	s_barrier
	buffer_gl0_inv
	s_and_saveexec_b32 s5, s10
	s_cbranch_execz .LBB96_23
; %bb.22:
	v_lshl_add_u32 v31, v31, 2, -4
	ds_load_b32 v32, v31
.LBB96_23:
	s_or_b32 exec_lo, exec_lo, s5
	v_add_nc_u32_e32 v31, -1, v12
	s_waitcnt lgkmcnt(0)
	v_add_nc_u32_e32 v30, v32, v30
	s_delay_alu instid0(VALU_DEP_2) | instskip(NEXT) | instid1(VALU_DEP_1)
	v_cmp_gt_i32_e64 s5, 0, v31
	v_cndmask_b32_e64 v31, v31, v12, s5
	v_cmp_eq_u32_e64 s5, 0, v12
	s_delay_alu instid0(VALU_DEP_2) | instskip(SKIP_4) | instid1(VALU_DEP_1)
	v_lshlrev_b32_e32 v31, 2, v31
	ds_bpermute_b32 v30, v31, v30
	s_waitcnt lgkmcnt(0)
	v_cndmask_b32_e64 v30, v30, v32, s5
	v_cmp_ne_u32_e64 s5, 0, v5
	v_cndmask_b32_e64 v30, 0, v30, s5
	v_cmp_gt_u32_e64 s5, 0x100, v5
	s_delay_alu instid0(VALU_DEP_2) | instskip(NEXT) | instid1(VALU_DEP_1)
	v_add_nc_u32_e32 v8, v30, v8
	v_add_nc_u32_e32 v9, v8, v9
	s_delay_alu instid0(VALU_DEP_1) | instskip(NEXT) | instid1(VALU_DEP_1)
	v_add_nc_u32_e32 v6, v9, v6
	v_add_nc_u32_e32 v7, v6, v7
	s_delay_alu instid0(VALU_DEP_1) | instskip(NEXT) | instid1(VALU_DEP_1)
	;; [unrolled: 3-line block ×3, first 2 shown]
	v_add_nc_u32_e32 v1, v4, v1
	v_add_nc_u32_e32 v2, v1, v2
	ds_store_2addr_b32 v16, v30, v8 offset0:32 offset1:33
	ds_store_2addr_b32 v29, v9, v6 offset0:2 offset1:3
	ds_store_2addr_b32 v29, v7, v3 offset0:4 offset1:5
	ds_store_2addr_b32 v29, v4, v1 offset0:6 offset1:7
	ds_store_b32 v29, v2 offset:32
	s_waitcnt lgkmcnt(0)
	s_barrier
	buffer_gl0_inv
	ds_load_b32 v1, v17 offset:128
	ds_load_b32 v2, v21 offset:128
	;; [unrolled: 1-line block ×4, first 2 shown]
                                        ; implicit-def: $vgpr16
                                        ; implicit-def: $vgpr17
	s_and_saveexec_b32 s7, s5
	s_cbranch_execz .LBB96_27
; %bb.24:
	v_mul_u32_u24_e32 v6, 33, v5
	s_mov_b32 s8, exec_lo
	s_delay_alu instid0(VALU_DEP_1)
	v_dual_mov_b32 v6, 0x1000 :: v_dual_lshlrev_b32 v7, 2, v6
	ds_load_b32 v16, v7 offset:128
	v_cmpx_ne_u32_e32 0xff, v5
	s_cbranch_execz .LBB96_26
; %bb.25:
	ds_load_b32 v6, v7 offset:260
.LBB96_26:
	s_or_b32 exec_lo, exec_lo, s8
	s_waitcnt lgkmcnt(0)
	v_sub_nc_u32_e32 v17, v6, v16
.LBB96_27:
	s_or_b32 exec_lo, exec_lo, s7
	s_waitcnt lgkmcnt(3)
	v_add_nc_u32_e32 v21, v1, v14
	s_waitcnt lgkmcnt(2)
	v_add3_u32 v19, v19, v18, v2
	s_waitcnt lgkmcnt(1)
	v_add3_u32 v18, v23, v22, v3
	;; [unrolled: 2-line block ×3, first 2 shown]
	v_lshlrev_b32_e32 v1, 2, v21
	v_lshlrev_b32_e32 v2, 2, v19
	;; [unrolled: 1-line block ×3, first 2 shown]
	s_delay_alu instid0(VALU_DEP_4)
	v_lshlrev_b32_e32 v4, 2, v14
	s_barrier
	buffer_gl0_inv
	ds_store_b32 v1, v11 offset:2048
	ds_store_b32 v2, v15 offset:2048
	;; [unrolled: 1-line block ×4, first 2 shown]
	s_waitcnt lgkmcnt(0)
	s_barrier
	buffer_gl0_inv
	s_and_saveexec_b32 s7, s5
	s_cbranch_execz .LBB96_37
; %bb.28:
	v_lshl_or_b32 v3, s15, 8, v5
	v_mov_b32_e32 v4, 0
	v_mov_b32_e32 v8, 0
	s_mov_b32 s8, 0
	s_mov_b32 s9, s15
	s_delay_alu instid0(VALU_DEP_2) | instskip(SKIP_1) | instid1(VALU_DEP_2)
	v_lshlrev_b64 v[1:2], 2, v[3:4]
	v_or_b32_e32 v3, 2.0, v17
	v_add_co_u32 v1, s6, s12, v1
	s_delay_alu instid0(VALU_DEP_1)
	v_add_co_ci_u32_e64 v2, s6, s13, v2, s6
                                        ; implicit-def: $sgpr6
	global_store_b32 v[1:2], v3, off
	s_branch .LBB96_30
	.p2align	6
.LBB96_29:                              ;   in Loop: Header=BB96_30 Depth=1
	s_or_b32 exec_lo, exec_lo, s10
	v_and_b32_e32 v6, 0x3fffffff, v9
	v_cmp_eq_u32_e64 s6, 0x80000000, v3
	s_delay_alu instid0(VALU_DEP_2) | instskip(NEXT) | instid1(VALU_DEP_2)
	v_add_nc_u32_e32 v8, v6, v8
	s_and_b32 s10, exec_lo, s6
	s_delay_alu instid0(SALU_CYCLE_1) | instskip(NEXT) | instid1(SALU_CYCLE_1)
	s_or_b32 s8, s10, s8
	s_and_not1_b32 exec_lo, exec_lo, s8
	s_cbranch_execz .LBB96_36
.LBB96_30:                              ; =>This Loop Header: Depth=1
                                        ;     Child Loop BB96_33 Depth 2
	s_or_b32 s6, s6, exec_lo
	s_cmp_eq_u32 s9, 0
	s_cbranch_scc1 .LBB96_35
; %bb.31:                               ;   in Loop: Header=BB96_30 Depth=1
	s_add_i32 s9, s9, -1
	s_mov_b32 s10, exec_lo
	v_lshl_or_b32 v3, s9, 8, v5
	s_delay_alu instid0(VALU_DEP_1) | instskip(NEXT) | instid1(VALU_DEP_1)
	v_lshlrev_b64 v[6:7], 2, v[3:4]
	v_add_co_u32 v6, s6, s12, v6
	s_delay_alu instid0(VALU_DEP_1) | instskip(SKIP_3) | instid1(VALU_DEP_1)
	v_add_co_ci_u32_e64 v7, s6, s13, v7, s6
	global_load_b32 v9, v[6:7], off glc
	s_waitcnt vmcnt(0)
	v_and_b32_e32 v3, -2.0, v9
	v_cmpx_eq_u32_e32 0, v3
	s_cbranch_execz .LBB96_29
; %bb.32:                               ;   in Loop: Header=BB96_30 Depth=1
	s_mov_b32 s11, 0
.LBB96_33:                              ;   Parent Loop BB96_30 Depth=1
                                        ; =>  This Inner Loop Header: Depth=2
	global_load_b32 v9, v[6:7], off glc
	s_waitcnt vmcnt(0)
	v_and_b32_e32 v3, -2.0, v9
	s_delay_alu instid0(VALU_DEP_1) | instskip(NEXT) | instid1(VALU_DEP_1)
	v_cmp_ne_u32_e64 s6, 0, v3
	s_or_b32 s11, s6, s11
	s_delay_alu instid0(SALU_CYCLE_1)
	s_and_not1_b32 exec_lo, exec_lo, s11
	s_cbranch_execnz .LBB96_33
; %bb.34:                               ;   in Loop: Header=BB96_30 Depth=1
	s_or_b32 exec_lo, exec_lo, s11
	s_branch .LBB96_29
.LBB96_35:                              ;   in Loop: Header=BB96_30 Depth=1
                                        ; implicit-def: $sgpr9
	s_and_b32 s10, exec_lo, s6
	s_delay_alu instid0(SALU_CYCLE_1) | instskip(NEXT) | instid1(SALU_CYCLE_1)
	s_or_b32 s8, s10, s8
	s_and_not1_b32 exec_lo, exec_lo, s8
	s_cbranch_execnz .LBB96_30
.LBB96_36:
	s_or_b32 exec_lo, exec_lo, s8
	v_add_nc_u32_e32 v3, v8, v17
	v_lshlrev_b32_e32 v4, 3, v5
	s_delay_alu instid0(VALU_DEP_2) | instskip(SKIP_3) | instid1(VALU_DEP_1)
	v_or_b32_e32 v3, 0x80000000, v3
	global_store_b32 v[1:2], v3, off
	global_load_b64 v[1:2], v4, s[24:25]
	v_sub_co_u32 v3, s6, v8, v16
	v_sub_co_ci_u32_e64 v6, null, 0, 0, s6
	s_waitcnt vmcnt(0)
	s_delay_alu instid0(VALU_DEP_2) | instskip(NEXT) | instid1(VALU_DEP_1)
	v_add_co_u32 v1, s6, v3, v1
	v_add_co_ci_u32_e64 v2, s6, v6, v2, s6
	ds_store_b64 v4, v[1:2]
.LBB96_37:
	s_or_b32 exec_lo, exec_lo, s7
	v_cmp_gt_u32_e64 s6, s34, v5
	s_waitcnt lgkmcnt(0)
	s_waitcnt_vscnt null, 0x0
	s_barrier
	buffer_gl0_inv
	s_and_saveexec_b32 s8, s6
	s_cbranch_execz .LBB96_39
; %bb.38:
	ds_load_b32 v3, v13 offset:2048
	s_waitcnt lgkmcnt(0)
	v_lshrrev_b32_e32 v1, s28, v3
	v_xor_b32_e32 v3, 0x80000000, v3
	s_delay_alu instid0(VALU_DEP_2) | instskip(NEXT) | instid1(VALU_DEP_1)
	v_and_b32_e32 v1, s33, v1
	v_lshlrev_b32_e32 v1, 3, v1
	ds_load_b64 v[1:2], v1
	s_waitcnt lgkmcnt(0)
	v_lshlrev_b64 v[1:2], 2, v[1:2]
	s_delay_alu instid0(VALU_DEP_1) | instskip(NEXT) | instid1(VALU_DEP_1)
	v_add_co_u32 v1, s7, s18, v1
	v_add_co_ci_u32_e64 v2, s7, s19, v2, s7
	s_delay_alu instid0(VALU_DEP_2) | instskip(NEXT) | instid1(VALU_DEP_1)
	v_add_co_u32 v1, s7, v1, v13
	v_add_co_ci_u32_e64 v2, s7, 0, v2, s7
	global_store_b32 v[1:2], v3, off
.LBB96_39:
	s_or_b32 exec_lo, exec_lo, s8
	v_or_b32_e32 v15, 0x400, v5
	s_delay_alu instid0(VALU_DEP_1) | instskip(NEXT) | instid1(VALU_DEP_1)
	v_cmp_gt_u32_e64 s7, s34, v15
	s_and_saveexec_b32 s9, s7
	s_cbranch_execz .LBB96_41
; %bb.40:
	ds_load_b32 v3, v13 offset:6144
	v_lshlrev_b32_e32 v4, 2, v15
	s_waitcnt lgkmcnt(0)
	v_lshrrev_b32_e32 v1, s28, v3
	v_xor_b32_e32 v3, 0x80000000, v3
	s_delay_alu instid0(VALU_DEP_2) | instskip(NEXT) | instid1(VALU_DEP_1)
	v_and_b32_e32 v1, s33, v1
	v_lshlrev_b32_e32 v1, 3, v1
	ds_load_b64 v[1:2], v1
	s_waitcnt lgkmcnt(0)
	v_lshlrev_b64 v[1:2], 2, v[1:2]
	s_delay_alu instid0(VALU_DEP_1) | instskip(NEXT) | instid1(VALU_DEP_1)
	v_add_co_u32 v1, s8, s18, v1
	v_add_co_ci_u32_e64 v2, s8, s19, v2, s8
	s_delay_alu instid0(VALU_DEP_2) | instskip(NEXT) | instid1(VALU_DEP_1)
	v_add_co_u32 v1, s8, v1, v4
	v_add_co_ci_u32_e64 v2, s8, 0, v2, s8
	global_store_b32 v[1:2], v3, off
.LBB96_41:
	s_or_b32 exec_lo, exec_lo, s9
	v_or_b32_e32 v20, 0x800, v5
	s_delay_alu instid0(VALU_DEP_1) | instskip(NEXT) | instid1(VALU_DEP_1)
	v_cmp_gt_u32_e64 s8, s34, v20
	s_and_saveexec_b32 s10, s8
	s_cbranch_execz .LBB96_43
; %bb.42:
	ds_load_b32 v3, v13 offset:10240
	v_lshlrev_b32_e32 v4, 2, v20
	s_waitcnt lgkmcnt(0)
	v_lshrrev_b32_e32 v1, s28, v3
	v_xor_b32_e32 v3, 0x80000000, v3
	s_delay_alu instid0(VALU_DEP_2) | instskip(NEXT) | instid1(VALU_DEP_1)
	v_and_b32_e32 v1, s33, v1
	v_lshlrev_b32_e32 v1, 3, v1
	ds_load_b64 v[1:2], v1
	s_waitcnt lgkmcnt(0)
	v_lshlrev_b64 v[1:2], 2, v[1:2]
	s_delay_alu instid0(VALU_DEP_1) | instskip(NEXT) | instid1(VALU_DEP_1)
	v_add_co_u32 v1, s9, s18, v1
	v_add_co_ci_u32_e64 v2, s9, s19, v2, s9
	s_delay_alu instid0(VALU_DEP_2) | instskip(NEXT) | instid1(VALU_DEP_1)
	v_add_co_u32 v1, s9, v1, v4
	v_add_co_ci_u32_e64 v2, s9, 0, v2, s9
	global_store_b32 v[1:2], v3, off
.LBB96_43:
	;; [unrolled: 26-line block ×3, first 2 shown]
	s_or_b32 exec_lo, exec_lo, s11
	v_lshlrev_b32_e32 v1, 3, v12
	s_lshl_b64 s[10:11], s[30:31], 3
	v_lshlrev_b32_e32 v2, 3, v10
	s_add_u32 s10, s20, s10
	s_addc_u32 s11, s21, s11
	v_add_co_u32 v1, s10, s10, v1
	s_delay_alu instid0(VALU_DEP_1) | instskip(NEXT) | instid1(VALU_DEP_2)
	v_add_co_ci_u32_e64 v3, null, s11, 0, s10
	v_add_co_u32 v10, s10, v1, v2
	s_delay_alu instid0(VALU_DEP_1) | instskip(SKIP_1) | instid1(SALU_CYCLE_1)
	v_add_co_ci_u32_e64 v11, s10, 0, v3, s10
                                        ; implicit-def: $vgpr1_vgpr2
	s_and_saveexec_b32 s10, vcc_lo
	s_xor_b32 s10, exec_lo, s10
	s_cbranch_execnz .LBB96_103
; %bb.46:
	s_or_b32 exec_lo, exec_lo, s10
                                        ; implicit-def: $vgpr3_vgpr4
	s_and_saveexec_b32 s10, s2
	s_cbranch_execnz .LBB96_104
.LBB96_47:
	s_or_b32 exec_lo, exec_lo, s10
                                        ; implicit-def: $vgpr6_vgpr7
	s_and_saveexec_b32 s2, s3
	s_cbranch_execnz .LBB96_105
.LBB96_48:
	s_or_b32 exec_lo, exec_lo, s2
                                        ; implicit-def: $vgpr8_vgpr9
	s_and_saveexec_b32 s2, s4
	s_cbranch_execz .LBB96_50
.LBB96_49:
	global_load_b64 v[8:9], v[10:11], off offset:768
.LBB96_50:
	s_or_b32 exec_lo, exec_lo, s2
	v_dual_mov_b32 v11, 0 :: v_dual_mov_b32 v24, 0
	s_and_saveexec_b32 s2, s6
	s_cbranch_execz .LBB96_52
; %bb.51:
	ds_load_b32 v10, v13 offset:2048
	s_waitcnt lgkmcnt(0)
	v_lshrrev_b32_e32 v10, s28, v10
	s_delay_alu instid0(VALU_DEP_1)
	v_and_b32_e32 v24, s33, v10
.LBB96_52:
	s_or_b32 exec_lo, exec_lo, s2
	s_and_saveexec_b32 s2, s7
	s_cbranch_execz .LBB96_54
; %bb.53:
	ds_load_b32 v10, v13 offset:6144
	s_waitcnt lgkmcnt(0)
	v_lshrrev_b32_e32 v10, s28, v10
	s_delay_alu instid0(VALU_DEP_1)
	v_and_b32_e32 v11, s33, v10
.LBB96_54:
	s_or_b32 exec_lo, exec_lo, s2
	v_dual_mov_b32 v10, 0 :: v_dual_mov_b32 v23, 0
	s_and_saveexec_b32 s2, s8
	s_cbranch_execz .LBB96_56
; %bb.55:
	ds_load_b32 v23, v13 offset:10240
	s_waitcnt lgkmcnt(0)
	v_lshrrev_b32_e32 v23, s28, v23
	s_delay_alu instid0(VALU_DEP_1)
	v_and_b32_e32 v23, s33, v23
.LBB96_56:
	s_or_b32 exec_lo, exec_lo, s2
	s_and_saveexec_b32 s2, s9
	s_cbranch_execz .LBB96_58
; %bb.57:
	ds_load_b32 v10, v13 offset:14336
	s_waitcnt lgkmcnt(0)
	v_lshrrev_b32_e32 v10, s28, v10
	s_delay_alu instid0(VALU_DEP_1)
	v_and_b32_e32 v10, s33, v10
.LBB96_58:
	s_or_b32 exec_lo, exec_lo, s2
	v_lshlrev_b32_e32 v13, 3, v21
	v_lshlrev_b32_e32 v19, 3, v19
	;; [unrolled: 1-line block ×3, first 2 shown]
	s_waitcnt vmcnt(0)
	s_waitcnt_vscnt null, 0x0
	s_barrier
	buffer_gl0_inv
	v_lshlrev_b32_e32 v14, 3, v14
	ds_store_b64 v13, v[1:2] offset:2048
	ds_store_b64 v19, v[3:4] offset:2048
	;; [unrolled: 1-line block ×3, first 2 shown]
	v_lshlrev_b32_e32 v1, 3, v5
	ds_store_b64 v14, v[8:9] offset:2048
	s_waitcnt lgkmcnt(0)
	s_barrier
	buffer_gl0_inv
	s_and_saveexec_b32 s2, s6
	s_cbranch_execnz .LBB96_106
; %bb.59:
	s_or_b32 exec_lo, exec_lo, s2
	s_and_saveexec_b32 s2, s7
	s_cbranch_execnz .LBB96_107
.LBB96_60:
	s_or_b32 exec_lo, exec_lo, s2
	s_and_saveexec_b32 s2, s8
	s_cbranch_execnz .LBB96_108
.LBB96_61:
	s_or_b32 exec_lo, exec_lo, s2
	s_and_saveexec_b32 s2, s9
	s_cbranch_execz .LBB96_63
.LBB96_62:
	v_lshlrev_b32_e32 v2, 3, v10
	ds_load_b64 v[2:3], v2
	ds_load_b64 v[6:7], v1 offset:26624
	s_waitcnt lgkmcnt(1)
	v_lshlrev_b64 v[1:2], 3, v[2:3]
	v_lshlrev_b32_e32 v3, 3, v22
	s_delay_alu instid0(VALU_DEP_2) | instskip(NEXT) | instid1(VALU_DEP_3)
	v_add_co_u32 v1, vcc_lo, s22, v1
	v_add_co_ci_u32_e32 v2, vcc_lo, s23, v2, vcc_lo
	s_delay_alu instid0(VALU_DEP_2) | instskip(NEXT) | instid1(VALU_DEP_2)
	v_add_co_u32 v1, vcc_lo, v1, v3
	v_add_co_ci_u32_e32 v2, vcc_lo, 0, v2, vcc_lo
	s_waitcnt lgkmcnt(0)
	global_store_b64 v[1:2], v[6:7], off
.LBB96_63:
	s_or_b32 exec_lo, exec_lo, s2
	s_add_i32 s14, s14, -1
	s_mov_b32 s2, 0
	s_cmp_eq_u32 s15, s14
	s_mov_b32 s8, 0
	s_cselect_b32 s3, -1, 0
                                        ; implicit-def: $vgpr2_vgpr3
	s_delay_alu instid0(SALU_CYCLE_1) | instskip(NEXT) | instid1(SALU_CYCLE_1)
	s_and_b32 s3, s5, s3
	s_and_saveexec_b32 s4, s3
	s_delay_alu instid0(SALU_CYCLE_1)
	s_xor_b32 s3, exec_lo, s4
; %bb.64:
	v_add_co_u32 v2, s4, v16, v17
	v_mov_b32_e32 v6, 0
	v_add_co_ci_u32_e64 v3, null, 0, 0, s4
	s_mov_b32 s8, exec_lo
; %bb.65:
	s_or_b32 exec_lo, exec_lo, s3
	s_delay_alu instid0(SALU_CYCLE_1)
	s_and_b32 vcc_lo, exec_lo, s2
	s_cbranch_vccnz .LBB96_67
	s_branch .LBB96_100
.LBB96_66:
	s_mov_b32 s8, 0
                                        ; implicit-def: $vgpr2_vgpr3
	s_cbranch_execz .LBB96_100
.LBB96_67:
	v_dual_mov_b32 v9, 0 :: v_dual_lshlrev_b32 v4, 2, v5
	s_lshl_b32 s6, s15, 12
	s_mov_b32 s7, 0
	v_lshlrev_b32_e32 v1, 2, v12
	s_delay_alu instid0(VALU_DEP_2) | instskip(SKIP_1) | instid1(SALU_CYCLE_1)
	v_and_b32_e32 v10, 0xf80, v4
	s_lshl_b64 s[2:3], s[6:7], 2
	s_add_u32 s2, s16, s2
	s_addc_u32 s3, s17, s3
	s_delay_alu instid0(VALU_DEP_1) | instskip(SKIP_1) | instid1(VALU_DEP_1)
	v_lshlrev_b32_e32 v2, 2, v10
	v_add_co_u32 v1, s2, s2, v1
	v_add_co_ci_u32_e64 v3, null, s3, 0, s2
	s_delay_alu instid0(VALU_DEP_2) | instskip(NEXT) | instid1(VALU_DEP_2)
	v_add_co_u32 v6, vcc_lo, v1, v2
	v_add_co_ci_u32_e32 v7, vcc_lo, 0, v3, vcc_lo
	global_load_b32 v8, v[6:7], off
	s_clause 0x1
	s_load_b32 s2, s[0:1], 0x5c
	s_load_b32 s9, s[0:1], 0x50
	s_add_u32 s0, s0, 0x50
	s_addc_u32 s1, s1, 0
	s_waitcnt lgkmcnt(0)
	s_lshr_b32 s2, s2, 16
	s_cmp_lt_u32 s15, s9
	s_cselect_b32 s3, 12, 18
	s_delay_alu instid0(SALU_CYCLE_1)
	s_add_u32 s0, s0, s3
	s_addc_u32 s1, s1, 0
	global_load_u16 v13, v9, s[0:1]
	s_clause 0x2
	global_load_b32 v3, v[6:7], off offset:128
	global_load_b32 v2, v[6:7], off offset:256
	;; [unrolled: 1-line block ×3, first 2 shown]
	s_lshl_b32 s0, -1, s29
	s_delay_alu instid0(SALU_CYCLE_1) | instskip(SKIP_2) | instid1(VALU_DEP_1)
	s_not_b32 s10, s0
	s_waitcnt vmcnt(4)
	v_xor_b32_e32 v11, 0x80000000, v8
	v_lshrrev_b32_e32 v6, s28, v11
	s_delay_alu instid0(VALU_DEP_1) | instskip(SKIP_2) | instid1(VALU_DEP_3)
	v_and_b32_e32 v14, s10, v6
	v_bfe_u32 v6, v0, 10, 10
	v_bfe_u32 v0, v0, 20, 10
	v_and_b32_e32 v7, 1, v14
	v_lshlrev_b32_e32 v8, 30, v14
	v_lshlrev_b32_e32 v15, 29, v14
	;; [unrolled: 1-line block ×4, first 2 shown]
	v_add_co_u32 v7, s0, v7, -1
	s_delay_alu instid0(VALU_DEP_1)
	v_cndmask_b32_e64 v17, 0, 1, s0
	v_not_b32_e32 v21, v8
	v_cmp_gt_i32_e64 s0, 0, v8
	v_not_b32_e32 v8, v15
	v_lshlrev_b32_e32 v19, 26, v14
	v_cmp_ne_u32_e32 vcc_lo, 0, v17
	v_ashrrev_i32_e32 v21, 31, v21
	v_lshlrev_b32_e32 v20, 25, v14
	v_ashrrev_i32_e32 v8, 31, v8
	v_lshlrev_b32_e32 v17, 24, v14
	v_xor_b32_e32 v7, vcc_lo, v7
	v_cmp_gt_i32_e32 vcc_lo, 0, v15
	v_not_b32_e32 v15, v16
	v_xor_b32_e32 v21, s0, v21
	v_cmp_gt_i32_e64 s0, 0, v16
	v_and_b32_e32 v7, exec_lo, v7
	v_not_b32_e32 v16, v18
	v_ashrrev_i32_e32 v15, 31, v15
	v_xor_b32_e32 v8, vcc_lo, v8
	v_cmp_gt_i32_e32 vcc_lo, 0, v18
	v_and_b32_e32 v7, v7, v21
	v_not_b32_e32 v18, v19
	v_ashrrev_i32_e32 v16, 31, v16
	v_xor_b32_e32 v15, s0, v15
	v_cmp_gt_i32_e64 s0, 0, v19
	v_and_b32_e32 v7, v7, v8
	v_not_b32_e32 v8, v20
	v_ashrrev_i32_e32 v18, 31, v18
	v_xor_b32_e32 v16, vcc_lo, v16
	v_cmp_gt_i32_e32 vcc_lo, 0, v20
	v_and_b32_e32 v7, v7, v15
	v_not_b32_e32 v15, v17
	v_ashrrev_i32_e32 v8, 31, v8
	v_xor_b32_e32 v18, s0, v18
	v_cmp_gt_i32_e64 s0, 0, v17
	v_and_b32_e32 v7, v7, v16
	v_ashrrev_i32_e32 v15, 31, v15
	v_xor_b32_e32 v8, vcc_lo, v8
	v_mad_u32_u24 v0, v0, s2, v6
	v_mul_u32_u24_e32 v16, 9, v5
	v_and_b32_e32 v7, v7, v18
	v_xor_b32_e32 v6, s0, v15
	s_delay_alu instid0(VALU_DEP_3) | instskip(NEXT) | instid1(VALU_DEP_3)
	v_lshlrev_b32_e32 v15, 2, v16
	v_and_b32_e32 v17, v7, v8
	s_waitcnt vmcnt(3)
	s_delay_alu instid0(VALU_DEP_3)
	v_mad_u64_u32 v[7:8], null, v0, v13, v[5:6]
	v_lshl_add_u32 v8, v14, 5, v14
	ds_store_2addr_b32 v15, v9, v9 offset0:32 offset1:33
	ds_store_2addr_b32 v15, v9, v9 offset0:34 offset1:35
	;; [unrolled: 1-line block ×4, first 2 shown]
	v_and_b32_e32 v6, v17, v6
	ds_store_b32 v15, v9 offset:160
	s_waitcnt vmcnt(0) lgkmcnt(0)
	s_waitcnt_vscnt null, 0x0
	s_barrier
	v_lshrrev_b32_e32 v0, 5, v7
	v_mbcnt_lo_u32_b32 v13, v6, 0
	v_cmp_ne_u32_e64 s0, 0, v6
	buffer_gl0_inv
	v_add_lshl_u32 v16, v0, v8, 2
	v_cmp_eq_u32_e32 vcc_lo, 0, v13
	; wave barrier
	s_and_b32 s1, s0, vcc_lo
	s_delay_alu instid0(SALU_CYCLE_1)
	s_and_saveexec_b32 s0, s1
	s_cbranch_execz .LBB96_69
; %bb.68:
	v_bcnt_u32_b32 v6, v6, 0
	ds_store_b32 v16, v6 offset:128
.LBB96_69:
	s_or_b32 exec_lo, exec_lo, s0
	v_xor_b32_e32 v14, 0x80000000, v3
	; wave barrier
	s_delay_alu instid0(VALU_DEP_1) | instskip(NEXT) | instid1(VALU_DEP_1)
	v_lshrrev_b32_e32 v3, s28, v14
	v_and_b32_e32 v3, s10, v3
	s_delay_alu instid0(VALU_DEP_1)
	v_and_b32_e32 v6, 1, v3
	v_lshlrev_b32_e32 v7, 30, v3
	v_lshlrev_b32_e32 v8, 29, v3
	;; [unrolled: 1-line block ×4, first 2 shown]
	v_add_co_u32 v6, s0, v6, -1
	s_delay_alu instid0(VALU_DEP_1)
	v_cndmask_b32_e64 v17, 0, 1, s0
	v_not_b32_e32 v21, v7
	v_cmp_gt_i32_e64 s0, 0, v7
	v_not_b32_e32 v7, v8
	v_lshlrev_b32_e32 v19, 26, v3
	v_cmp_ne_u32_e32 vcc_lo, 0, v17
	v_ashrrev_i32_e32 v21, 31, v21
	v_lshlrev_b32_e32 v20, 25, v3
	v_ashrrev_i32_e32 v7, 31, v7
	v_lshlrev_b32_e32 v17, 24, v3
	v_xor_b32_e32 v6, vcc_lo, v6
	v_cmp_gt_i32_e32 vcc_lo, 0, v8
	v_not_b32_e32 v8, v9
	v_xor_b32_e32 v21, s0, v21
	v_cmp_gt_i32_e64 s0, 0, v9
	v_and_b32_e32 v6, exec_lo, v6
	v_not_b32_e32 v9, v18
	v_ashrrev_i32_e32 v8, 31, v8
	v_xor_b32_e32 v7, vcc_lo, v7
	v_cmp_gt_i32_e32 vcc_lo, 0, v18
	v_and_b32_e32 v6, v6, v21
	v_not_b32_e32 v18, v19
	v_ashrrev_i32_e32 v9, 31, v9
	v_xor_b32_e32 v8, s0, v8
	v_cmp_gt_i32_e64 s0, 0, v19
	v_and_b32_e32 v6, v6, v7
	v_not_b32_e32 v7, v20
	v_ashrrev_i32_e32 v18, 31, v18
	v_xor_b32_e32 v9, vcc_lo, v9
	v_cmp_gt_i32_e32 vcc_lo, 0, v20
	v_and_b32_e32 v6, v6, v8
	v_not_b32_e32 v8, v17
	v_ashrrev_i32_e32 v7, 31, v7
	v_xor_b32_e32 v18, s0, v18
	v_lshl_add_u32 v3, v3, 5, v3
	v_and_b32_e32 v6, v6, v9
	v_cmp_gt_i32_e64 s0, 0, v17
	v_ashrrev_i32_e32 v8, 31, v8
	v_xor_b32_e32 v7, vcc_lo, v7
	v_add_lshl_u32 v20, v0, v3, 2
	v_and_b32_e32 v6, v6, v18
	s_delay_alu instid0(VALU_DEP_4) | instskip(SKIP_2) | instid1(VALU_DEP_1)
	v_xor_b32_e32 v3, s0, v8
	ds_load_b32 v17, v20 offset:128
	v_and_b32_e32 v6, v6, v7
	; wave barrier
	v_and_b32_e32 v3, v6, v3
	s_delay_alu instid0(VALU_DEP_1) | instskip(SKIP_1) | instid1(VALU_DEP_2)
	v_mbcnt_lo_u32_b32 v18, v3, 0
	v_cmp_ne_u32_e64 s0, 0, v3
	v_cmp_eq_u32_e32 vcc_lo, 0, v18
	s_delay_alu instid0(VALU_DEP_2) | instskip(NEXT) | instid1(SALU_CYCLE_1)
	s_and_b32 s1, s0, vcc_lo
	s_and_saveexec_b32 s0, s1
	s_cbranch_execz .LBB96_71
; %bb.70:
	s_waitcnt lgkmcnt(0)
	v_bcnt_u32_b32 v3, v3, v17
	ds_store_b32 v20, v3 offset:128
.LBB96_71:
	s_or_b32 exec_lo, exec_lo, s0
	v_xor_b32_e32 v19, 0x80000000, v2
	; wave barrier
	s_delay_alu instid0(VALU_DEP_1) | instskip(NEXT) | instid1(VALU_DEP_1)
	v_lshrrev_b32_e32 v2, s28, v19
	v_and_b32_e32 v2, s10, v2
	s_delay_alu instid0(VALU_DEP_1)
	v_and_b32_e32 v3, 1, v2
	v_lshlrev_b32_e32 v6, 30, v2
	v_lshlrev_b32_e32 v7, 29, v2
	;; [unrolled: 1-line block ×4, first 2 shown]
	v_add_co_u32 v3, s0, v3, -1
	s_delay_alu instid0(VALU_DEP_1)
	v_cndmask_b32_e64 v9, 0, 1, s0
	v_not_b32_e32 v24, v6
	v_cmp_gt_i32_e64 s0, 0, v6
	v_not_b32_e32 v6, v7
	v_lshlrev_b32_e32 v22, 26, v2
	v_cmp_ne_u32_e32 vcc_lo, 0, v9
	v_ashrrev_i32_e32 v24, 31, v24
	v_lshlrev_b32_e32 v23, 25, v2
	v_ashrrev_i32_e32 v6, 31, v6
	v_lshlrev_b32_e32 v9, 24, v2
	v_xor_b32_e32 v3, vcc_lo, v3
	v_cmp_gt_i32_e32 vcc_lo, 0, v7
	v_not_b32_e32 v7, v8
	v_xor_b32_e32 v24, s0, v24
	v_cmp_gt_i32_e64 s0, 0, v8
	v_and_b32_e32 v3, exec_lo, v3
	v_not_b32_e32 v8, v21
	v_ashrrev_i32_e32 v7, 31, v7
	v_xor_b32_e32 v6, vcc_lo, v6
	v_cmp_gt_i32_e32 vcc_lo, 0, v21
	v_and_b32_e32 v3, v3, v24
	v_not_b32_e32 v21, v22
	v_ashrrev_i32_e32 v8, 31, v8
	v_xor_b32_e32 v7, s0, v7
	v_cmp_gt_i32_e64 s0, 0, v22
	v_and_b32_e32 v3, v3, v6
	v_not_b32_e32 v6, v23
	v_ashrrev_i32_e32 v21, 31, v21
	v_xor_b32_e32 v8, vcc_lo, v8
	v_cmp_gt_i32_e32 vcc_lo, 0, v23
	v_and_b32_e32 v3, v3, v7
	v_not_b32_e32 v7, v9
	v_ashrrev_i32_e32 v6, 31, v6
	v_xor_b32_e32 v21, s0, v21
	v_lshl_add_u32 v2, v2, 5, v2
	v_and_b32_e32 v3, v3, v8
	v_cmp_gt_i32_e64 s0, 0, v9
	v_ashrrev_i32_e32 v7, 31, v7
	v_xor_b32_e32 v6, vcc_lo, v6
	v_add_lshl_u32 v24, v0, v2, 2
	v_and_b32_e32 v3, v3, v21
	s_delay_alu instid0(VALU_DEP_4) | instskip(SKIP_2) | instid1(VALU_DEP_1)
	v_xor_b32_e32 v2, s0, v7
	ds_load_b32 v21, v24 offset:128
	v_and_b32_e32 v3, v3, v6
	; wave barrier
	v_and_b32_e32 v2, v3, v2
	s_delay_alu instid0(VALU_DEP_1) | instskip(SKIP_1) | instid1(VALU_DEP_2)
	v_mbcnt_lo_u32_b32 v22, v2, 0
	v_cmp_ne_u32_e64 s0, 0, v2
	v_cmp_eq_u32_e32 vcc_lo, 0, v22
	s_delay_alu instid0(VALU_DEP_2) | instskip(NEXT) | instid1(SALU_CYCLE_1)
	s_and_b32 s1, s0, vcc_lo
	s_and_saveexec_b32 s0, s1
	s_cbranch_execz .LBB96_73
; %bb.72:
	s_waitcnt lgkmcnt(0)
	v_bcnt_u32_b32 v2, v2, v21
	ds_store_b32 v24, v2 offset:128
.LBB96_73:
	s_or_b32 exec_lo, exec_lo, s0
	v_xor_b32_e32 v23, 0x80000000, v1
	; wave barrier
	v_add_nc_u32_e32 v28, 0x80, v15
	s_delay_alu instid0(VALU_DEP_2) | instskip(NEXT) | instid1(VALU_DEP_1)
	v_lshrrev_b32_e32 v1, s28, v23
	v_and_b32_e32 v1, s10, v1
	s_delay_alu instid0(VALU_DEP_1)
	v_and_b32_e32 v2, 1, v1
	v_lshlrev_b32_e32 v3, 30, v1
	v_lshlrev_b32_e32 v6, 29, v1
	;; [unrolled: 1-line block ×4, first 2 shown]
	v_add_co_u32 v2, s0, v2, -1
	s_delay_alu instid0(VALU_DEP_1)
	v_cndmask_b32_e64 v8, 0, 1, s0
	v_not_b32_e32 v27, v3
	v_cmp_gt_i32_e64 s0, 0, v3
	v_not_b32_e32 v3, v6
	v_lshlrev_b32_e32 v25, 26, v1
	v_cmp_ne_u32_e32 vcc_lo, 0, v8
	v_ashrrev_i32_e32 v27, 31, v27
	v_lshlrev_b32_e32 v26, 25, v1
	v_ashrrev_i32_e32 v3, 31, v3
	v_lshlrev_b32_e32 v8, 24, v1
	v_xor_b32_e32 v2, vcc_lo, v2
	v_cmp_gt_i32_e32 vcc_lo, 0, v6
	v_not_b32_e32 v6, v7
	v_xor_b32_e32 v27, s0, v27
	v_cmp_gt_i32_e64 s0, 0, v7
	v_and_b32_e32 v2, exec_lo, v2
	v_not_b32_e32 v7, v9
	v_ashrrev_i32_e32 v6, 31, v6
	v_xor_b32_e32 v3, vcc_lo, v3
	v_cmp_gt_i32_e32 vcc_lo, 0, v9
	v_and_b32_e32 v2, v2, v27
	v_not_b32_e32 v9, v25
	v_ashrrev_i32_e32 v7, 31, v7
	v_xor_b32_e32 v6, s0, v6
	v_cmp_gt_i32_e64 s0, 0, v25
	v_and_b32_e32 v2, v2, v3
	v_not_b32_e32 v3, v26
	v_ashrrev_i32_e32 v9, 31, v9
	v_xor_b32_e32 v7, vcc_lo, v7
	v_cmp_gt_i32_e32 vcc_lo, 0, v26
	v_and_b32_e32 v2, v2, v6
	v_not_b32_e32 v6, v8
	v_ashrrev_i32_e32 v3, 31, v3
	v_xor_b32_e32 v9, s0, v9
	v_lshl_add_u32 v1, v1, 5, v1
	v_and_b32_e32 v2, v2, v7
	v_cmp_gt_i32_e64 s0, 0, v8
	v_ashrrev_i32_e32 v6, 31, v6
	v_xor_b32_e32 v3, vcc_lo, v3
	v_add_lshl_u32 v27, v0, v1, 2
	v_and_b32_e32 v2, v2, v9
	s_delay_alu instid0(VALU_DEP_4) | instskip(SKIP_2) | instid1(VALU_DEP_1)
	v_xor_b32_e32 v0, s0, v6
	ds_load_b32 v25, v27 offset:128
	v_and_b32_e32 v1, v2, v3
	; wave barrier
	v_and_b32_e32 v0, v1, v0
	s_delay_alu instid0(VALU_DEP_1) | instskip(SKIP_1) | instid1(VALU_DEP_2)
	v_mbcnt_lo_u32_b32 v26, v0, 0
	v_cmp_ne_u32_e64 s0, 0, v0
	v_cmp_eq_u32_e32 vcc_lo, 0, v26
	s_delay_alu instid0(VALU_DEP_2) | instskip(NEXT) | instid1(SALU_CYCLE_1)
	s_and_b32 s1, s0, vcc_lo
	s_and_saveexec_b32 s0, s1
	s_cbranch_execz .LBB96_75
; %bb.74:
	s_waitcnt lgkmcnt(0)
	v_bcnt_u32_b32 v0, v0, v25
	ds_store_b32 v27, v0 offset:128
.LBB96_75:
	s_or_b32 exec_lo, exec_lo, s0
	; wave barrier
	s_waitcnt lgkmcnt(0)
	s_barrier
	buffer_gl0_inv
	ds_load_2addr_b32 v[8:9], v15 offset0:32 offset1:33
	ds_load_2addr_b32 v[6:7], v28 offset0:2 offset1:3
	;; [unrolled: 1-line block ×4, first 2 shown]
	ds_load_b32 v29, v28 offset:32
	v_and_b32_e32 v32, 16, v12
	v_and_b32_e32 v33, 31, v5
	s_mov_b32 s5, exec_lo
	s_delay_alu instid0(VALU_DEP_2) | instskip(SKIP_3) | instid1(VALU_DEP_1)
	v_cmp_eq_u32_e64 s3, 0, v32
	s_waitcnt lgkmcnt(3)
	v_add3_u32 v30, v9, v8, v6
	s_waitcnt lgkmcnt(2)
	v_add3_u32 v30, v30, v7, v2
	s_waitcnt lgkmcnt(1)
	s_delay_alu instid0(VALU_DEP_1) | instskip(SKIP_1) | instid1(VALU_DEP_1)
	v_add3_u32 v30, v30, v3, v0
	s_waitcnt lgkmcnt(0)
	v_add3_u32 v29, v30, v1, v29
	v_and_b32_e32 v30, 15, v12
	s_delay_alu instid0(VALU_DEP_2) | instskip(NEXT) | instid1(VALU_DEP_2)
	v_mov_b32_dpp v31, v29 row_shr:1 row_mask:0xf bank_mask:0xf
	v_cmp_eq_u32_e32 vcc_lo, 0, v30
	v_cmp_lt_u32_e64 s0, 1, v30
	v_cmp_lt_u32_e64 s1, 3, v30
	;; [unrolled: 1-line block ×3, first 2 shown]
	v_cndmask_b32_e64 v31, v31, 0, vcc_lo
	s_delay_alu instid0(VALU_DEP_1) | instskip(NEXT) | instid1(VALU_DEP_1)
	v_add_nc_u32_e32 v29, v31, v29
	v_mov_b32_dpp v31, v29 row_shr:2 row_mask:0xf bank_mask:0xf
	s_delay_alu instid0(VALU_DEP_1) | instskip(NEXT) | instid1(VALU_DEP_1)
	v_cndmask_b32_e64 v31, 0, v31, s0
	v_add_nc_u32_e32 v29, v29, v31
	s_delay_alu instid0(VALU_DEP_1) | instskip(NEXT) | instid1(VALU_DEP_1)
	v_mov_b32_dpp v31, v29 row_shr:4 row_mask:0xf bank_mask:0xf
	v_cndmask_b32_e64 v31, 0, v31, s1
	s_delay_alu instid0(VALU_DEP_1) | instskip(NEXT) | instid1(VALU_DEP_1)
	v_add_nc_u32_e32 v29, v29, v31
	v_mov_b32_dpp v31, v29 row_shr:8 row_mask:0xf bank_mask:0xf
	s_delay_alu instid0(VALU_DEP_1) | instskip(SKIP_1) | instid1(VALU_DEP_2)
	v_cndmask_b32_e64 v30, 0, v31, s2
	v_bfe_i32 v31, v12, 4, 1
	v_add_nc_u32_e32 v29, v29, v30
	ds_swizzle_b32 v30, v29 offset:swizzle(BROADCAST,32,15)
	s_waitcnt lgkmcnt(0)
	v_and_b32_e32 v31, v31, v30
	v_lshrrev_b32_e32 v30, 5, v5
	s_delay_alu instid0(VALU_DEP_2)
	v_add_nc_u32_e32 v29, v29, v31
	v_cmpx_eq_u32_e32 31, v33
	s_cbranch_execz .LBB96_77
; %bb.76:
	s_delay_alu instid0(VALU_DEP_3)
	v_lshlrev_b32_e32 v31, 2, v30
	ds_store_b32 v31, v29
.LBB96_77:
	s_or_b32 exec_lo, exec_lo, s5
	v_cmp_lt_u32_e64 s4, 31, v5
	s_mov_b32 s11, exec_lo
	s_waitcnt lgkmcnt(0)
	s_barrier
	buffer_gl0_inv
	v_cmpx_gt_u32_e32 32, v5
	s_cbranch_execz .LBB96_79
; %bb.78:
	ds_load_b32 v31, v4
	s_waitcnt lgkmcnt(0)
	v_mov_b32_dpp v32, v31 row_shr:1 row_mask:0xf bank_mask:0xf
	s_delay_alu instid0(VALU_DEP_1) | instskip(NEXT) | instid1(VALU_DEP_1)
	v_cndmask_b32_e64 v32, v32, 0, vcc_lo
	v_add_nc_u32_e32 v31, v32, v31
	s_delay_alu instid0(VALU_DEP_1) | instskip(NEXT) | instid1(VALU_DEP_1)
	v_mov_b32_dpp v32, v31 row_shr:2 row_mask:0xf bank_mask:0xf
	v_cndmask_b32_e64 v32, 0, v32, s0
	s_delay_alu instid0(VALU_DEP_1) | instskip(NEXT) | instid1(VALU_DEP_1)
	v_add_nc_u32_e32 v31, v31, v32
	v_mov_b32_dpp v32, v31 row_shr:4 row_mask:0xf bank_mask:0xf
	s_delay_alu instid0(VALU_DEP_1) | instskip(NEXT) | instid1(VALU_DEP_1)
	v_cndmask_b32_e64 v32, 0, v32, s1
	v_add_nc_u32_e32 v31, v31, v32
	s_delay_alu instid0(VALU_DEP_1) | instskip(NEXT) | instid1(VALU_DEP_1)
	v_mov_b32_dpp v32, v31 row_shr:8 row_mask:0xf bank_mask:0xf
	v_cndmask_b32_e64 v32, 0, v32, s2
	s_delay_alu instid0(VALU_DEP_1) | instskip(SKIP_3) | instid1(VALU_DEP_1)
	v_add_nc_u32_e32 v31, v31, v32
	ds_swizzle_b32 v32, v31 offset:swizzle(BROADCAST,32,15)
	s_waitcnt lgkmcnt(0)
	v_cndmask_b32_e64 v32, v32, 0, s3
	v_add_nc_u32_e32 v31, v31, v32
	ds_store_b32 v4, v31
.LBB96_79:
	s_or_b32 exec_lo, exec_lo, s11
	v_mov_b32_e32 v31, 0
	s_waitcnt lgkmcnt(0)
	s_barrier
	buffer_gl0_inv
	s_and_saveexec_b32 s0, s4
	s_cbranch_execz .LBB96_81
; %bb.80:
	v_lshl_add_u32 v30, v30, 2, -4
	ds_load_b32 v31, v30
.LBB96_81:
	s_or_b32 exec_lo, exec_lo, s0
	v_add_nc_u32_e32 v30, -1, v12
	v_cmp_lt_u32_e64 s0, 0xff, v5
	s_waitcnt lgkmcnt(0)
	v_add_nc_u32_e32 v29, v31, v29
	s_delay_alu instid0(VALU_DEP_3) | instskip(SKIP_2) | instid1(VALU_DEP_2)
	v_cmp_gt_i32_e32 vcc_lo, 0, v30
	v_cndmask_b32_e32 v30, v30, v12, vcc_lo
	v_cmp_eq_u32_e32 vcc_lo, 0, v12
	v_lshlrev_b32_e32 v30, 2, v30
	ds_bpermute_b32 v29, v30, v29
	s_waitcnt lgkmcnt(0)
	v_cndmask_b32_e32 v29, v29, v31, vcc_lo
	v_cmp_ne_u32_e32 vcc_lo, 0, v5
	s_delay_alu instid0(VALU_DEP_2) | instskip(SKIP_1) | instid1(VALU_DEP_2)
	v_cndmask_b32_e32 v29, 0, v29, vcc_lo
	v_cmp_gt_u32_e32 vcc_lo, 0x100, v5
	v_add_nc_u32_e32 v8, v29, v8
	s_delay_alu instid0(VALU_DEP_1) | instskip(NEXT) | instid1(VALU_DEP_1)
	v_add_nc_u32_e32 v9, v8, v9
	v_add_nc_u32_e32 v6, v9, v6
	s_delay_alu instid0(VALU_DEP_1) | instskip(NEXT) | instid1(VALU_DEP_1)
	v_add_nc_u32_e32 v7, v6, v7
	;; [unrolled: 3-line block ×3, first 2 shown]
	v_add_nc_u32_e32 v0, v3, v0
	s_delay_alu instid0(VALU_DEP_1)
	v_add_nc_u32_e32 v1, v0, v1
	ds_store_2addr_b32 v15, v29, v8 offset0:32 offset1:33
	ds_store_2addr_b32 v28, v9, v6 offset0:2 offset1:3
	;; [unrolled: 1-line block ×4, first 2 shown]
	ds_store_b32 v28, v1 offset:32
	v_mov_b32_e32 v0, 0
	s_waitcnt lgkmcnt(0)
	s_barrier
	buffer_gl0_inv
	ds_load_b32 v2, v16 offset:128
	ds_load_b32 v3, v20 offset:128
	;; [unrolled: 1-line block ×4, first 2 shown]
	v_mov_b32_e32 v1, 0
                                        ; implicit-def: $vgpr15
	s_and_saveexec_b32 s2, vcc_lo
	s_cbranch_execz .LBB96_85
; %bb.82:
	v_mul_u32_u24_e32 v0, 33, v5
	s_mov_b32 s3, exec_lo
	s_delay_alu instid0(VALU_DEP_1)
	v_dual_mov_b32 v1, 0x1000 :: v_dual_lshlrev_b32 v8, 2, v0
	ds_load_b32 v0, v8 offset:128
	v_cmpx_ne_u32_e32 0xff, v5
	s_cbranch_execz .LBB96_84
; %bb.83:
	ds_load_b32 v1, v8 offset:260
.LBB96_84:
	s_or_b32 exec_lo, exec_lo, s3
	s_waitcnt lgkmcnt(0)
	v_sub_nc_u32_e32 v15, v1, v0
	v_mov_b32_e32 v1, 0
.LBB96_85:
	s_or_b32 exec_lo, exec_lo, s2
	s_waitcnt lgkmcnt(3)
	v_add_nc_u32_e32 v20, v2, v13
	s_waitcnt lgkmcnt(1)
	v_add3_u32 v16, v22, v21, v6
	v_add3_u32 v17, v18, v17, v3
	s_waitcnt lgkmcnt(0)
	v_add3_u32 v13, v26, v25, v7
	v_lshlrev_b32_e32 v2, 2, v20
	v_lshlrev_b32_e32 v6, 2, v16
	;; [unrolled: 1-line block ×3, first 2 shown]
	s_delay_alu instid0(VALU_DEP_4)
	v_lshlrev_b32_e32 v7, 2, v13
	s_barrier
	buffer_gl0_inv
	ds_store_b32 v2, v11 offset:2048
	ds_store_b32 v3, v14 offset:2048
	;; [unrolled: 1-line block ×4, first 2 shown]
	s_waitcnt lgkmcnt(0)
	s_barrier
	buffer_gl0_inv
	s_and_saveexec_b32 s1, s0
	s_delay_alu instid0(SALU_CYCLE_1)
	s_xor_b32 s0, exec_lo, s1
; %bb.86:
	v_mov_b32_e32 v6, 0
; %bb.87:
	s_and_not1_saveexec_b32 s1, s0
	s_cbranch_execz .LBB96_97
; %bb.88:
	v_lshl_or_b32 v6, s15, 8, v5
	v_mov_b32_e32 v7, 0
	v_mov_b32_e32 v11, 0
	s_mov_b32 s2, 0
	s_mov_b32 s3, s15
	s_delay_alu instid0(VALU_DEP_2) | instskip(SKIP_1) | instid1(VALU_DEP_2)
	v_lshlrev_b64 v[2:3], 2, v[6:7]
	v_or_b32_e32 v6, 2.0, v15
	v_add_co_u32 v2, s0, s12, v2
	s_delay_alu instid0(VALU_DEP_1)
	v_add_co_ci_u32_e64 v3, s0, s13, v3, s0
                                        ; implicit-def: $sgpr0
	global_store_b32 v[2:3], v6, off
	s_branch .LBB96_91
	.p2align	6
.LBB96_89:                              ;   in Loop: Header=BB96_91 Depth=1
	s_or_b32 exec_lo, exec_lo, s5
.LBB96_90:                              ;   in Loop: Header=BB96_91 Depth=1
	s_delay_alu instid0(SALU_CYCLE_1) | instskip(SKIP_2) | instid1(VALU_DEP_2)
	s_or_b32 exec_lo, exec_lo, s4
	v_and_b32_e32 v8, 0x3fffffff, v14
	v_cmp_eq_u32_e64 s0, 0x80000000, v6
	v_add_nc_u32_e32 v11, v8, v11
	s_delay_alu instid0(VALU_DEP_2) | instskip(NEXT) | instid1(SALU_CYCLE_1)
	s_and_b32 s4, exec_lo, s0
	s_or_b32 s2, s4, s2
	s_delay_alu instid0(SALU_CYCLE_1)
	s_and_not1_b32 exec_lo, exec_lo, s2
	s_cbranch_execz .LBB96_96
.LBB96_91:                              ; =>This Loop Header: Depth=1
                                        ;     Child Loop BB96_94 Depth 2
	s_or_b32 s0, s0, exec_lo
	s_cmp_eq_u32 s3, 0
	s_cbranch_scc1 .LBB96_95
; %bb.92:                               ;   in Loop: Header=BB96_91 Depth=1
	s_add_i32 s3, s3, -1
	s_mov_b32 s4, exec_lo
	v_lshl_or_b32 v6, s3, 8, v5
	s_delay_alu instid0(VALU_DEP_1) | instskip(NEXT) | instid1(VALU_DEP_1)
	v_lshlrev_b64 v[8:9], 2, v[6:7]
	v_add_co_u32 v8, s0, s12, v8
	s_delay_alu instid0(VALU_DEP_1) | instskip(SKIP_3) | instid1(VALU_DEP_1)
	v_add_co_ci_u32_e64 v9, s0, s13, v9, s0
	global_load_b32 v14, v[8:9], off glc
	s_waitcnt vmcnt(0)
	v_and_b32_e32 v6, -2.0, v14
	v_cmpx_eq_u32_e32 0, v6
	s_cbranch_execz .LBB96_90
; %bb.93:                               ;   in Loop: Header=BB96_91 Depth=1
	s_mov_b32 s5, 0
.LBB96_94:                              ;   Parent Loop BB96_91 Depth=1
                                        ; =>  This Inner Loop Header: Depth=2
	global_load_b32 v14, v[8:9], off glc
	s_waitcnt vmcnt(0)
	v_and_b32_e32 v6, -2.0, v14
	s_delay_alu instid0(VALU_DEP_1) | instskip(NEXT) | instid1(VALU_DEP_1)
	v_cmp_ne_u32_e64 s0, 0, v6
	s_or_b32 s5, s0, s5
	s_delay_alu instid0(SALU_CYCLE_1)
	s_and_not1_b32 exec_lo, exec_lo, s5
	s_cbranch_execnz .LBB96_94
	s_branch .LBB96_89
.LBB96_95:                              ;   in Loop: Header=BB96_91 Depth=1
                                        ; implicit-def: $sgpr3
	s_and_b32 s4, exec_lo, s0
	s_delay_alu instid0(SALU_CYCLE_1) | instskip(NEXT) | instid1(SALU_CYCLE_1)
	s_or_b32 s2, s4, s2
	s_and_not1_b32 exec_lo, exec_lo, s2
	s_cbranch_execnz .LBB96_91
.LBB96_96:
	s_or_b32 exec_lo, exec_lo, s2
	v_add_nc_u32_e32 v6, v11, v15
	v_lshlrev_b32_e32 v7, 3, v5
	s_delay_alu instid0(VALU_DEP_2) | instskip(SKIP_3) | instid1(VALU_DEP_1)
	v_or_b32_e32 v6, 0x80000000, v6
	global_store_b32 v[2:3], v6, off
	global_load_b64 v[2:3], v7, s[24:25]
	v_sub_co_u32 v6, s0, v11, v0
	v_sub_co_ci_u32_e64 v8, s0, 0, v1, s0
	s_waitcnt vmcnt(0)
	s_delay_alu instid0(VALU_DEP_2) | instskip(SKIP_1) | instid1(VALU_DEP_3)
	v_add_co_u32 v2, s0, v6, v2
	v_mov_b32_e32 v6, 0
	v_add_co_ci_u32_e64 v3, s0, v8, v3, s0
	ds_store_b64 v7, v[2:3]
.LBB96_97:
	s_or_b32 exec_lo, exec_lo, s1
	v_lshlrev_b32_e32 v2, 3, v12
	s_lshl_b64 s[0:1], s[6:7], 3
	v_lshlrev_b32_e32 v3, 3, v10
	s_add_u32 s0, s20, s0
	s_addc_u32 s1, s21, s1
	v_add_co_u32 v2, s0, s0, v2
	s_delay_alu instid0(VALU_DEP_1) | instskip(SKIP_2) | instid1(VALU_DEP_2)
	v_add_co_ci_u32_e64 v7, null, s1, 0, s0
	s_waitcnt lgkmcnt(0)
	s_waitcnt_vscnt null, 0x0
	v_add_co_u32 v2, s0, v2, v3
	s_delay_alu instid0(VALU_DEP_1)
	v_add_co_ci_u32_e64 v3, s0, 0, v7, s0
	s_barrier
	buffer_gl0_inv
	v_lshlrev_b32_e32 v27, 2, v5
	s_clause 0x3
	global_load_b64 v[7:8], v[2:3], off
	global_load_b64 v[9:10], v[2:3], off offset:256
	global_load_b64 v[11:12], v[2:3], off offset:512
	;; [unrolled: 1-line block ×3, first 2 shown]
	ds_load_2addr_stride64_b32 v[18:19], v4 offset0:24 offset1:40
	v_lshlrev_b32_e32 v36, 3, v20
	v_lshlrev_b32_e32 v37, 3, v17
	ds_load_b32 v28, v27 offset:2048
	v_lshlrev_b32_e32 v38, 3, v16
	v_or_b32_e32 v30, 0x400, v5
	v_or_b32_e32 v32, 0x800, v5
	;; [unrolled: 1-line block ×3, first 2 shown]
	v_lshlrev_b32_e32 v13, 3, v13
	s_add_i32 s9, s9, -1
	s_delay_alu instid0(VALU_DEP_3) | instskip(NEXT) | instid1(VALU_DEP_3)
	v_lshlrev_b32_e32 v39, 2, v32
	v_lshlrev_b32_e32 v40, 2, v33
	s_cmp_eq_u32 s15, s9
	s_cselect_b32 s1, -1, 0
	s_delay_alu instid0(SALU_CYCLE_1)
	s_and_b32 s1, vcc_lo, s1
	s_waitcnt lgkmcnt(1)
	v_lshrrev_b32_e32 v14, s28, v18
	v_lshrrev_b32_e32 v25, s28, v19
	v_xor_b32_e32 v42, 0x80000000, v18
	s_waitcnt lgkmcnt(0)
	v_lshrrev_b32_e32 v23, s28, v28
	v_xor_b32_e32 v28, 0x80000000, v28
	v_and_b32_e32 v14, s10, v14
	v_and_b32_e32 v25, s10, v25
	s_delay_alu instid0(VALU_DEP_4) | instskip(SKIP_1) | instid1(VALU_DEP_4)
	v_and_b32_e32 v26, s10, v23
	v_lshlrev_b64 v[23:24], 2, v[5:6]
	v_lshlrev_b32_e32 v14, 3, v14
	s_delay_alu instid0(VALU_DEP_4)
	v_lshlrev_b32_e32 v34, 3, v25
	ds_load_b64 v[21:22], v14
	ds_load_b32 v29, v4 offset:14336
	v_lshlrev_b32_e32 v31, 3, v26
	ds_load_b64 v[16:17], v34
	v_add3_u32 v4, 0x800, v4, v4
	ds_load_b64 v[25:26], v31
	s_waitcnt lgkmcnt(2)
	v_lshrrev_b32_e32 v35, s28, v29
	v_xor_b32_e32 v29, 0x80000000, v29
	s_delay_alu instid0(VALU_DEP_2) | instskip(SKIP_1) | instid1(VALU_DEP_2)
	v_and_b32_e32 v20, s10, v35
	v_lshlrev_b32_e32 v35, 2, v30
	v_lshlrev_b32_e32 v41, 3, v20
	v_lshlrev_b64 v[20:21], 2, v[21:22]
	v_xor_b32_e32 v22, 0x80000000, v19
	ds_load_b64 v[18:19], v41
	s_waitcnt lgkmcnt(2)
	v_lshlrev_b64 v[16:17], 2, v[16:17]
	v_add_co_u32 v43, s0, s18, v20
	s_delay_alu instid0(VALU_DEP_1) | instskip(SKIP_2) | instid1(VALU_DEP_3)
	v_add_co_ci_u32_e64 v44, s0, s19, v21, s0
	s_waitcnt lgkmcnt(1)
	v_lshlrev_b64 v[20:21], 2, v[25:26]
	v_add_co_u32 v25, s0, v43, v35
	s_delay_alu instid0(VALU_DEP_1) | instskip(NEXT) | instid1(VALU_DEP_3)
	v_add_co_ci_u32_e64 v26, s0, 0, v44, s0
	v_add_co_u32 v20, s0, s18, v20
	s_delay_alu instid0(VALU_DEP_1) | instskip(SKIP_1) | instid1(VALU_DEP_1)
	v_add_co_ci_u32_e64 v21, s0, s19, v21, s0
	v_add_co_u32 v35, s0, s18, v16
	v_add_co_ci_u32_e64 v43, s0, s19, v17, s0
	s_waitcnt lgkmcnt(0)
	v_lshlrev_b64 v[16:17], 2, v[18:19]
	v_add_co_u32 v18, s0, v20, v23
	s_delay_alu instid0(VALU_DEP_1) | instskip(SKIP_1) | instid1(VALU_DEP_4)
	v_add_co_ci_u32_e64 v19, s0, v21, v24, s0
	v_lshlrev_b32_e32 v24, 3, v30
	v_add_co_u32 v20, s0, s18, v16
	s_delay_alu instid0(VALU_DEP_1) | instskip(SKIP_1) | instid1(VALU_DEP_1)
	v_add_co_ci_u32_e64 v21, s0, s19, v17, s0
	v_add_co_u32 v16, s0, v35, v39
	v_add_co_ci_u32_e64 v17, s0, 0, v43, s0
	s_delay_alu instid0(VALU_DEP_4) | instskip(NEXT) | instid1(VALU_DEP_1)
	v_add_co_u32 v20, s0, v20, v40
	v_add_co_ci_u32_e64 v21, s0, 0, v21, s0
	s_clause 0x3
	global_store_b32 v[18:19], v28, off
	global_store_b32 v[25:26], v42, off
	global_store_b32 v[16:17], v22, off
	global_store_b32 v[20:21], v29, off
	s_waitcnt vmcnt(0)
	s_waitcnt_vscnt null, 0x0
	s_barrier
	buffer_gl0_inv
	v_add_nc_u32_e32 v20, v27, v27
	v_lshlrev_b64 v[18:19], 3, v[5:6]
	v_lshlrev_b32_e32 v25, 3, v32
	v_lshlrev_b32_e32 v26, 3, v33
	ds_store_b64 v36, v[7:8] offset:2048
	ds_store_b64 v37, v[9:10] offset:2048
	;; [unrolled: 1-line block ×4, first 2 shown]
	s_waitcnt lgkmcnt(0)
	s_barrier
	buffer_gl0_inv
	ds_load_b64 v[2:3], v31
	ds_load_b64 v[11:12], v14
	;; [unrolled: 1-line block ×4, first 2 shown]
	ds_load_2addr_stride64_b64 v[7:10], v4 offset0:16 offset1:32
	ds_load_b64 v[20:21], v20 offset:2048
	ds_load_b64 v[22:23], v4 offset:24576
	s_waitcnt lgkmcnt(6)
	v_lshlrev_b64 v[2:3], 3, v[2:3]
	s_waitcnt lgkmcnt(5)
	v_lshlrev_b64 v[11:12], 3, v[11:12]
	;; [unrolled: 2-line block ×4, first 2 shown]
	v_add_co_u32 v2, s0, s22, v2
	s_delay_alu instid0(VALU_DEP_1) | instskip(SKIP_1) | instid1(VALU_DEP_1)
	v_add_co_ci_u32_e64 v3, s0, s23, v3, s0
	v_add_co_u32 v4, s0, s22, v11
	v_add_co_ci_u32_e64 v12, s0, s23, v12, s0
	v_add_co_u32 v13, s0, s22, v13
	s_delay_alu instid0(VALU_DEP_1) | instskip(SKIP_1) | instid1(VALU_DEP_1)
	v_add_co_ci_u32_e64 v14, s0, s23, v14, s0
	v_add_co_u32 v16, s0, s22, v16
	v_add_co_ci_u32_e64 v17, s0, s23, v17, s0
	v_add_co_u32 v2, s0, v2, v18
	s_delay_alu instid0(VALU_DEP_1) | instskip(SKIP_1) | instid1(VALU_DEP_1)
	v_add_co_ci_u32_e64 v3, s0, v3, v19, s0
	v_add_co_u32 v11, s0, v4, v24
	v_add_co_ci_u32_e64 v12, s0, 0, v12, s0
	v_add_co_u32 v13, s0, v13, v25
	s_delay_alu instid0(VALU_DEP_1) | instskip(SKIP_1) | instid1(VALU_DEP_1)
	v_add_co_ci_u32_e64 v14, s0, 0, v14, s0
	v_add_co_u32 v16, s0, v16, v26
	v_add_co_ci_u32_e64 v17, s0, 0, v17, s0
	s_waitcnt lgkmcnt(1)
	s_clause 0x2
	global_store_b64 v[2:3], v[20:21], off
	global_store_b64 v[11:12], v[7:8], off
	;; [unrolled: 1-line block ×3, first 2 shown]
	s_waitcnt lgkmcnt(0)
	global_store_b64 v[16:17], v[22:23], off
                                        ; implicit-def: $vgpr2_vgpr3
	s_and_saveexec_b32 s0, s1
; %bb.98:
	v_add_co_u32 v2, vcc_lo, v0, v15
	v_add_co_ci_u32_e32 v3, vcc_lo, 0, v1, vcc_lo
	s_or_b32 s8, s8, exec_lo
; %bb.99:
	s_or_b32 exec_lo, exec_lo, s0
.LBB96_100:
	s_and_saveexec_b32 s0, s8
	s_cbranch_execnz .LBB96_102
; %bb.101:
	s_nop 0
	s_sendmsg sendmsg(MSG_DEALLOC_VGPRS)
	s_endpgm
.LBB96_102:
	v_lshlrev_b32_e32 v0, 3, v5
	v_lshlrev_b64 v[4:5], 3, v[5:6]
	ds_load_b64 v[0:1], v0
	v_add_co_u32 v4, vcc_lo, s26, v4
	v_add_co_ci_u32_e32 v5, vcc_lo, s27, v5, vcc_lo
	s_waitcnt lgkmcnt(0)
	v_add_co_u32 v0, vcc_lo, v0, v2
	v_add_co_ci_u32_e32 v1, vcc_lo, v1, v3, vcc_lo
	global_store_b64 v[4:5], v[0:1], off
	s_nop 0
	s_sendmsg sendmsg(MSG_DEALLOC_VGPRS)
	s_endpgm
.LBB96_103:
	global_load_b64 v[1:2], v[10:11], off
	s_or_b32 exec_lo, exec_lo, s10
                                        ; implicit-def: $vgpr3_vgpr4
	s_and_saveexec_b32 s10, s2
	s_cbranch_execz .LBB96_47
.LBB96_104:
	global_load_b64 v[3:4], v[10:11], off offset:256
	s_or_b32 exec_lo, exec_lo, s10
                                        ; implicit-def: $vgpr6_vgpr7
	s_and_saveexec_b32 s2, s3
	s_cbranch_execz .LBB96_48
.LBB96_105:
	global_load_b64 v[6:7], v[10:11], off offset:512
	s_or_b32 exec_lo, exec_lo, s2
                                        ; implicit-def: $vgpr8_vgpr9
	s_and_saveexec_b32 s2, s4
	s_cbranch_execnz .LBB96_49
	s_branch .LBB96_50
.LBB96_106:
	v_lshlrev_b32_e32 v2, 3, v24
	ds_load_b64 v[2:3], v2
	ds_load_b64 v[6:7], v1 offset:2048
	s_waitcnt lgkmcnt(1)
	v_lshlrev_b64 v[2:3], 3, v[2:3]
	s_delay_alu instid0(VALU_DEP_1) | instskip(NEXT) | instid1(VALU_DEP_2)
	v_add_co_u32 v2, vcc_lo, s22, v2
	v_add_co_ci_u32_e32 v3, vcc_lo, s23, v3, vcc_lo
	s_delay_alu instid0(VALU_DEP_2) | instskip(NEXT) | instid1(VALU_DEP_2)
	v_add_co_u32 v2, vcc_lo, v2, v1
	v_add_co_ci_u32_e32 v3, vcc_lo, 0, v3, vcc_lo
	s_waitcnt lgkmcnt(0)
	global_store_b64 v[2:3], v[6:7], off
	s_or_b32 exec_lo, exec_lo, s2
	s_and_saveexec_b32 s2, s7
	s_cbranch_execz .LBB96_60
.LBB96_107:
	v_lshlrev_b32_e32 v2, 3, v11
	v_lshlrev_b32_e32 v4, 3, v15
	ds_load_b64 v[2:3], v2
	ds_load_b64 v[6:7], v1 offset:10240
	s_waitcnt lgkmcnt(1)
	v_lshlrev_b64 v[2:3], 3, v[2:3]
	s_delay_alu instid0(VALU_DEP_1) | instskip(NEXT) | instid1(VALU_DEP_2)
	v_add_co_u32 v2, vcc_lo, s22, v2
	v_add_co_ci_u32_e32 v3, vcc_lo, s23, v3, vcc_lo
	s_delay_alu instid0(VALU_DEP_2) | instskip(NEXT) | instid1(VALU_DEP_2)
	v_add_co_u32 v2, vcc_lo, v2, v4
	v_add_co_ci_u32_e32 v3, vcc_lo, 0, v3, vcc_lo
	s_waitcnt lgkmcnt(0)
	global_store_b64 v[2:3], v[6:7], off
	s_or_b32 exec_lo, exec_lo, s2
	s_and_saveexec_b32 s2, s8
	s_cbranch_execz .LBB96_61
.LBB96_108:
	v_lshlrev_b32_e32 v2, 3, v23
	v_lshlrev_b32_e32 v4, 3, v20
	ds_load_b64 v[2:3], v2
	ds_load_b64 v[6:7], v1 offset:18432
	s_waitcnt lgkmcnt(1)
	v_lshlrev_b64 v[2:3], 3, v[2:3]
	s_delay_alu instid0(VALU_DEP_1) | instskip(NEXT) | instid1(VALU_DEP_2)
	v_add_co_u32 v2, vcc_lo, s22, v2
	v_add_co_ci_u32_e32 v3, vcc_lo, s23, v3, vcc_lo
	s_delay_alu instid0(VALU_DEP_2) | instskip(NEXT) | instid1(VALU_DEP_2)
	v_add_co_u32 v2, vcc_lo, v2, v4
	v_add_co_ci_u32_e32 v3, vcc_lo, 0, v3, vcc_lo
	s_waitcnt lgkmcnt(0)
	global_store_b64 v[2:3], v[6:7], off
	s_or_b32 exec_lo, exec_lo, s2
	s_and_saveexec_b32 s2, s9
	s_cbranch_execnz .LBB96_62
	s_branch .LBB96_63
	.section	.rodata,"a",@progbits
	.p2align	6, 0x0
	.amdhsa_kernel _ZN7rocprim17ROCPRIM_304000_NS6detail25onesweep_iteration_kernelINS1_34wrapped_radix_sort_onesweep_configINS0_14default_configEiN2at4cuda3cub6detail10OpaqueTypeILi8EEEEELb0EPKiPiPKSA_PSA_mNS0_19identity_decomposerEEEvT1_T2_T3_T4_jPT5_SO_PNS1_23onesweep_lookback_stateET6_jjj
		.amdhsa_group_segment_fixed_size 36992
		.amdhsa_private_segment_fixed_size 0
		.amdhsa_kernarg_size 336
		.amdhsa_user_sgpr_count 15
		.amdhsa_user_sgpr_dispatch_ptr 0
		.amdhsa_user_sgpr_queue_ptr 0
		.amdhsa_user_sgpr_kernarg_segment_ptr 1
		.amdhsa_user_sgpr_dispatch_id 0
		.amdhsa_user_sgpr_private_segment_size 0
		.amdhsa_wavefront_size32 1
		.amdhsa_uses_dynamic_stack 0
		.amdhsa_enable_private_segment 0
		.amdhsa_system_sgpr_workgroup_id_x 1
		.amdhsa_system_sgpr_workgroup_id_y 0
		.amdhsa_system_sgpr_workgroup_id_z 0
		.amdhsa_system_sgpr_workgroup_info 0
		.amdhsa_system_vgpr_workitem_id 2
		.amdhsa_next_free_vgpr 45
		.amdhsa_next_free_sgpr 36
		.amdhsa_reserve_vcc 1
		.amdhsa_float_round_mode_32 0
		.amdhsa_float_round_mode_16_64 0
		.amdhsa_float_denorm_mode_32 3
		.amdhsa_float_denorm_mode_16_64 3
		.amdhsa_dx10_clamp 1
		.amdhsa_ieee_mode 1
		.amdhsa_fp16_overflow 0
		.amdhsa_workgroup_processor_mode 1
		.amdhsa_memory_ordered 1
		.amdhsa_forward_progress 0
		.amdhsa_shared_vgpr_count 0
		.amdhsa_exception_fp_ieee_invalid_op 0
		.amdhsa_exception_fp_denorm_src 0
		.amdhsa_exception_fp_ieee_div_zero 0
		.amdhsa_exception_fp_ieee_overflow 0
		.amdhsa_exception_fp_ieee_underflow 0
		.amdhsa_exception_fp_ieee_inexact 0
		.amdhsa_exception_int_div_zero 0
	.end_amdhsa_kernel
	.section	.text._ZN7rocprim17ROCPRIM_304000_NS6detail25onesweep_iteration_kernelINS1_34wrapped_radix_sort_onesweep_configINS0_14default_configEiN2at4cuda3cub6detail10OpaqueTypeILi8EEEEELb0EPKiPiPKSA_PSA_mNS0_19identity_decomposerEEEvT1_T2_T3_T4_jPT5_SO_PNS1_23onesweep_lookback_stateET6_jjj,"axG",@progbits,_ZN7rocprim17ROCPRIM_304000_NS6detail25onesweep_iteration_kernelINS1_34wrapped_radix_sort_onesweep_configINS0_14default_configEiN2at4cuda3cub6detail10OpaqueTypeILi8EEEEELb0EPKiPiPKSA_PSA_mNS0_19identity_decomposerEEEvT1_T2_T3_T4_jPT5_SO_PNS1_23onesweep_lookback_stateET6_jjj,comdat
.Lfunc_end96:
	.size	_ZN7rocprim17ROCPRIM_304000_NS6detail25onesweep_iteration_kernelINS1_34wrapped_radix_sort_onesweep_configINS0_14default_configEiN2at4cuda3cub6detail10OpaqueTypeILi8EEEEELb0EPKiPiPKSA_PSA_mNS0_19identity_decomposerEEEvT1_T2_T3_T4_jPT5_SO_PNS1_23onesweep_lookback_stateET6_jjj, .Lfunc_end96-_ZN7rocprim17ROCPRIM_304000_NS6detail25onesweep_iteration_kernelINS1_34wrapped_radix_sort_onesweep_configINS0_14default_configEiN2at4cuda3cub6detail10OpaqueTypeILi8EEEEELb0EPKiPiPKSA_PSA_mNS0_19identity_decomposerEEEvT1_T2_T3_T4_jPT5_SO_PNS1_23onesweep_lookback_stateET6_jjj
                                        ; -- End function
	.section	.AMDGPU.csdata,"",@progbits
; Kernel info:
; codeLenInByte = 9004
; NumSgprs: 38
; NumVgprs: 45
; ScratchSize: 0
; MemoryBound: 0
; FloatMode: 240
; IeeeMode: 1
; LDSByteSize: 36992 bytes/workgroup (compile time only)
; SGPRBlocks: 4
; VGPRBlocks: 5
; NumSGPRsForWavesPerEU: 38
; NumVGPRsForWavesPerEU: 45
; Occupancy: 16
; WaveLimiterHint : 1
; COMPUTE_PGM_RSRC2:SCRATCH_EN: 0
; COMPUTE_PGM_RSRC2:USER_SGPR: 15
; COMPUTE_PGM_RSRC2:TRAP_HANDLER: 0
; COMPUTE_PGM_RSRC2:TGID_X_EN: 1
; COMPUTE_PGM_RSRC2:TGID_Y_EN: 0
; COMPUTE_PGM_RSRC2:TGID_Z_EN: 0
; COMPUTE_PGM_RSRC2:TIDIG_COMP_CNT: 2
	.section	.text._ZN7rocprim17ROCPRIM_304000_NS6detail25onesweep_iteration_kernelINS1_34wrapped_radix_sort_onesweep_configINS0_14default_configEiN2at4cuda3cub6detail10OpaqueTypeILi8EEEEELb0EPiSC_PSA_SD_mNS0_19identity_decomposerEEEvT1_T2_T3_T4_jPT5_SK_PNS1_23onesweep_lookback_stateET6_jjj,"axG",@progbits,_ZN7rocprim17ROCPRIM_304000_NS6detail25onesweep_iteration_kernelINS1_34wrapped_radix_sort_onesweep_configINS0_14default_configEiN2at4cuda3cub6detail10OpaqueTypeILi8EEEEELb0EPiSC_PSA_SD_mNS0_19identity_decomposerEEEvT1_T2_T3_T4_jPT5_SK_PNS1_23onesweep_lookback_stateET6_jjj,comdat
	.protected	_ZN7rocprim17ROCPRIM_304000_NS6detail25onesweep_iteration_kernelINS1_34wrapped_radix_sort_onesweep_configINS0_14default_configEiN2at4cuda3cub6detail10OpaqueTypeILi8EEEEELb0EPiSC_PSA_SD_mNS0_19identity_decomposerEEEvT1_T2_T3_T4_jPT5_SK_PNS1_23onesweep_lookback_stateET6_jjj ; -- Begin function _ZN7rocprim17ROCPRIM_304000_NS6detail25onesweep_iteration_kernelINS1_34wrapped_radix_sort_onesweep_configINS0_14default_configEiN2at4cuda3cub6detail10OpaqueTypeILi8EEEEELb0EPiSC_PSA_SD_mNS0_19identity_decomposerEEEvT1_T2_T3_T4_jPT5_SK_PNS1_23onesweep_lookback_stateET6_jjj
	.globl	_ZN7rocprim17ROCPRIM_304000_NS6detail25onesweep_iteration_kernelINS1_34wrapped_radix_sort_onesweep_configINS0_14default_configEiN2at4cuda3cub6detail10OpaqueTypeILi8EEEEELb0EPiSC_PSA_SD_mNS0_19identity_decomposerEEEvT1_T2_T3_T4_jPT5_SK_PNS1_23onesweep_lookback_stateET6_jjj
	.p2align	8
	.type	_ZN7rocprim17ROCPRIM_304000_NS6detail25onesweep_iteration_kernelINS1_34wrapped_radix_sort_onesweep_configINS0_14default_configEiN2at4cuda3cub6detail10OpaqueTypeILi8EEEEELb0EPiSC_PSA_SD_mNS0_19identity_decomposerEEEvT1_T2_T3_T4_jPT5_SK_PNS1_23onesweep_lookback_stateET6_jjj,@function
_ZN7rocprim17ROCPRIM_304000_NS6detail25onesweep_iteration_kernelINS1_34wrapped_radix_sort_onesweep_configINS0_14default_configEiN2at4cuda3cub6detail10OpaqueTypeILi8EEEEELb0EPiSC_PSA_SD_mNS0_19identity_decomposerEEEvT1_T2_T3_T4_jPT5_SK_PNS1_23onesweep_lookback_stateET6_jjj: ; @_ZN7rocprim17ROCPRIM_304000_NS6detail25onesweep_iteration_kernelINS1_34wrapped_radix_sort_onesweep_configINS0_14default_configEiN2at4cuda3cub6detail10OpaqueTypeILi8EEEEELb0EPiSC_PSA_SD_mNS0_19identity_decomposerEEEvT1_T2_T3_T4_jPT5_SK_PNS1_23onesweep_lookback_stateET6_jjj
; %bb.0:
	s_clause 0x3
	s_load_b128 s[28:31], s[0:1], 0x44
	s_load_b256 s[16:23], s[0:1], 0x0
	s_load_b128 s[24:27], s[0:1], 0x28
	s_load_b64 s[12:13], s[0:1], 0x38
	v_and_b32_e32 v5, 0x3ff, v0
	v_mbcnt_lo_u32_b32 v12, -1, 0
	s_waitcnt lgkmcnt(0)
	s_cmp_ge_u32 s15, s30
	s_cbranch_scc0 .LBB97_66
; %bb.1:
	s_load_b32 s8, s[0:1], 0x20
	s_brev_b32 s4, -2
	s_lshl_b32 s9, s30, 12
	s_mov_b32 s5, s4
	s_mov_b32 s6, s4
	;; [unrolled: 1-line block ×3, first 2 shown]
	v_lshlrev_b32_e32 v13, 2, v5
	s_lshl_b32 s30, s15, 12
	s_mov_b32 s31, 0
	v_lshlrev_b32_e32 v1, 2, v12
	s_lshl_b64 s[2:3], s[30:31], 2
	v_and_b32_e32 v10, 0xf80, v13
	s_delay_alu instid0(VALU_DEP_1)
	v_lshlrev_b32_e32 v2, 2, v10
	s_waitcnt lgkmcnt(0)
	s_sub_i32 s34, s8, s9
	s_add_u32 s2, s16, s2
	s_addc_u32 s3, s17, s3
	v_add_co_u32 v1, s2, s2, v1
	s_delay_alu instid0(VALU_DEP_1) | instskip(NEXT) | instid1(VALU_DEP_2)
	v_add_co_ci_u32_e64 v3, null, s3, 0, s2
	v_add_co_u32 v6, s2, v1, v2
	s_delay_alu instid0(VALU_DEP_1)
	v_add_co_ci_u32_e64 v7, s2, 0, v3, s2
	v_mov_b32_e32 v1, s4
	v_mov_b32_e32 v3, s6
	v_or_b32_e32 v8, v12, v10
	v_mov_b32_e32 v2, s5
	v_mov_b32_e32 v4, s7
	s_delay_alu instid0(VALU_DEP_3)
	v_cmp_gt_u32_e32 vcc_lo, s34, v8
	s_and_saveexec_b32 s2, vcc_lo
	s_cbranch_execz .LBB97_3
; %bb.2:
	global_load_b32 v1, v[6:7], off
	v_bfrev_b32_e32 v2, -2
	s_delay_alu instid0(VALU_DEP_1)
	v_mov_b32_e32 v3, v2
	v_mov_b32_e32 v4, v2
.LBB97_3:
	s_or_b32 exec_lo, exec_lo, s2
	v_add_nc_u32_e32 v9, 32, v8
	s_delay_alu instid0(VALU_DEP_1) | instskip(NEXT) | instid1(VALU_DEP_1)
	v_cmp_gt_u32_e64 s2, s34, v9
	s_and_saveexec_b32 s3, s2
	s_cbranch_execz .LBB97_5
; %bb.4:
	global_load_b32 v2, v[6:7], off offset:128
.LBB97_5:
	s_or_b32 exec_lo, exec_lo, s3
	v_add_nc_u32_e32 v9, 64, v8
	s_delay_alu instid0(VALU_DEP_1) | instskip(NEXT) | instid1(VALU_DEP_1)
	v_cmp_gt_u32_e64 s3, s34, v9
	s_and_saveexec_b32 s4, s3
	s_cbranch_execz .LBB97_7
; %bb.6:
	global_load_b32 v3, v[6:7], off offset:256
.LBB97_7:
	;; [unrolled: 9-line block ×3, first 2 shown]
	s_or_b32 exec_lo, exec_lo, s5
	s_clause 0x1
	s_load_b32 s5, s[0:1], 0x5c
	s_load_b32 s14, s[0:1], 0x50
	s_add_u32 s6, s0, 0x50
	s_addc_u32 s7, s1, 0
	s_waitcnt vmcnt(0)
	v_xor_b32_e32 v11, 0x80000000, v1
	s_delay_alu instid0(VALU_DEP_1) | instskip(SKIP_4) | instid1(SALU_CYCLE_1)
	v_lshrrev_b32_e32 v1, s28, v11
	s_waitcnt lgkmcnt(0)
	s_lshr_b32 s8, s5, 16
	s_cmp_lt_u32 s15, s14
	s_cselect_b32 s5, 12, 18
	s_add_u32 s6, s6, s5
	s_addc_u32 s7, s7, 0
	s_lshl_b32 s5, -1, s29
	s_delay_alu instid0(SALU_CYCLE_1) | instskip(NEXT) | instid1(SALU_CYCLE_1)
	s_not_b32 s33, s5
	v_and_b32_e32 v15, s33, v1
	v_mov_b32_e32 v9, 0
	v_bfe_u32 v1, v0, 10, 10
	s_delay_alu instid0(VALU_DEP_3)
	v_lshlrev_b32_e32 v8, 30, v15
	global_load_u16 v6, v9, s[6:7]
	v_and_b32_e32 v7, 1, v15
	v_lshlrev_b32_e32 v14, 29, v15
	v_lshlrev_b32_e32 v16, 28, v15
	v_not_b32_e32 v21, v8
	v_cmp_gt_i32_e64 s6, 0, v8
	v_add_co_u32 v7, s5, v7, -1
	s_delay_alu instid0(VALU_DEP_1)
	v_cndmask_b32_e64 v17, 0, 1, s5
	v_not_b32_e32 v8, v14
	v_ashrrev_i32_e32 v21, 31, v21
	v_lshlrev_b32_e32 v18, 27, v15
	v_lshlrev_b32_e32 v19, 26, v15
	v_cmp_ne_u32_e64 s5, 0, v17
	v_ashrrev_i32_e32 v8, 31, v8
	v_xor_b32_e32 v21, s6, v21
	v_cmp_gt_i32_e64 s6, 0, v16
	v_lshlrev_b32_e32 v20, 25, v15
	v_xor_b32_e32 v7, s5, v7
	v_cmp_gt_i32_e64 s5, 0, v14
	v_not_b32_e32 v14, v16
	v_not_b32_e32 v16, v18
	v_lshlrev_b32_e32 v17, 24, v15
	v_and_b32_e32 v7, exec_lo, v7
	v_xor_b32_e32 v8, s5, v8
	v_ashrrev_i32_e32 v14, 31, v14
	v_cmp_gt_i32_e64 s5, 0, v18
	v_not_b32_e32 v18, v19
	v_and_b32_e32 v7, v7, v21
	v_ashrrev_i32_e32 v16, 31, v16
	v_xor_b32_e32 v14, s6, v14
	v_cmp_gt_i32_e64 s6, 0, v19
	v_ashrrev_i32_e32 v18, 31, v18
	v_and_b32_e32 v7, v7, v8
	v_not_b32_e32 v8, v20
	v_xor_b32_e32 v16, s5, v16
	v_cmp_gt_i32_e64 s5, 0, v20
	v_xor_b32_e32 v18, s6, v18
	v_and_b32_e32 v7, v7, v14
	v_not_b32_e32 v14, v17
	v_ashrrev_i32_e32 v8, 31, v8
	v_cmp_gt_i32_e64 s6, 0, v17
	v_mul_u32_u24_e32 v17, 9, v5
	v_and_b32_e32 v7, v7, v16
	v_bfe_u32 v16, v0, 20, 10
	v_ashrrev_i32_e32 v14, 31, v14
	v_xor_b32_e32 v8, s5, v8
	s_delay_alu instid0(VALU_DEP_4) | instskip(NEXT) | instid1(VALU_DEP_4)
	v_and_b32_e32 v7, v7, v18
	v_mad_u32_u24 v1, v16, s8, v1
	s_delay_alu instid0(VALU_DEP_4)
	v_xor_b32_e32 v14, s6, v14
	v_lshlrev_b32_e32 v16, 2, v17
	ds_store_2addr_b32 v16, v9, v9 offset0:32 offset1:33
	ds_store_2addr_b32 v16, v9, v9 offset0:34 offset1:35
	;; [unrolled: 1-line block ×4, first 2 shown]
	v_and_b32_e32 v18, v7, v8
	ds_store_b32 v16, v9 offset:160
	s_waitcnt vmcnt(0) lgkmcnt(0)
	s_barrier
	buffer_gl0_inv
	; wave barrier
	v_mad_u64_u32 v[7:8], null, v1, v6, v[5:6]
	v_and_b32_e32 v6, v18, v14
	s_delay_alu instid0(VALU_DEP_1) | instskip(NEXT) | instid1(VALU_DEP_3)
	v_mbcnt_lo_u32_b32 v14, v6, 0
	v_lshrrev_b32_e32 v1, 5, v7
	v_lshl_add_u32 v7, v15, 5, v15
	v_cmp_ne_u32_e64 s6, 0, v6
	s_delay_alu instid0(VALU_DEP_4) | instskip(NEXT) | instid1(VALU_DEP_3)
	v_cmp_eq_u32_e64 s5, 0, v14
	v_add_lshl_u32 v17, v1, v7, 2
	s_delay_alu instid0(VALU_DEP_2) | instskip(NEXT) | instid1(SALU_CYCLE_1)
	s_and_b32 s6, s6, s5
	s_and_saveexec_b32 s5, s6
	s_cbranch_execz .LBB97_11
; %bb.10:
	v_bcnt_u32_b32 v6, v6, 0
	ds_store_b32 v17, v6 offset:128
.LBB97_11:
	s_or_b32 exec_lo, exec_lo, s5
	v_xor_b32_e32 v15, 0x80000000, v2
	; wave barrier
	s_delay_alu instid0(VALU_DEP_1) | instskip(NEXT) | instid1(VALU_DEP_1)
	v_lshrrev_b32_e32 v2, s28, v15
	v_and_b32_e32 v2, s33, v2
	s_delay_alu instid0(VALU_DEP_1)
	v_and_b32_e32 v6, 1, v2
	v_lshlrev_b32_e32 v7, 30, v2
	v_lshlrev_b32_e32 v8, 29, v2
	;; [unrolled: 1-line block ×4, first 2 shown]
	v_add_co_u32 v6, s5, v6, -1
	s_delay_alu instid0(VALU_DEP_1)
	v_cndmask_b32_e64 v18, 0, 1, s5
	v_not_b32_e32 v22, v7
	v_cmp_gt_i32_e64 s6, 0, v7
	v_not_b32_e32 v7, v8
	v_lshlrev_b32_e32 v20, 26, v2
	v_cmp_ne_u32_e64 s5, 0, v18
	v_ashrrev_i32_e32 v22, 31, v22
	v_lshlrev_b32_e32 v21, 25, v2
	v_ashrrev_i32_e32 v7, 31, v7
	v_lshlrev_b32_e32 v18, 24, v2
	v_xor_b32_e32 v6, s5, v6
	v_cmp_gt_i32_e64 s5, 0, v8
	v_not_b32_e32 v8, v9
	v_xor_b32_e32 v22, s6, v22
	v_cmp_gt_i32_e64 s6, 0, v9
	v_and_b32_e32 v6, exec_lo, v6
	v_not_b32_e32 v9, v19
	v_ashrrev_i32_e32 v8, 31, v8
	v_xor_b32_e32 v7, s5, v7
	v_cmp_gt_i32_e64 s5, 0, v19
	v_and_b32_e32 v6, v6, v22
	v_not_b32_e32 v19, v20
	v_ashrrev_i32_e32 v9, 31, v9
	v_xor_b32_e32 v8, s6, v8
	v_cmp_gt_i32_e64 s6, 0, v20
	v_and_b32_e32 v6, v6, v7
	v_not_b32_e32 v7, v21
	v_ashrrev_i32_e32 v19, 31, v19
	v_xor_b32_e32 v9, s5, v9
	v_cmp_gt_i32_e64 s5, 0, v21
	v_and_b32_e32 v6, v6, v8
	v_not_b32_e32 v8, v18
	v_ashrrev_i32_e32 v7, 31, v7
	v_xor_b32_e32 v19, s6, v19
	v_lshl_add_u32 v2, v2, 5, v2
	v_and_b32_e32 v6, v6, v9
	v_cmp_gt_i32_e64 s6, 0, v18
	v_ashrrev_i32_e32 v8, 31, v8
	v_xor_b32_e32 v7, s5, v7
	v_add_lshl_u32 v21, v1, v2, 2
	v_and_b32_e32 v6, v6, v19
	s_delay_alu instid0(VALU_DEP_4) | instskip(SKIP_2) | instid1(VALU_DEP_1)
	v_xor_b32_e32 v2, s6, v8
	ds_load_b32 v18, v21 offset:128
	v_and_b32_e32 v6, v6, v7
	; wave barrier
	v_and_b32_e32 v2, v6, v2
	s_delay_alu instid0(VALU_DEP_1) | instskip(SKIP_1) | instid1(VALU_DEP_2)
	v_mbcnt_lo_u32_b32 v19, v2, 0
	v_cmp_ne_u32_e64 s6, 0, v2
	v_cmp_eq_u32_e64 s5, 0, v19
	s_delay_alu instid0(VALU_DEP_1) | instskip(NEXT) | instid1(SALU_CYCLE_1)
	s_and_b32 s6, s6, s5
	s_and_saveexec_b32 s5, s6
	s_cbranch_execz .LBB97_13
; %bb.12:
	s_waitcnt lgkmcnt(0)
	v_bcnt_u32_b32 v2, v2, v18
	ds_store_b32 v21, v2 offset:128
.LBB97_13:
	s_or_b32 exec_lo, exec_lo, s5
	v_xor_b32_e32 v20, 0x80000000, v3
	; wave barrier
	s_delay_alu instid0(VALU_DEP_1) | instskip(NEXT) | instid1(VALU_DEP_1)
	v_lshrrev_b32_e32 v2, s28, v20
	v_and_b32_e32 v2, s33, v2
	s_delay_alu instid0(VALU_DEP_1)
	v_and_b32_e32 v3, 1, v2
	v_lshlrev_b32_e32 v6, 30, v2
	v_lshlrev_b32_e32 v7, 29, v2
	v_lshlrev_b32_e32 v8, 28, v2
	v_lshlrev_b32_e32 v22, 27, v2
	v_add_co_u32 v3, s5, v3, -1
	s_delay_alu instid0(VALU_DEP_1)
	v_cndmask_b32_e64 v9, 0, 1, s5
	v_not_b32_e32 v25, v6
	v_cmp_gt_i32_e64 s6, 0, v6
	v_not_b32_e32 v6, v7
	v_lshlrev_b32_e32 v23, 26, v2
	v_cmp_ne_u32_e64 s5, 0, v9
	v_ashrrev_i32_e32 v25, 31, v25
	v_lshlrev_b32_e32 v24, 25, v2
	v_ashrrev_i32_e32 v6, 31, v6
	v_lshlrev_b32_e32 v9, 24, v2
	v_xor_b32_e32 v3, s5, v3
	v_cmp_gt_i32_e64 s5, 0, v7
	v_not_b32_e32 v7, v8
	v_xor_b32_e32 v25, s6, v25
	v_cmp_gt_i32_e64 s6, 0, v8
	v_and_b32_e32 v3, exec_lo, v3
	v_not_b32_e32 v8, v22
	v_ashrrev_i32_e32 v7, 31, v7
	v_xor_b32_e32 v6, s5, v6
	v_cmp_gt_i32_e64 s5, 0, v22
	v_and_b32_e32 v3, v3, v25
	v_not_b32_e32 v22, v23
	v_ashrrev_i32_e32 v8, 31, v8
	v_xor_b32_e32 v7, s6, v7
	v_cmp_gt_i32_e64 s6, 0, v23
	v_and_b32_e32 v3, v3, v6
	;; [unrolled: 5-line block ×3, first 2 shown]
	v_not_b32_e32 v7, v9
	v_ashrrev_i32_e32 v6, 31, v6
	v_xor_b32_e32 v22, s6, v22
	v_lshl_add_u32 v2, v2, 5, v2
	v_and_b32_e32 v3, v3, v8
	v_cmp_gt_i32_e64 s6, 0, v9
	v_ashrrev_i32_e32 v7, 31, v7
	v_xor_b32_e32 v6, s5, v6
	v_add_lshl_u32 v25, v1, v2, 2
	v_and_b32_e32 v3, v3, v22
	s_delay_alu instid0(VALU_DEP_4) | instskip(SKIP_2) | instid1(VALU_DEP_1)
	v_xor_b32_e32 v2, s6, v7
	ds_load_b32 v22, v25 offset:128
	v_and_b32_e32 v3, v3, v6
	; wave barrier
	v_and_b32_e32 v2, v3, v2
	s_delay_alu instid0(VALU_DEP_1) | instskip(SKIP_1) | instid1(VALU_DEP_2)
	v_mbcnt_lo_u32_b32 v23, v2, 0
	v_cmp_ne_u32_e64 s6, 0, v2
	v_cmp_eq_u32_e64 s5, 0, v23
	s_delay_alu instid0(VALU_DEP_1) | instskip(NEXT) | instid1(SALU_CYCLE_1)
	s_and_b32 s6, s6, s5
	s_and_saveexec_b32 s5, s6
	s_cbranch_execz .LBB97_15
; %bb.14:
	s_waitcnt lgkmcnt(0)
	v_bcnt_u32_b32 v2, v2, v22
	ds_store_b32 v25, v2 offset:128
.LBB97_15:
	s_or_b32 exec_lo, exec_lo, s5
	v_xor_b32_e32 v24, 0x80000000, v4
	; wave barrier
	v_add_nc_u32_e32 v29, 0x80, v16
	s_delay_alu instid0(VALU_DEP_2) | instskip(NEXT) | instid1(VALU_DEP_1)
	v_lshrrev_b32_e32 v2, s28, v24
	v_and_b32_e32 v2, s33, v2
	s_delay_alu instid0(VALU_DEP_1)
	v_and_b32_e32 v3, 1, v2
	v_lshlrev_b32_e32 v4, 30, v2
	v_lshlrev_b32_e32 v6, 29, v2
	;; [unrolled: 1-line block ×4, first 2 shown]
	v_add_co_u32 v3, s5, v3, -1
	s_delay_alu instid0(VALU_DEP_1)
	v_cndmask_b32_e64 v8, 0, 1, s5
	v_not_b32_e32 v28, v4
	v_cmp_gt_i32_e64 s6, 0, v4
	v_not_b32_e32 v4, v6
	v_lshlrev_b32_e32 v26, 26, v2
	v_cmp_ne_u32_e64 s5, 0, v8
	v_ashrrev_i32_e32 v28, 31, v28
	v_lshlrev_b32_e32 v27, 25, v2
	v_ashrrev_i32_e32 v4, 31, v4
	v_lshlrev_b32_e32 v8, 24, v2
	v_xor_b32_e32 v3, s5, v3
	v_cmp_gt_i32_e64 s5, 0, v6
	v_not_b32_e32 v6, v7
	v_xor_b32_e32 v28, s6, v28
	v_cmp_gt_i32_e64 s6, 0, v7
	v_and_b32_e32 v3, exec_lo, v3
	v_not_b32_e32 v7, v9
	v_ashrrev_i32_e32 v6, 31, v6
	v_xor_b32_e32 v4, s5, v4
	v_cmp_gt_i32_e64 s5, 0, v9
	v_and_b32_e32 v3, v3, v28
	v_not_b32_e32 v9, v26
	v_ashrrev_i32_e32 v7, 31, v7
	v_xor_b32_e32 v6, s6, v6
	v_cmp_gt_i32_e64 s6, 0, v26
	v_and_b32_e32 v3, v3, v4
	;; [unrolled: 5-line block ×3, first 2 shown]
	v_not_b32_e32 v6, v8
	v_ashrrev_i32_e32 v4, 31, v4
	v_xor_b32_e32 v9, s6, v9
	v_lshl_add_u32 v2, v2, 5, v2
	v_and_b32_e32 v3, v3, v7
	v_cmp_gt_i32_e64 s6, 0, v8
	v_ashrrev_i32_e32 v6, 31, v6
	v_xor_b32_e32 v4, s5, v4
	v_add_lshl_u32 v28, v1, v2, 2
	v_and_b32_e32 v3, v3, v9
	s_delay_alu instid0(VALU_DEP_4) | instskip(SKIP_2) | instid1(VALU_DEP_1)
	v_xor_b32_e32 v1, s6, v6
	ds_load_b32 v26, v28 offset:128
	v_and_b32_e32 v2, v3, v4
	; wave barrier
	v_and_b32_e32 v1, v2, v1
	s_delay_alu instid0(VALU_DEP_1) | instskip(SKIP_1) | instid1(VALU_DEP_2)
	v_mbcnt_lo_u32_b32 v27, v1, 0
	v_cmp_ne_u32_e64 s6, 0, v1
	v_cmp_eq_u32_e64 s5, 0, v27
	s_delay_alu instid0(VALU_DEP_1) | instskip(NEXT) | instid1(SALU_CYCLE_1)
	s_and_b32 s6, s6, s5
	s_and_saveexec_b32 s5, s6
	s_cbranch_execz .LBB97_17
; %bb.16:
	s_waitcnt lgkmcnt(0)
	v_bcnt_u32_b32 v1, v1, v26
	ds_store_b32 v28, v1 offset:128
.LBB97_17:
	s_or_b32 exec_lo, exec_lo, s5
	; wave barrier
	s_waitcnt lgkmcnt(0)
	s_barrier
	buffer_gl0_inv
	ds_load_2addr_b32 v[8:9], v16 offset0:32 offset1:33
	ds_load_2addr_b32 v[6:7], v29 offset0:2 offset1:3
	;; [unrolled: 1-line block ×4, first 2 shown]
	ds_load_b32 v30, v29 offset:32
	v_and_b32_e32 v33, 16, v12
	v_and_b32_e32 v34, 31, v5
	s_mov_b32 s11, exec_lo
	s_delay_alu instid0(VALU_DEP_2) | instskip(SKIP_3) | instid1(VALU_DEP_1)
	v_cmp_eq_u32_e64 s9, 0, v33
	s_waitcnt lgkmcnt(3)
	v_add3_u32 v31, v9, v8, v6
	s_waitcnt lgkmcnt(2)
	v_add3_u32 v31, v31, v7, v3
	s_waitcnt lgkmcnt(1)
	s_delay_alu instid0(VALU_DEP_1) | instskip(SKIP_1) | instid1(VALU_DEP_1)
	v_add3_u32 v31, v31, v4, v1
	s_waitcnt lgkmcnt(0)
	v_add3_u32 v30, v31, v2, v30
	v_and_b32_e32 v31, 15, v12
	s_delay_alu instid0(VALU_DEP_2) | instskip(NEXT) | instid1(VALU_DEP_2)
	v_mov_b32_dpp v32, v30 row_shr:1 row_mask:0xf bank_mask:0xf
	v_cmp_eq_u32_e64 s5, 0, v31
	v_cmp_lt_u32_e64 s6, 1, v31
	v_cmp_lt_u32_e64 s7, 3, v31
	;; [unrolled: 1-line block ×3, first 2 shown]
	s_delay_alu instid0(VALU_DEP_4) | instskip(NEXT) | instid1(VALU_DEP_1)
	v_cndmask_b32_e64 v32, v32, 0, s5
	v_add_nc_u32_e32 v30, v32, v30
	s_delay_alu instid0(VALU_DEP_1) | instskip(NEXT) | instid1(VALU_DEP_1)
	v_mov_b32_dpp v32, v30 row_shr:2 row_mask:0xf bank_mask:0xf
	v_cndmask_b32_e64 v32, 0, v32, s6
	s_delay_alu instid0(VALU_DEP_1) | instskip(NEXT) | instid1(VALU_DEP_1)
	v_add_nc_u32_e32 v30, v30, v32
	v_mov_b32_dpp v32, v30 row_shr:4 row_mask:0xf bank_mask:0xf
	s_delay_alu instid0(VALU_DEP_1) | instskip(NEXT) | instid1(VALU_DEP_1)
	v_cndmask_b32_e64 v32, 0, v32, s7
	v_add_nc_u32_e32 v30, v30, v32
	s_delay_alu instid0(VALU_DEP_1) | instskip(NEXT) | instid1(VALU_DEP_1)
	v_mov_b32_dpp v32, v30 row_shr:8 row_mask:0xf bank_mask:0xf
	v_cndmask_b32_e64 v31, 0, v32, s8
	v_bfe_i32 v32, v12, 4, 1
	s_delay_alu instid0(VALU_DEP_2) | instskip(SKIP_4) | instid1(VALU_DEP_2)
	v_add_nc_u32_e32 v30, v30, v31
	ds_swizzle_b32 v31, v30 offset:swizzle(BROADCAST,32,15)
	s_waitcnt lgkmcnt(0)
	v_and_b32_e32 v32, v32, v31
	v_lshrrev_b32_e32 v31, 5, v5
	v_add_nc_u32_e32 v30, v30, v32
	v_cmpx_eq_u32_e32 31, v34
	s_cbranch_execz .LBB97_19
; %bb.18:
	s_delay_alu instid0(VALU_DEP_3)
	v_lshlrev_b32_e32 v32, 2, v31
	ds_store_b32 v32, v30
.LBB97_19:
	s_or_b32 exec_lo, exec_lo, s11
	v_cmp_lt_u32_e64 s10, 31, v5
	s_mov_b32 s35, exec_lo
	s_waitcnt lgkmcnt(0)
	s_barrier
	buffer_gl0_inv
	v_cmpx_gt_u32_e32 32, v5
	s_cbranch_execz .LBB97_21
; %bb.20:
	ds_load_b32 v32, v13
	s_waitcnt lgkmcnt(0)
	v_mov_b32_dpp v33, v32 row_shr:1 row_mask:0xf bank_mask:0xf
	s_delay_alu instid0(VALU_DEP_1) | instskip(NEXT) | instid1(VALU_DEP_1)
	v_cndmask_b32_e64 v33, v33, 0, s5
	v_add_nc_u32_e32 v32, v33, v32
	s_delay_alu instid0(VALU_DEP_1) | instskip(NEXT) | instid1(VALU_DEP_1)
	v_mov_b32_dpp v33, v32 row_shr:2 row_mask:0xf bank_mask:0xf
	v_cndmask_b32_e64 v33, 0, v33, s6
	s_delay_alu instid0(VALU_DEP_1) | instskip(NEXT) | instid1(VALU_DEP_1)
	v_add_nc_u32_e32 v32, v32, v33
	v_mov_b32_dpp v33, v32 row_shr:4 row_mask:0xf bank_mask:0xf
	s_delay_alu instid0(VALU_DEP_1) | instskip(NEXT) | instid1(VALU_DEP_1)
	v_cndmask_b32_e64 v33, 0, v33, s7
	v_add_nc_u32_e32 v32, v32, v33
	s_delay_alu instid0(VALU_DEP_1) | instskip(NEXT) | instid1(VALU_DEP_1)
	v_mov_b32_dpp v33, v32 row_shr:8 row_mask:0xf bank_mask:0xf
	v_cndmask_b32_e64 v33, 0, v33, s8
	s_delay_alu instid0(VALU_DEP_1) | instskip(SKIP_3) | instid1(VALU_DEP_1)
	v_add_nc_u32_e32 v32, v32, v33
	ds_swizzle_b32 v33, v32 offset:swizzle(BROADCAST,32,15)
	s_waitcnt lgkmcnt(0)
	v_cndmask_b32_e64 v33, v33, 0, s9
	v_add_nc_u32_e32 v32, v32, v33
	ds_store_b32 v13, v32
.LBB97_21:
	s_or_b32 exec_lo, exec_lo, s35
	v_mov_b32_e32 v32, 0
	s_waitcnt lgkmcnt(0)
	s_barrier
	buffer_gl0_inv
	s_and_saveexec_b32 s5, s10
	s_cbranch_execz .LBB97_23
; %bb.22:
	v_lshl_add_u32 v31, v31, 2, -4
	ds_load_b32 v32, v31
.LBB97_23:
	s_or_b32 exec_lo, exec_lo, s5
	v_add_nc_u32_e32 v31, -1, v12
	s_waitcnt lgkmcnt(0)
	v_add_nc_u32_e32 v30, v32, v30
	s_delay_alu instid0(VALU_DEP_2) | instskip(NEXT) | instid1(VALU_DEP_1)
	v_cmp_gt_i32_e64 s5, 0, v31
	v_cndmask_b32_e64 v31, v31, v12, s5
	v_cmp_eq_u32_e64 s5, 0, v12
	s_delay_alu instid0(VALU_DEP_2) | instskip(SKIP_4) | instid1(VALU_DEP_1)
	v_lshlrev_b32_e32 v31, 2, v31
	ds_bpermute_b32 v30, v31, v30
	s_waitcnt lgkmcnt(0)
	v_cndmask_b32_e64 v30, v30, v32, s5
	v_cmp_ne_u32_e64 s5, 0, v5
	v_cndmask_b32_e64 v30, 0, v30, s5
	v_cmp_gt_u32_e64 s5, 0x100, v5
	s_delay_alu instid0(VALU_DEP_2) | instskip(NEXT) | instid1(VALU_DEP_1)
	v_add_nc_u32_e32 v8, v30, v8
	v_add_nc_u32_e32 v9, v8, v9
	s_delay_alu instid0(VALU_DEP_1) | instskip(NEXT) | instid1(VALU_DEP_1)
	v_add_nc_u32_e32 v6, v9, v6
	v_add_nc_u32_e32 v7, v6, v7
	s_delay_alu instid0(VALU_DEP_1) | instskip(NEXT) | instid1(VALU_DEP_1)
	;; [unrolled: 3-line block ×3, first 2 shown]
	v_add_nc_u32_e32 v1, v4, v1
	v_add_nc_u32_e32 v2, v1, v2
	ds_store_2addr_b32 v16, v30, v8 offset0:32 offset1:33
	ds_store_2addr_b32 v29, v9, v6 offset0:2 offset1:3
	;; [unrolled: 1-line block ×4, first 2 shown]
	ds_store_b32 v29, v2 offset:32
	s_waitcnt lgkmcnt(0)
	s_barrier
	buffer_gl0_inv
	ds_load_b32 v1, v17 offset:128
	ds_load_b32 v2, v21 offset:128
	;; [unrolled: 1-line block ×4, first 2 shown]
                                        ; implicit-def: $vgpr16
                                        ; implicit-def: $vgpr17
	s_and_saveexec_b32 s7, s5
	s_cbranch_execz .LBB97_27
; %bb.24:
	v_mul_u32_u24_e32 v6, 33, v5
	s_mov_b32 s8, exec_lo
	s_delay_alu instid0(VALU_DEP_1)
	v_dual_mov_b32 v6, 0x1000 :: v_dual_lshlrev_b32 v7, 2, v6
	ds_load_b32 v16, v7 offset:128
	v_cmpx_ne_u32_e32 0xff, v5
	s_cbranch_execz .LBB97_26
; %bb.25:
	ds_load_b32 v6, v7 offset:260
.LBB97_26:
	s_or_b32 exec_lo, exec_lo, s8
	s_waitcnt lgkmcnt(0)
	v_sub_nc_u32_e32 v17, v6, v16
.LBB97_27:
	s_or_b32 exec_lo, exec_lo, s7
	s_waitcnt lgkmcnt(3)
	v_add_nc_u32_e32 v21, v1, v14
	s_waitcnt lgkmcnt(2)
	v_add3_u32 v19, v19, v18, v2
	s_waitcnt lgkmcnt(1)
	v_add3_u32 v18, v23, v22, v3
	;; [unrolled: 2-line block ×3, first 2 shown]
	v_lshlrev_b32_e32 v1, 2, v21
	v_lshlrev_b32_e32 v2, 2, v19
	;; [unrolled: 1-line block ×3, first 2 shown]
	s_delay_alu instid0(VALU_DEP_4)
	v_lshlrev_b32_e32 v4, 2, v14
	s_barrier
	buffer_gl0_inv
	ds_store_b32 v1, v11 offset:2048
	ds_store_b32 v2, v15 offset:2048
	ds_store_b32 v3, v20 offset:2048
	ds_store_b32 v4, v24 offset:2048
	s_waitcnt lgkmcnt(0)
	s_barrier
	buffer_gl0_inv
	s_and_saveexec_b32 s7, s5
	s_cbranch_execz .LBB97_37
; %bb.28:
	v_lshl_or_b32 v3, s15, 8, v5
	v_mov_b32_e32 v4, 0
	v_mov_b32_e32 v8, 0
	s_mov_b32 s8, 0
	s_mov_b32 s9, s15
	s_delay_alu instid0(VALU_DEP_2) | instskip(SKIP_1) | instid1(VALU_DEP_2)
	v_lshlrev_b64 v[1:2], 2, v[3:4]
	v_or_b32_e32 v3, 2.0, v17
	v_add_co_u32 v1, s6, s12, v1
	s_delay_alu instid0(VALU_DEP_1)
	v_add_co_ci_u32_e64 v2, s6, s13, v2, s6
                                        ; implicit-def: $sgpr6
	global_store_b32 v[1:2], v3, off
	s_branch .LBB97_30
	.p2align	6
.LBB97_29:                              ;   in Loop: Header=BB97_30 Depth=1
	s_or_b32 exec_lo, exec_lo, s10
	v_and_b32_e32 v6, 0x3fffffff, v9
	v_cmp_eq_u32_e64 s6, 0x80000000, v3
	s_delay_alu instid0(VALU_DEP_2) | instskip(NEXT) | instid1(VALU_DEP_2)
	v_add_nc_u32_e32 v8, v6, v8
	s_and_b32 s10, exec_lo, s6
	s_delay_alu instid0(SALU_CYCLE_1) | instskip(NEXT) | instid1(SALU_CYCLE_1)
	s_or_b32 s8, s10, s8
	s_and_not1_b32 exec_lo, exec_lo, s8
	s_cbranch_execz .LBB97_36
.LBB97_30:                              ; =>This Loop Header: Depth=1
                                        ;     Child Loop BB97_33 Depth 2
	s_or_b32 s6, s6, exec_lo
	s_cmp_eq_u32 s9, 0
	s_cbranch_scc1 .LBB97_35
; %bb.31:                               ;   in Loop: Header=BB97_30 Depth=1
	s_add_i32 s9, s9, -1
	s_mov_b32 s10, exec_lo
	v_lshl_or_b32 v3, s9, 8, v5
	s_delay_alu instid0(VALU_DEP_1) | instskip(NEXT) | instid1(VALU_DEP_1)
	v_lshlrev_b64 v[6:7], 2, v[3:4]
	v_add_co_u32 v6, s6, s12, v6
	s_delay_alu instid0(VALU_DEP_1) | instskip(SKIP_3) | instid1(VALU_DEP_1)
	v_add_co_ci_u32_e64 v7, s6, s13, v7, s6
	global_load_b32 v9, v[6:7], off glc
	s_waitcnt vmcnt(0)
	v_and_b32_e32 v3, -2.0, v9
	v_cmpx_eq_u32_e32 0, v3
	s_cbranch_execz .LBB97_29
; %bb.32:                               ;   in Loop: Header=BB97_30 Depth=1
	s_mov_b32 s11, 0
.LBB97_33:                              ;   Parent Loop BB97_30 Depth=1
                                        ; =>  This Inner Loop Header: Depth=2
	global_load_b32 v9, v[6:7], off glc
	s_waitcnt vmcnt(0)
	v_and_b32_e32 v3, -2.0, v9
	s_delay_alu instid0(VALU_DEP_1) | instskip(NEXT) | instid1(VALU_DEP_1)
	v_cmp_ne_u32_e64 s6, 0, v3
	s_or_b32 s11, s6, s11
	s_delay_alu instid0(SALU_CYCLE_1)
	s_and_not1_b32 exec_lo, exec_lo, s11
	s_cbranch_execnz .LBB97_33
; %bb.34:                               ;   in Loop: Header=BB97_30 Depth=1
	s_or_b32 exec_lo, exec_lo, s11
	s_branch .LBB97_29
.LBB97_35:                              ;   in Loop: Header=BB97_30 Depth=1
                                        ; implicit-def: $sgpr9
	s_and_b32 s10, exec_lo, s6
	s_delay_alu instid0(SALU_CYCLE_1) | instskip(NEXT) | instid1(SALU_CYCLE_1)
	s_or_b32 s8, s10, s8
	s_and_not1_b32 exec_lo, exec_lo, s8
	s_cbranch_execnz .LBB97_30
.LBB97_36:
	s_or_b32 exec_lo, exec_lo, s8
	v_add_nc_u32_e32 v3, v8, v17
	v_lshlrev_b32_e32 v4, 3, v5
	s_delay_alu instid0(VALU_DEP_2) | instskip(SKIP_3) | instid1(VALU_DEP_1)
	v_or_b32_e32 v3, 0x80000000, v3
	global_store_b32 v[1:2], v3, off
	global_load_b64 v[1:2], v4, s[24:25]
	v_sub_co_u32 v3, s6, v8, v16
	v_sub_co_ci_u32_e64 v6, null, 0, 0, s6
	s_waitcnt vmcnt(0)
	s_delay_alu instid0(VALU_DEP_2) | instskip(NEXT) | instid1(VALU_DEP_1)
	v_add_co_u32 v1, s6, v3, v1
	v_add_co_ci_u32_e64 v2, s6, v6, v2, s6
	ds_store_b64 v4, v[1:2]
.LBB97_37:
	s_or_b32 exec_lo, exec_lo, s7
	v_cmp_gt_u32_e64 s6, s34, v5
	s_waitcnt lgkmcnt(0)
	s_waitcnt_vscnt null, 0x0
	s_barrier
	buffer_gl0_inv
	s_and_saveexec_b32 s8, s6
	s_cbranch_execz .LBB97_39
; %bb.38:
	ds_load_b32 v3, v13 offset:2048
	s_waitcnt lgkmcnt(0)
	v_lshrrev_b32_e32 v1, s28, v3
	v_xor_b32_e32 v3, 0x80000000, v3
	s_delay_alu instid0(VALU_DEP_2) | instskip(NEXT) | instid1(VALU_DEP_1)
	v_and_b32_e32 v1, s33, v1
	v_lshlrev_b32_e32 v1, 3, v1
	ds_load_b64 v[1:2], v1
	s_waitcnt lgkmcnt(0)
	v_lshlrev_b64 v[1:2], 2, v[1:2]
	s_delay_alu instid0(VALU_DEP_1) | instskip(NEXT) | instid1(VALU_DEP_1)
	v_add_co_u32 v1, s7, s18, v1
	v_add_co_ci_u32_e64 v2, s7, s19, v2, s7
	s_delay_alu instid0(VALU_DEP_2) | instskip(NEXT) | instid1(VALU_DEP_1)
	v_add_co_u32 v1, s7, v1, v13
	v_add_co_ci_u32_e64 v2, s7, 0, v2, s7
	global_store_b32 v[1:2], v3, off
.LBB97_39:
	s_or_b32 exec_lo, exec_lo, s8
	v_or_b32_e32 v15, 0x400, v5
	s_delay_alu instid0(VALU_DEP_1) | instskip(NEXT) | instid1(VALU_DEP_1)
	v_cmp_gt_u32_e64 s7, s34, v15
	s_and_saveexec_b32 s9, s7
	s_cbranch_execz .LBB97_41
; %bb.40:
	ds_load_b32 v3, v13 offset:6144
	v_lshlrev_b32_e32 v4, 2, v15
	s_waitcnt lgkmcnt(0)
	v_lshrrev_b32_e32 v1, s28, v3
	v_xor_b32_e32 v3, 0x80000000, v3
	s_delay_alu instid0(VALU_DEP_2) | instskip(NEXT) | instid1(VALU_DEP_1)
	v_and_b32_e32 v1, s33, v1
	v_lshlrev_b32_e32 v1, 3, v1
	ds_load_b64 v[1:2], v1
	s_waitcnt lgkmcnt(0)
	v_lshlrev_b64 v[1:2], 2, v[1:2]
	s_delay_alu instid0(VALU_DEP_1) | instskip(NEXT) | instid1(VALU_DEP_1)
	v_add_co_u32 v1, s8, s18, v1
	v_add_co_ci_u32_e64 v2, s8, s19, v2, s8
	s_delay_alu instid0(VALU_DEP_2) | instskip(NEXT) | instid1(VALU_DEP_1)
	v_add_co_u32 v1, s8, v1, v4
	v_add_co_ci_u32_e64 v2, s8, 0, v2, s8
	global_store_b32 v[1:2], v3, off
.LBB97_41:
	s_or_b32 exec_lo, exec_lo, s9
	v_or_b32_e32 v20, 0x800, v5
	s_delay_alu instid0(VALU_DEP_1) | instskip(NEXT) | instid1(VALU_DEP_1)
	v_cmp_gt_u32_e64 s8, s34, v20
	s_and_saveexec_b32 s10, s8
	s_cbranch_execz .LBB97_43
; %bb.42:
	ds_load_b32 v3, v13 offset:10240
	v_lshlrev_b32_e32 v4, 2, v20
	s_waitcnt lgkmcnt(0)
	v_lshrrev_b32_e32 v1, s28, v3
	v_xor_b32_e32 v3, 0x80000000, v3
	s_delay_alu instid0(VALU_DEP_2) | instskip(NEXT) | instid1(VALU_DEP_1)
	v_and_b32_e32 v1, s33, v1
	v_lshlrev_b32_e32 v1, 3, v1
	ds_load_b64 v[1:2], v1
	s_waitcnt lgkmcnt(0)
	v_lshlrev_b64 v[1:2], 2, v[1:2]
	s_delay_alu instid0(VALU_DEP_1) | instskip(NEXT) | instid1(VALU_DEP_1)
	v_add_co_u32 v1, s9, s18, v1
	v_add_co_ci_u32_e64 v2, s9, s19, v2, s9
	s_delay_alu instid0(VALU_DEP_2) | instskip(NEXT) | instid1(VALU_DEP_1)
	v_add_co_u32 v1, s9, v1, v4
	v_add_co_ci_u32_e64 v2, s9, 0, v2, s9
	global_store_b32 v[1:2], v3, off
.LBB97_43:
	;; [unrolled: 26-line block ×3, first 2 shown]
	s_or_b32 exec_lo, exec_lo, s11
	v_lshlrev_b32_e32 v1, 3, v12
	s_lshl_b64 s[10:11], s[30:31], 3
	v_lshlrev_b32_e32 v2, 3, v10
	s_add_u32 s10, s20, s10
	s_addc_u32 s11, s21, s11
	v_add_co_u32 v1, s10, s10, v1
	s_delay_alu instid0(VALU_DEP_1) | instskip(NEXT) | instid1(VALU_DEP_2)
	v_add_co_ci_u32_e64 v3, null, s11, 0, s10
	v_add_co_u32 v10, s10, v1, v2
	s_delay_alu instid0(VALU_DEP_1) | instskip(SKIP_1) | instid1(SALU_CYCLE_1)
	v_add_co_ci_u32_e64 v11, s10, 0, v3, s10
                                        ; implicit-def: $vgpr1_vgpr2
	s_and_saveexec_b32 s10, vcc_lo
	s_xor_b32 s10, exec_lo, s10
	s_cbranch_execnz .LBB97_103
; %bb.46:
	s_or_b32 exec_lo, exec_lo, s10
                                        ; implicit-def: $vgpr3_vgpr4
	s_and_saveexec_b32 s10, s2
	s_cbranch_execnz .LBB97_104
.LBB97_47:
	s_or_b32 exec_lo, exec_lo, s10
                                        ; implicit-def: $vgpr6_vgpr7
	s_and_saveexec_b32 s2, s3
	s_cbranch_execnz .LBB97_105
.LBB97_48:
	s_or_b32 exec_lo, exec_lo, s2
                                        ; implicit-def: $vgpr8_vgpr9
	s_and_saveexec_b32 s2, s4
	s_cbranch_execz .LBB97_50
.LBB97_49:
	global_load_b64 v[8:9], v[10:11], off offset:768
.LBB97_50:
	s_or_b32 exec_lo, exec_lo, s2
	v_dual_mov_b32 v11, 0 :: v_dual_mov_b32 v24, 0
	s_and_saveexec_b32 s2, s6
	s_cbranch_execz .LBB97_52
; %bb.51:
	ds_load_b32 v10, v13 offset:2048
	s_waitcnt lgkmcnt(0)
	v_lshrrev_b32_e32 v10, s28, v10
	s_delay_alu instid0(VALU_DEP_1)
	v_and_b32_e32 v24, s33, v10
.LBB97_52:
	s_or_b32 exec_lo, exec_lo, s2
	s_and_saveexec_b32 s2, s7
	s_cbranch_execz .LBB97_54
; %bb.53:
	ds_load_b32 v10, v13 offset:6144
	s_waitcnt lgkmcnt(0)
	v_lshrrev_b32_e32 v10, s28, v10
	s_delay_alu instid0(VALU_DEP_1)
	v_and_b32_e32 v11, s33, v10
.LBB97_54:
	s_or_b32 exec_lo, exec_lo, s2
	v_dual_mov_b32 v10, 0 :: v_dual_mov_b32 v23, 0
	s_and_saveexec_b32 s2, s8
	s_cbranch_execz .LBB97_56
; %bb.55:
	ds_load_b32 v23, v13 offset:10240
	s_waitcnt lgkmcnt(0)
	v_lshrrev_b32_e32 v23, s28, v23
	s_delay_alu instid0(VALU_DEP_1)
	v_and_b32_e32 v23, s33, v23
.LBB97_56:
	s_or_b32 exec_lo, exec_lo, s2
	s_and_saveexec_b32 s2, s9
	s_cbranch_execz .LBB97_58
; %bb.57:
	ds_load_b32 v10, v13 offset:14336
	s_waitcnt lgkmcnt(0)
	v_lshrrev_b32_e32 v10, s28, v10
	s_delay_alu instid0(VALU_DEP_1)
	v_and_b32_e32 v10, s33, v10
.LBB97_58:
	s_or_b32 exec_lo, exec_lo, s2
	v_lshlrev_b32_e32 v13, 3, v21
	v_lshlrev_b32_e32 v19, 3, v19
	;; [unrolled: 1-line block ×3, first 2 shown]
	s_waitcnt vmcnt(0)
	s_waitcnt_vscnt null, 0x0
	s_barrier
	buffer_gl0_inv
	v_lshlrev_b32_e32 v14, 3, v14
	ds_store_b64 v13, v[1:2] offset:2048
	ds_store_b64 v19, v[3:4] offset:2048
	;; [unrolled: 1-line block ×3, first 2 shown]
	v_lshlrev_b32_e32 v1, 3, v5
	ds_store_b64 v14, v[8:9] offset:2048
	s_waitcnt lgkmcnt(0)
	s_barrier
	buffer_gl0_inv
	s_and_saveexec_b32 s2, s6
	s_cbranch_execnz .LBB97_106
; %bb.59:
	s_or_b32 exec_lo, exec_lo, s2
	s_and_saveexec_b32 s2, s7
	s_cbranch_execnz .LBB97_107
.LBB97_60:
	s_or_b32 exec_lo, exec_lo, s2
	s_and_saveexec_b32 s2, s8
	s_cbranch_execnz .LBB97_108
.LBB97_61:
	s_or_b32 exec_lo, exec_lo, s2
	s_and_saveexec_b32 s2, s9
	s_cbranch_execz .LBB97_63
.LBB97_62:
	v_lshlrev_b32_e32 v2, 3, v10
	ds_load_b64 v[2:3], v2
	ds_load_b64 v[6:7], v1 offset:26624
	s_waitcnt lgkmcnt(1)
	v_lshlrev_b64 v[1:2], 3, v[2:3]
	v_lshlrev_b32_e32 v3, 3, v22
	s_delay_alu instid0(VALU_DEP_2) | instskip(NEXT) | instid1(VALU_DEP_3)
	v_add_co_u32 v1, vcc_lo, s22, v1
	v_add_co_ci_u32_e32 v2, vcc_lo, s23, v2, vcc_lo
	s_delay_alu instid0(VALU_DEP_2) | instskip(NEXT) | instid1(VALU_DEP_2)
	v_add_co_u32 v1, vcc_lo, v1, v3
	v_add_co_ci_u32_e32 v2, vcc_lo, 0, v2, vcc_lo
	s_waitcnt lgkmcnt(0)
	global_store_b64 v[1:2], v[6:7], off
.LBB97_63:
	s_or_b32 exec_lo, exec_lo, s2
	s_add_i32 s14, s14, -1
	s_mov_b32 s2, 0
	s_cmp_eq_u32 s15, s14
	s_mov_b32 s8, 0
	s_cselect_b32 s3, -1, 0
                                        ; implicit-def: $vgpr2_vgpr3
	s_delay_alu instid0(SALU_CYCLE_1) | instskip(NEXT) | instid1(SALU_CYCLE_1)
	s_and_b32 s3, s5, s3
	s_and_saveexec_b32 s4, s3
	s_delay_alu instid0(SALU_CYCLE_1)
	s_xor_b32 s3, exec_lo, s4
; %bb.64:
	v_add_co_u32 v2, s4, v16, v17
	v_mov_b32_e32 v6, 0
	v_add_co_ci_u32_e64 v3, null, 0, 0, s4
	s_mov_b32 s8, exec_lo
; %bb.65:
	s_or_b32 exec_lo, exec_lo, s3
	s_delay_alu instid0(SALU_CYCLE_1)
	s_and_b32 vcc_lo, exec_lo, s2
	s_cbranch_vccnz .LBB97_67
	s_branch .LBB97_100
.LBB97_66:
	s_mov_b32 s8, 0
                                        ; implicit-def: $vgpr2_vgpr3
	s_cbranch_execz .LBB97_100
.LBB97_67:
	v_dual_mov_b32 v9, 0 :: v_dual_lshlrev_b32 v4, 2, v5
	s_lshl_b32 s6, s15, 12
	s_mov_b32 s7, 0
	v_lshlrev_b32_e32 v1, 2, v12
	s_delay_alu instid0(VALU_DEP_2) | instskip(SKIP_1) | instid1(SALU_CYCLE_1)
	v_and_b32_e32 v10, 0xf80, v4
	s_lshl_b64 s[2:3], s[6:7], 2
	s_add_u32 s2, s16, s2
	s_addc_u32 s3, s17, s3
	s_delay_alu instid0(VALU_DEP_1) | instskip(SKIP_1) | instid1(VALU_DEP_1)
	v_lshlrev_b32_e32 v2, 2, v10
	v_add_co_u32 v1, s2, s2, v1
	v_add_co_ci_u32_e64 v3, null, s3, 0, s2
	s_delay_alu instid0(VALU_DEP_2) | instskip(NEXT) | instid1(VALU_DEP_2)
	v_add_co_u32 v6, vcc_lo, v1, v2
	v_add_co_ci_u32_e32 v7, vcc_lo, 0, v3, vcc_lo
	global_load_b32 v8, v[6:7], off
	s_clause 0x1
	s_load_b32 s2, s[0:1], 0x5c
	s_load_b32 s9, s[0:1], 0x50
	s_add_u32 s0, s0, 0x50
	s_addc_u32 s1, s1, 0
	s_waitcnt lgkmcnt(0)
	s_lshr_b32 s2, s2, 16
	s_cmp_lt_u32 s15, s9
	s_cselect_b32 s3, 12, 18
	s_delay_alu instid0(SALU_CYCLE_1)
	s_add_u32 s0, s0, s3
	s_addc_u32 s1, s1, 0
	global_load_u16 v13, v9, s[0:1]
	s_clause 0x2
	global_load_b32 v3, v[6:7], off offset:128
	global_load_b32 v2, v[6:7], off offset:256
	;; [unrolled: 1-line block ×3, first 2 shown]
	s_lshl_b32 s0, -1, s29
	s_delay_alu instid0(SALU_CYCLE_1) | instskip(SKIP_2) | instid1(VALU_DEP_1)
	s_not_b32 s10, s0
	s_waitcnt vmcnt(4)
	v_xor_b32_e32 v11, 0x80000000, v8
	v_lshrrev_b32_e32 v6, s28, v11
	s_delay_alu instid0(VALU_DEP_1) | instskip(SKIP_2) | instid1(VALU_DEP_3)
	v_and_b32_e32 v14, s10, v6
	v_bfe_u32 v6, v0, 10, 10
	v_bfe_u32 v0, v0, 20, 10
	v_and_b32_e32 v7, 1, v14
	v_lshlrev_b32_e32 v8, 30, v14
	v_lshlrev_b32_e32 v15, 29, v14
	v_lshlrev_b32_e32 v16, 28, v14
	v_lshlrev_b32_e32 v18, 27, v14
	v_add_co_u32 v7, s0, v7, -1
	s_delay_alu instid0(VALU_DEP_1)
	v_cndmask_b32_e64 v17, 0, 1, s0
	v_not_b32_e32 v21, v8
	v_cmp_gt_i32_e64 s0, 0, v8
	v_not_b32_e32 v8, v15
	v_lshlrev_b32_e32 v19, 26, v14
	v_cmp_ne_u32_e32 vcc_lo, 0, v17
	v_ashrrev_i32_e32 v21, 31, v21
	v_lshlrev_b32_e32 v20, 25, v14
	v_ashrrev_i32_e32 v8, 31, v8
	v_lshlrev_b32_e32 v17, 24, v14
	v_xor_b32_e32 v7, vcc_lo, v7
	v_cmp_gt_i32_e32 vcc_lo, 0, v15
	v_not_b32_e32 v15, v16
	v_xor_b32_e32 v21, s0, v21
	v_cmp_gt_i32_e64 s0, 0, v16
	v_and_b32_e32 v7, exec_lo, v7
	v_not_b32_e32 v16, v18
	v_ashrrev_i32_e32 v15, 31, v15
	v_xor_b32_e32 v8, vcc_lo, v8
	v_cmp_gt_i32_e32 vcc_lo, 0, v18
	v_and_b32_e32 v7, v7, v21
	v_not_b32_e32 v18, v19
	v_ashrrev_i32_e32 v16, 31, v16
	v_xor_b32_e32 v15, s0, v15
	v_cmp_gt_i32_e64 s0, 0, v19
	v_and_b32_e32 v7, v7, v8
	v_not_b32_e32 v8, v20
	v_ashrrev_i32_e32 v18, 31, v18
	v_xor_b32_e32 v16, vcc_lo, v16
	v_cmp_gt_i32_e32 vcc_lo, 0, v20
	v_and_b32_e32 v7, v7, v15
	v_not_b32_e32 v15, v17
	v_ashrrev_i32_e32 v8, 31, v8
	v_xor_b32_e32 v18, s0, v18
	v_cmp_gt_i32_e64 s0, 0, v17
	v_and_b32_e32 v7, v7, v16
	v_ashrrev_i32_e32 v15, 31, v15
	v_xor_b32_e32 v8, vcc_lo, v8
	v_mad_u32_u24 v0, v0, s2, v6
	v_mul_u32_u24_e32 v16, 9, v5
	v_and_b32_e32 v7, v7, v18
	v_xor_b32_e32 v6, s0, v15
	s_delay_alu instid0(VALU_DEP_3) | instskip(NEXT) | instid1(VALU_DEP_3)
	v_lshlrev_b32_e32 v15, 2, v16
	v_and_b32_e32 v17, v7, v8
	s_waitcnt vmcnt(3)
	s_delay_alu instid0(VALU_DEP_3)
	v_mad_u64_u32 v[7:8], null, v0, v13, v[5:6]
	v_lshl_add_u32 v8, v14, 5, v14
	ds_store_2addr_b32 v15, v9, v9 offset0:32 offset1:33
	ds_store_2addr_b32 v15, v9, v9 offset0:34 offset1:35
	;; [unrolled: 1-line block ×4, first 2 shown]
	v_and_b32_e32 v6, v17, v6
	ds_store_b32 v15, v9 offset:160
	s_waitcnt vmcnt(0) lgkmcnt(0)
	s_waitcnt_vscnt null, 0x0
	s_barrier
	v_lshrrev_b32_e32 v0, 5, v7
	v_mbcnt_lo_u32_b32 v13, v6, 0
	v_cmp_ne_u32_e64 s0, 0, v6
	buffer_gl0_inv
	v_add_lshl_u32 v16, v0, v8, 2
	v_cmp_eq_u32_e32 vcc_lo, 0, v13
	; wave barrier
	s_and_b32 s1, s0, vcc_lo
	s_delay_alu instid0(SALU_CYCLE_1)
	s_and_saveexec_b32 s0, s1
	s_cbranch_execz .LBB97_69
; %bb.68:
	v_bcnt_u32_b32 v6, v6, 0
	ds_store_b32 v16, v6 offset:128
.LBB97_69:
	s_or_b32 exec_lo, exec_lo, s0
	v_xor_b32_e32 v14, 0x80000000, v3
	; wave barrier
	s_delay_alu instid0(VALU_DEP_1) | instskip(NEXT) | instid1(VALU_DEP_1)
	v_lshrrev_b32_e32 v3, s28, v14
	v_and_b32_e32 v3, s10, v3
	s_delay_alu instid0(VALU_DEP_1)
	v_and_b32_e32 v6, 1, v3
	v_lshlrev_b32_e32 v7, 30, v3
	v_lshlrev_b32_e32 v8, 29, v3
	v_lshlrev_b32_e32 v9, 28, v3
	v_lshlrev_b32_e32 v18, 27, v3
	v_add_co_u32 v6, s0, v6, -1
	s_delay_alu instid0(VALU_DEP_1)
	v_cndmask_b32_e64 v17, 0, 1, s0
	v_not_b32_e32 v21, v7
	v_cmp_gt_i32_e64 s0, 0, v7
	v_not_b32_e32 v7, v8
	v_lshlrev_b32_e32 v19, 26, v3
	v_cmp_ne_u32_e32 vcc_lo, 0, v17
	v_ashrrev_i32_e32 v21, 31, v21
	v_lshlrev_b32_e32 v20, 25, v3
	v_ashrrev_i32_e32 v7, 31, v7
	v_lshlrev_b32_e32 v17, 24, v3
	v_xor_b32_e32 v6, vcc_lo, v6
	v_cmp_gt_i32_e32 vcc_lo, 0, v8
	v_not_b32_e32 v8, v9
	v_xor_b32_e32 v21, s0, v21
	v_cmp_gt_i32_e64 s0, 0, v9
	v_and_b32_e32 v6, exec_lo, v6
	v_not_b32_e32 v9, v18
	v_ashrrev_i32_e32 v8, 31, v8
	v_xor_b32_e32 v7, vcc_lo, v7
	v_cmp_gt_i32_e32 vcc_lo, 0, v18
	v_and_b32_e32 v6, v6, v21
	v_not_b32_e32 v18, v19
	v_ashrrev_i32_e32 v9, 31, v9
	v_xor_b32_e32 v8, s0, v8
	v_cmp_gt_i32_e64 s0, 0, v19
	v_and_b32_e32 v6, v6, v7
	v_not_b32_e32 v7, v20
	v_ashrrev_i32_e32 v18, 31, v18
	v_xor_b32_e32 v9, vcc_lo, v9
	v_cmp_gt_i32_e32 vcc_lo, 0, v20
	v_and_b32_e32 v6, v6, v8
	v_not_b32_e32 v8, v17
	v_ashrrev_i32_e32 v7, 31, v7
	v_xor_b32_e32 v18, s0, v18
	v_lshl_add_u32 v3, v3, 5, v3
	v_and_b32_e32 v6, v6, v9
	v_cmp_gt_i32_e64 s0, 0, v17
	v_ashrrev_i32_e32 v8, 31, v8
	v_xor_b32_e32 v7, vcc_lo, v7
	v_add_lshl_u32 v20, v0, v3, 2
	v_and_b32_e32 v6, v6, v18
	s_delay_alu instid0(VALU_DEP_4) | instskip(SKIP_2) | instid1(VALU_DEP_1)
	v_xor_b32_e32 v3, s0, v8
	ds_load_b32 v17, v20 offset:128
	v_and_b32_e32 v6, v6, v7
	; wave barrier
	v_and_b32_e32 v3, v6, v3
	s_delay_alu instid0(VALU_DEP_1) | instskip(SKIP_1) | instid1(VALU_DEP_2)
	v_mbcnt_lo_u32_b32 v18, v3, 0
	v_cmp_ne_u32_e64 s0, 0, v3
	v_cmp_eq_u32_e32 vcc_lo, 0, v18
	s_delay_alu instid0(VALU_DEP_2) | instskip(NEXT) | instid1(SALU_CYCLE_1)
	s_and_b32 s1, s0, vcc_lo
	s_and_saveexec_b32 s0, s1
	s_cbranch_execz .LBB97_71
; %bb.70:
	s_waitcnt lgkmcnt(0)
	v_bcnt_u32_b32 v3, v3, v17
	ds_store_b32 v20, v3 offset:128
.LBB97_71:
	s_or_b32 exec_lo, exec_lo, s0
	v_xor_b32_e32 v19, 0x80000000, v2
	; wave barrier
	s_delay_alu instid0(VALU_DEP_1) | instskip(NEXT) | instid1(VALU_DEP_1)
	v_lshrrev_b32_e32 v2, s28, v19
	v_and_b32_e32 v2, s10, v2
	s_delay_alu instid0(VALU_DEP_1)
	v_and_b32_e32 v3, 1, v2
	v_lshlrev_b32_e32 v6, 30, v2
	v_lshlrev_b32_e32 v7, 29, v2
	;; [unrolled: 1-line block ×4, first 2 shown]
	v_add_co_u32 v3, s0, v3, -1
	s_delay_alu instid0(VALU_DEP_1)
	v_cndmask_b32_e64 v9, 0, 1, s0
	v_not_b32_e32 v24, v6
	v_cmp_gt_i32_e64 s0, 0, v6
	v_not_b32_e32 v6, v7
	v_lshlrev_b32_e32 v22, 26, v2
	v_cmp_ne_u32_e32 vcc_lo, 0, v9
	v_ashrrev_i32_e32 v24, 31, v24
	v_lshlrev_b32_e32 v23, 25, v2
	v_ashrrev_i32_e32 v6, 31, v6
	v_lshlrev_b32_e32 v9, 24, v2
	v_xor_b32_e32 v3, vcc_lo, v3
	v_cmp_gt_i32_e32 vcc_lo, 0, v7
	v_not_b32_e32 v7, v8
	v_xor_b32_e32 v24, s0, v24
	v_cmp_gt_i32_e64 s0, 0, v8
	v_and_b32_e32 v3, exec_lo, v3
	v_not_b32_e32 v8, v21
	v_ashrrev_i32_e32 v7, 31, v7
	v_xor_b32_e32 v6, vcc_lo, v6
	v_cmp_gt_i32_e32 vcc_lo, 0, v21
	v_and_b32_e32 v3, v3, v24
	v_not_b32_e32 v21, v22
	v_ashrrev_i32_e32 v8, 31, v8
	v_xor_b32_e32 v7, s0, v7
	v_cmp_gt_i32_e64 s0, 0, v22
	v_and_b32_e32 v3, v3, v6
	v_not_b32_e32 v6, v23
	v_ashrrev_i32_e32 v21, 31, v21
	v_xor_b32_e32 v8, vcc_lo, v8
	v_cmp_gt_i32_e32 vcc_lo, 0, v23
	v_and_b32_e32 v3, v3, v7
	v_not_b32_e32 v7, v9
	v_ashrrev_i32_e32 v6, 31, v6
	v_xor_b32_e32 v21, s0, v21
	v_lshl_add_u32 v2, v2, 5, v2
	v_and_b32_e32 v3, v3, v8
	v_cmp_gt_i32_e64 s0, 0, v9
	v_ashrrev_i32_e32 v7, 31, v7
	v_xor_b32_e32 v6, vcc_lo, v6
	v_add_lshl_u32 v24, v0, v2, 2
	v_and_b32_e32 v3, v3, v21
	s_delay_alu instid0(VALU_DEP_4) | instskip(SKIP_2) | instid1(VALU_DEP_1)
	v_xor_b32_e32 v2, s0, v7
	ds_load_b32 v21, v24 offset:128
	v_and_b32_e32 v3, v3, v6
	; wave barrier
	v_and_b32_e32 v2, v3, v2
	s_delay_alu instid0(VALU_DEP_1) | instskip(SKIP_1) | instid1(VALU_DEP_2)
	v_mbcnt_lo_u32_b32 v22, v2, 0
	v_cmp_ne_u32_e64 s0, 0, v2
	v_cmp_eq_u32_e32 vcc_lo, 0, v22
	s_delay_alu instid0(VALU_DEP_2) | instskip(NEXT) | instid1(SALU_CYCLE_1)
	s_and_b32 s1, s0, vcc_lo
	s_and_saveexec_b32 s0, s1
	s_cbranch_execz .LBB97_73
; %bb.72:
	s_waitcnt lgkmcnt(0)
	v_bcnt_u32_b32 v2, v2, v21
	ds_store_b32 v24, v2 offset:128
.LBB97_73:
	s_or_b32 exec_lo, exec_lo, s0
	v_xor_b32_e32 v23, 0x80000000, v1
	; wave barrier
	v_add_nc_u32_e32 v28, 0x80, v15
	s_delay_alu instid0(VALU_DEP_2) | instskip(NEXT) | instid1(VALU_DEP_1)
	v_lshrrev_b32_e32 v1, s28, v23
	v_and_b32_e32 v1, s10, v1
	s_delay_alu instid0(VALU_DEP_1)
	v_and_b32_e32 v2, 1, v1
	v_lshlrev_b32_e32 v3, 30, v1
	v_lshlrev_b32_e32 v6, 29, v1
	;; [unrolled: 1-line block ×4, first 2 shown]
	v_add_co_u32 v2, s0, v2, -1
	s_delay_alu instid0(VALU_DEP_1)
	v_cndmask_b32_e64 v8, 0, 1, s0
	v_not_b32_e32 v27, v3
	v_cmp_gt_i32_e64 s0, 0, v3
	v_not_b32_e32 v3, v6
	v_lshlrev_b32_e32 v25, 26, v1
	v_cmp_ne_u32_e32 vcc_lo, 0, v8
	v_ashrrev_i32_e32 v27, 31, v27
	v_lshlrev_b32_e32 v26, 25, v1
	v_ashrrev_i32_e32 v3, 31, v3
	v_lshlrev_b32_e32 v8, 24, v1
	v_xor_b32_e32 v2, vcc_lo, v2
	v_cmp_gt_i32_e32 vcc_lo, 0, v6
	v_not_b32_e32 v6, v7
	v_xor_b32_e32 v27, s0, v27
	v_cmp_gt_i32_e64 s0, 0, v7
	v_and_b32_e32 v2, exec_lo, v2
	v_not_b32_e32 v7, v9
	v_ashrrev_i32_e32 v6, 31, v6
	v_xor_b32_e32 v3, vcc_lo, v3
	v_cmp_gt_i32_e32 vcc_lo, 0, v9
	v_and_b32_e32 v2, v2, v27
	v_not_b32_e32 v9, v25
	v_ashrrev_i32_e32 v7, 31, v7
	v_xor_b32_e32 v6, s0, v6
	v_cmp_gt_i32_e64 s0, 0, v25
	v_and_b32_e32 v2, v2, v3
	v_not_b32_e32 v3, v26
	v_ashrrev_i32_e32 v9, 31, v9
	v_xor_b32_e32 v7, vcc_lo, v7
	v_cmp_gt_i32_e32 vcc_lo, 0, v26
	v_and_b32_e32 v2, v2, v6
	v_not_b32_e32 v6, v8
	v_ashrrev_i32_e32 v3, 31, v3
	v_xor_b32_e32 v9, s0, v9
	v_lshl_add_u32 v1, v1, 5, v1
	v_and_b32_e32 v2, v2, v7
	v_cmp_gt_i32_e64 s0, 0, v8
	v_ashrrev_i32_e32 v6, 31, v6
	v_xor_b32_e32 v3, vcc_lo, v3
	v_add_lshl_u32 v27, v0, v1, 2
	v_and_b32_e32 v2, v2, v9
	s_delay_alu instid0(VALU_DEP_4) | instskip(SKIP_2) | instid1(VALU_DEP_1)
	v_xor_b32_e32 v0, s0, v6
	ds_load_b32 v25, v27 offset:128
	v_and_b32_e32 v1, v2, v3
	; wave barrier
	v_and_b32_e32 v0, v1, v0
	s_delay_alu instid0(VALU_DEP_1) | instskip(SKIP_1) | instid1(VALU_DEP_2)
	v_mbcnt_lo_u32_b32 v26, v0, 0
	v_cmp_ne_u32_e64 s0, 0, v0
	v_cmp_eq_u32_e32 vcc_lo, 0, v26
	s_delay_alu instid0(VALU_DEP_2) | instskip(NEXT) | instid1(SALU_CYCLE_1)
	s_and_b32 s1, s0, vcc_lo
	s_and_saveexec_b32 s0, s1
	s_cbranch_execz .LBB97_75
; %bb.74:
	s_waitcnt lgkmcnt(0)
	v_bcnt_u32_b32 v0, v0, v25
	ds_store_b32 v27, v0 offset:128
.LBB97_75:
	s_or_b32 exec_lo, exec_lo, s0
	; wave barrier
	s_waitcnt lgkmcnt(0)
	s_barrier
	buffer_gl0_inv
	ds_load_2addr_b32 v[8:9], v15 offset0:32 offset1:33
	ds_load_2addr_b32 v[6:7], v28 offset0:2 offset1:3
	;; [unrolled: 1-line block ×4, first 2 shown]
	ds_load_b32 v29, v28 offset:32
	v_and_b32_e32 v32, 16, v12
	v_and_b32_e32 v33, 31, v5
	s_mov_b32 s5, exec_lo
	s_delay_alu instid0(VALU_DEP_2) | instskip(SKIP_3) | instid1(VALU_DEP_1)
	v_cmp_eq_u32_e64 s3, 0, v32
	s_waitcnt lgkmcnt(3)
	v_add3_u32 v30, v9, v8, v6
	s_waitcnt lgkmcnt(2)
	v_add3_u32 v30, v30, v7, v2
	s_waitcnt lgkmcnt(1)
	s_delay_alu instid0(VALU_DEP_1) | instskip(SKIP_1) | instid1(VALU_DEP_1)
	v_add3_u32 v30, v30, v3, v0
	s_waitcnt lgkmcnt(0)
	v_add3_u32 v29, v30, v1, v29
	v_and_b32_e32 v30, 15, v12
	s_delay_alu instid0(VALU_DEP_2) | instskip(NEXT) | instid1(VALU_DEP_2)
	v_mov_b32_dpp v31, v29 row_shr:1 row_mask:0xf bank_mask:0xf
	v_cmp_eq_u32_e32 vcc_lo, 0, v30
	v_cmp_lt_u32_e64 s0, 1, v30
	v_cmp_lt_u32_e64 s1, 3, v30
	;; [unrolled: 1-line block ×3, first 2 shown]
	v_cndmask_b32_e64 v31, v31, 0, vcc_lo
	s_delay_alu instid0(VALU_DEP_1) | instskip(NEXT) | instid1(VALU_DEP_1)
	v_add_nc_u32_e32 v29, v31, v29
	v_mov_b32_dpp v31, v29 row_shr:2 row_mask:0xf bank_mask:0xf
	s_delay_alu instid0(VALU_DEP_1) | instskip(NEXT) | instid1(VALU_DEP_1)
	v_cndmask_b32_e64 v31, 0, v31, s0
	v_add_nc_u32_e32 v29, v29, v31
	s_delay_alu instid0(VALU_DEP_1) | instskip(NEXT) | instid1(VALU_DEP_1)
	v_mov_b32_dpp v31, v29 row_shr:4 row_mask:0xf bank_mask:0xf
	v_cndmask_b32_e64 v31, 0, v31, s1
	s_delay_alu instid0(VALU_DEP_1) | instskip(NEXT) | instid1(VALU_DEP_1)
	v_add_nc_u32_e32 v29, v29, v31
	v_mov_b32_dpp v31, v29 row_shr:8 row_mask:0xf bank_mask:0xf
	s_delay_alu instid0(VALU_DEP_1) | instskip(SKIP_1) | instid1(VALU_DEP_2)
	v_cndmask_b32_e64 v30, 0, v31, s2
	v_bfe_i32 v31, v12, 4, 1
	v_add_nc_u32_e32 v29, v29, v30
	ds_swizzle_b32 v30, v29 offset:swizzle(BROADCAST,32,15)
	s_waitcnt lgkmcnt(0)
	v_and_b32_e32 v31, v31, v30
	v_lshrrev_b32_e32 v30, 5, v5
	s_delay_alu instid0(VALU_DEP_2)
	v_add_nc_u32_e32 v29, v29, v31
	v_cmpx_eq_u32_e32 31, v33
	s_cbranch_execz .LBB97_77
; %bb.76:
	s_delay_alu instid0(VALU_DEP_3)
	v_lshlrev_b32_e32 v31, 2, v30
	ds_store_b32 v31, v29
.LBB97_77:
	s_or_b32 exec_lo, exec_lo, s5
	v_cmp_lt_u32_e64 s4, 31, v5
	s_mov_b32 s11, exec_lo
	s_waitcnt lgkmcnt(0)
	s_barrier
	buffer_gl0_inv
	v_cmpx_gt_u32_e32 32, v5
	s_cbranch_execz .LBB97_79
; %bb.78:
	ds_load_b32 v31, v4
	s_waitcnt lgkmcnt(0)
	v_mov_b32_dpp v32, v31 row_shr:1 row_mask:0xf bank_mask:0xf
	s_delay_alu instid0(VALU_DEP_1) | instskip(NEXT) | instid1(VALU_DEP_1)
	v_cndmask_b32_e64 v32, v32, 0, vcc_lo
	v_add_nc_u32_e32 v31, v32, v31
	s_delay_alu instid0(VALU_DEP_1) | instskip(NEXT) | instid1(VALU_DEP_1)
	v_mov_b32_dpp v32, v31 row_shr:2 row_mask:0xf bank_mask:0xf
	v_cndmask_b32_e64 v32, 0, v32, s0
	s_delay_alu instid0(VALU_DEP_1) | instskip(NEXT) | instid1(VALU_DEP_1)
	v_add_nc_u32_e32 v31, v31, v32
	v_mov_b32_dpp v32, v31 row_shr:4 row_mask:0xf bank_mask:0xf
	s_delay_alu instid0(VALU_DEP_1) | instskip(NEXT) | instid1(VALU_DEP_1)
	v_cndmask_b32_e64 v32, 0, v32, s1
	v_add_nc_u32_e32 v31, v31, v32
	s_delay_alu instid0(VALU_DEP_1) | instskip(NEXT) | instid1(VALU_DEP_1)
	v_mov_b32_dpp v32, v31 row_shr:8 row_mask:0xf bank_mask:0xf
	v_cndmask_b32_e64 v32, 0, v32, s2
	s_delay_alu instid0(VALU_DEP_1) | instskip(SKIP_3) | instid1(VALU_DEP_1)
	v_add_nc_u32_e32 v31, v31, v32
	ds_swizzle_b32 v32, v31 offset:swizzle(BROADCAST,32,15)
	s_waitcnt lgkmcnt(0)
	v_cndmask_b32_e64 v32, v32, 0, s3
	v_add_nc_u32_e32 v31, v31, v32
	ds_store_b32 v4, v31
.LBB97_79:
	s_or_b32 exec_lo, exec_lo, s11
	v_mov_b32_e32 v31, 0
	s_waitcnt lgkmcnt(0)
	s_barrier
	buffer_gl0_inv
	s_and_saveexec_b32 s0, s4
	s_cbranch_execz .LBB97_81
; %bb.80:
	v_lshl_add_u32 v30, v30, 2, -4
	ds_load_b32 v31, v30
.LBB97_81:
	s_or_b32 exec_lo, exec_lo, s0
	v_add_nc_u32_e32 v30, -1, v12
	v_cmp_lt_u32_e64 s0, 0xff, v5
	s_waitcnt lgkmcnt(0)
	v_add_nc_u32_e32 v29, v31, v29
	s_delay_alu instid0(VALU_DEP_3) | instskip(SKIP_2) | instid1(VALU_DEP_2)
	v_cmp_gt_i32_e32 vcc_lo, 0, v30
	v_cndmask_b32_e32 v30, v30, v12, vcc_lo
	v_cmp_eq_u32_e32 vcc_lo, 0, v12
	v_lshlrev_b32_e32 v30, 2, v30
	ds_bpermute_b32 v29, v30, v29
	s_waitcnt lgkmcnt(0)
	v_cndmask_b32_e32 v29, v29, v31, vcc_lo
	v_cmp_ne_u32_e32 vcc_lo, 0, v5
	s_delay_alu instid0(VALU_DEP_2) | instskip(SKIP_1) | instid1(VALU_DEP_2)
	v_cndmask_b32_e32 v29, 0, v29, vcc_lo
	v_cmp_gt_u32_e32 vcc_lo, 0x100, v5
	v_add_nc_u32_e32 v8, v29, v8
	s_delay_alu instid0(VALU_DEP_1) | instskip(NEXT) | instid1(VALU_DEP_1)
	v_add_nc_u32_e32 v9, v8, v9
	v_add_nc_u32_e32 v6, v9, v6
	s_delay_alu instid0(VALU_DEP_1) | instskip(NEXT) | instid1(VALU_DEP_1)
	v_add_nc_u32_e32 v7, v6, v7
	;; [unrolled: 3-line block ×3, first 2 shown]
	v_add_nc_u32_e32 v0, v3, v0
	s_delay_alu instid0(VALU_DEP_1)
	v_add_nc_u32_e32 v1, v0, v1
	ds_store_2addr_b32 v15, v29, v8 offset0:32 offset1:33
	ds_store_2addr_b32 v28, v9, v6 offset0:2 offset1:3
	;; [unrolled: 1-line block ×4, first 2 shown]
	ds_store_b32 v28, v1 offset:32
	v_mov_b32_e32 v0, 0
	s_waitcnt lgkmcnt(0)
	s_barrier
	buffer_gl0_inv
	ds_load_b32 v2, v16 offset:128
	ds_load_b32 v3, v20 offset:128
	;; [unrolled: 1-line block ×4, first 2 shown]
	v_mov_b32_e32 v1, 0
                                        ; implicit-def: $vgpr15
	s_and_saveexec_b32 s2, vcc_lo
	s_cbranch_execz .LBB97_85
; %bb.82:
	v_mul_u32_u24_e32 v0, 33, v5
	s_mov_b32 s3, exec_lo
	s_delay_alu instid0(VALU_DEP_1)
	v_dual_mov_b32 v1, 0x1000 :: v_dual_lshlrev_b32 v8, 2, v0
	ds_load_b32 v0, v8 offset:128
	v_cmpx_ne_u32_e32 0xff, v5
	s_cbranch_execz .LBB97_84
; %bb.83:
	ds_load_b32 v1, v8 offset:260
.LBB97_84:
	s_or_b32 exec_lo, exec_lo, s3
	s_waitcnt lgkmcnt(0)
	v_sub_nc_u32_e32 v15, v1, v0
	v_mov_b32_e32 v1, 0
.LBB97_85:
	s_or_b32 exec_lo, exec_lo, s2
	s_waitcnt lgkmcnt(3)
	v_add_nc_u32_e32 v20, v2, v13
	s_waitcnt lgkmcnt(1)
	v_add3_u32 v16, v22, v21, v6
	v_add3_u32 v17, v18, v17, v3
	s_waitcnt lgkmcnt(0)
	v_add3_u32 v13, v26, v25, v7
	v_lshlrev_b32_e32 v2, 2, v20
	v_lshlrev_b32_e32 v6, 2, v16
	;; [unrolled: 1-line block ×3, first 2 shown]
	s_delay_alu instid0(VALU_DEP_4)
	v_lshlrev_b32_e32 v7, 2, v13
	s_barrier
	buffer_gl0_inv
	ds_store_b32 v2, v11 offset:2048
	ds_store_b32 v3, v14 offset:2048
	;; [unrolled: 1-line block ×4, first 2 shown]
	s_waitcnt lgkmcnt(0)
	s_barrier
	buffer_gl0_inv
	s_and_saveexec_b32 s1, s0
	s_delay_alu instid0(SALU_CYCLE_1)
	s_xor_b32 s0, exec_lo, s1
; %bb.86:
	v_mov_b32_e32 v6, 0
; %bb.87:
	s_and_not1_saveexec_b32 s1, s0
	s_cbranch_execz .LBB97_97
; %bb.88:
	v_lshl_or_b32 v6, s15, 8, v5
	v_mov_b32_e32 v7, 0
	v_mov_b32_e32 v11, 0
	s_mov_b32 s2, 0
	s_mov_b32 s3, s15
	s_delay_alu instid0(VALU_DEP_2) | instskip(SKIP_1) | instid1(VALU_DEP_2)
	v_lshlrev_b64 v[2:3], 2, v[6:7]
	v_or_b32_e32 v6, 2.0, v15
	v_add_co_u32 v2, s0, s12, v2
	s_delay_alu instid0(VALU_DEP_1)
	v_add_co_ci_u32_e64 v3, s0, s13, v3, s0
                                        ; implicit-def: $sgpr0
	global_store_b32 v[2:3], v6, off
	s_branch .LBB97_91
	.p2align	6
.LBB97_89:                              ;   in Loop: Header=BB97_91 Depth=1
	s_or_b32 exec_lo, exec_lo, s5
.LBB97_90:                              ;   in Loop: Header=BB97_91 Depth=1
	s_delay_alu instid0(SALU_CYCLE_1) | instskip(SKIP_2) | instid1(VALU_DEP_2)
	s_or_b32 exec_lo, exec_lo, s4
	v_and_b32_e32 v8, 0x3fffffff, v14
	v_cmp_eq_u32_e64 s0, 0x80000000, v6
	v_add_nc_u32_e32 v11, v8, v11
	s_delay_alu instid0(VALU_DEP_2) | instskip(NEXT) | instid1(SALU_CYCLE_1)
	s_and_b32 s4, exec_lo, s0
	s_or_b32 s2, s4, s2
	s_delay_alu instid0(SALU_CYCLE_1)
	s_and_not1_b32 exec_lo, exec_lo, s2
	s_cbranch_execz .LBB97_96
.LBB97_91:                              ; =>This Loop Header: Depth=1
                                        ;     Child Loop BB97_94 Depth 2
	s_or_b32 s0, s0, exec_lo
	s_cmp_eq_u32 s3, 0
	s_cbranch_scc1 .LBB97_95
; %bb.92:                               ;   in Loop: Header=BB97_91 Depth=1
	s_add_i32 s3, s3, -1
	s_mov_b32 s4, exec_lo
	v_lshl_or_b32 v6, s3, 8, v5
	s_delay_alu instid0(VALU_DEP_1) | instskip(NEXT) | instid1(VALU_DEP_1)
	v_lshlrev_b64 v[8:9], 2, v[6:7]
	v_add_co_u32 v8, s0, s12, v8
	s_delay_alu instid0(VALU_DEP_1) | instskip(SKIP_3) | instid1(VALU_DEP_1)
	v_add_co_ci_u32_e64 v9, s0, s13, v9, s0
	global_load_b32 v14, v[8:9], off glc
	s_waitcnt vmcnt(0)
	v_and_b32_e32 v6, -2.0, v14
	v_cmpx_eq_u32_e32 0, v6
	s_cbranch_execz .LBB97_90
; %bb.93:                               ;   in Loop: Header=BB97_91 Depth=1
	s_mov_b32 s5, 0
.LBB97_94:                              ;   Parent Loop BB97_91 Depth=1
                                        ; =>  This Inner Loop Header: Depth=2
	global_load_b32 v14, v[8:9], off glc
	s_waitcnt vmcnt(0)
	v_and_b32_e32 v6, -2.0, v14
	s_delay_alu instid0(VALU_DEP_1) | instskip(NEXT) | instid1(VALU_DEP_1)
	v_cmp_ne_u32_e64 s0, 0, v6
	s_or_b32 s5, s0, s5
	s_delay_alu instid0(SALU_CYCLE_1)
	s_and_not1_b32 exec_lo, exec_lo, s5
	s_cbranch_execnz .LBB97_94
	s_branch .LBB97_89
.LBB97_95:                              ;   in Loop: Header=BB97_91 Depth=1
                                        ; implicit-def: $sgpr3
	s_and_b32 s4, exec_lo, s0
	s_delay_alu instid0(SALU_CYCLE_1) | instskip(NEXT) | instid1(SALU_CYCLE_1)
	s_or_b32 s2, s4, s2
	s_and_not1_b32 exec_lo, exec_lo, s2
	s_cbranch_execnz .LBB97_91
.LBB97_96:
	s_or_b32 exec_lo, exec_lo, s2
	v_add_nc_u32_e32 v6, v11, v15
	v_lshlrev_b32_e32 v7, 3, v5
	s_delay_alu instid0(VALU_DEP_2) | instskip(SKIP_3) | instid1(VALU_DEP_1)
	v_or_b32_e32 v6, 0x80000000, v6
	global_store_b32 v[2:3], v6, off
	global_load_b64 v[2:3], v7, s[24:25]
	v_sub_co_u32 v6, s0, v11, v0
	v_sub_co_ci_u32_e64 v8, s0, 0, v1, s0
	s_waitcnt vmcnt(0)
	s_delay_alu instid0(VALU_DEP_2) | instskip(SKIP_1) | instid1(VALU_DEP_3)
	v_add_co_u32 v2, s0, v6, v2
	v_mov_b32_e32 v6, 0
	v_add_co_ci_u32_e64 v3, s0, v8, v3, s0
	ds_store_b64 v7, v[2:3]
.LBB97_97:
	s_or_b32 exec_lo, exec_lo, s1
	v_lshlrev_b32_e32 v2, 3, v12
	s_lshl_b64 s[0:1], s[6:7], 3
	v_lshlrev_b32_e32 v3, 3, v10
	s_add_u32 s0, s20, s0
	s_addc_u32 s1, s21, s1
	v_add_co_u32 v2, s0, s0, v2
	s_delay_alu instid0(VALU_DEP_1) | instskip(SKIP_2) | instid1(VALU_DEP_2)
	v_add_co_ci_u32_e64 v7, null, s1, 0, s0
	s_waitcnt lgkmcnt(0)
	s_waitcnt_vscnt null, 0x0
	v_add_co_u32 v2, s0, v2, v3
	s_delay_alu instid0(VALU_DEP_1)
	v_add_co_ci_u32_e64 v3, s0, 0, v7, s0
	s_barrier
	buffer_gl0_inv
	v_lshlrev_b32_e32 v27, 2, v5
	s_clause 0x3
	global_load_b64 v[7:8], v[2:3], off
	global_load_b64 v[9:10], v[2:3], off offset:256
	global_load_b64 v[11:12], v[2:3], off offset:512
	;; [unrolled: 1-line block ×3, first 2 shown]
	ds_load_2addr_stride64_b32 v[18:19], v4 offset0:24 offset1:40
	v_lshlrev_b32_e32 v36, 3, v20
	v_lshlrev_b32_e32 v37, 3, v17
	ds_load_b32 v28, v27 offset:2048
	v_lshlrev_b32_e32 v38, 3, v16
	v_or_b32_e32 v30, 0x400, v5
	v_or_b32_e32 v32, 0x800, v5
	;; [unrolled: 1-line block ×3, first 2 shown]
	v_lshlrev_b32_e32 v13, 3, v13
	s_add_i32 s9, s9, -1
	s_delay_alu instid0(VALU_DEP_3) | instskip(NEXT) | instid1(VALU_DEP_3)
	v_lshlrev_b32_e32 v39, 2, v32
	v_lshlrev_b32_e32 v40, 2, v33
	s_cmp_eq_u32 s15, s9
	s_cselect_b32 s1, -1, 0
	s_delay_alu instid0(SALU_CYCLE_1)
	s_and_b32 s1, vcc_lo, s1
	s_waitcnt lgkmcnt(1)
	v_lshrrev_b32_e32 v14, s28, v18
	v_lshrrev_b32_e32 v25, s28, v19
	v_xor_b32_e32 v42, 0x80000000, v18
	s_waitcnt lgkmcnt(0)
	v_lshrrev_b32_e32 v23, s28, v28
	v_xor_b32_e32 v28, 0x80000000, v28
	v_and_b32_e32 v14, s10, v14
	v_and_b32_e32 v25, s10, v25
	s_delay_alu instid0(VALU_DEP_4) | instskip(SKIP_1) | instid1(VALU_DEP_4)
	v_and_b32_e32 v26, s10, v23
	v_lshlrev_b64 v[23:24], 2, v[5:6]
	v_lshlrev_b32_e32 v14, 3, v14
	s_delay_alu instid0(VALU_DEP_4)
	v_lshlrev_b32_e32 v34, 3, v25
	ds_load_b64 v[21:22], v14
	ds_load_b32 v29, v4 offset:14336
	v_lshlrev_b32_e32 v31, 3, v26
	ds_load_b64 v[16:17], v34
	v_add3_u32 v4, 0x800, v4, v4
	ds_load_b64 v[25:26], v31
	s_waitcnt lgkmcnt(2)
	v_lshrrev_b32_e32 v35, s28, v29
	v_xor_b32_e32 v29, 0x80000000, v29
	s_delay_alu instid0(VALU_DEP_2) | instskip(SKIP_1) | instid1(VALU_DEP_2)
	v_and_b32_e32 v20, s10, v35
	v_lshlrev_b32_e32 v35, 2, v30
	v_lshlrev_b32_e32 v41, 3, v20
	v_lshlrev_b64 v[20:21], 2, v[21:22]
	v_xor_b32_e32 v22, 0x80000000, v19
	ds_load_b64 v[18:19], v41
	s_waitcnt lgkmcnt(2)
	v_lshlrev_b64 v[16:17], 2, v[16:17]
	v_add_co_u32 v43, s0, s18, v20
	s_delay_alu instid0(VALU_DEP_1) | instskip(SKIP_2) | instid1(VALU_DEP_3)
	v_add_co_ci_u32_e64 v44, s0, s19, v21, s0
	s_waitcnt lgkmcnt(1)
	v_lshlrev_b64 v[20:21], 2, v[25:26]
	v_add_co_u32 v25, s0, v43, v35
	s_delay_alu instid0(VALU_DEP_1) | instskip(NEXT) | instid1(VALU_DEP_3)
	v_add_co_ci_u32_e64 v26, s0, 0, v44, s0
	v_add_co_u32 v20, s0, s18, v20
	s_delay_alu instid0(VALU_DEP_1) | instskip(SKIP_1) | instid1(VALU_DEP_1)
	v_add_co_ci_u32_e64 v21, s0, s19, v21, s0
	v_add_co_u32 v35, s0, s18, v16
	v_add_co_ci_u32_e64 v43, s0, s19, v17, s0
	s_waitcnt lgkmcnt(0)
	v_lshlrev_b64 v[16:17], 2, v[18:19]
	v_add_co_u32 v18, s0, v20, v23
	s_delay_alu instid0(VALU_DEP_1) | instskip(SKIP_1) | instid1(VALU_DEP_4)
	v_add_co_ci_u32_e64 v19, s0, v21, v24, s0
	v_lshlrev_b32_e32 v24, 3, v30
	v_add_co_u32 v20, s0, s18, v16
	s_delay_alu instid0(VALU_DEP_1) | instskip(SKIP_1) | instid1(VALU_DEP_1)
	v_add_co_ci_u32_e64 v21, s0, s19, v17, s0
	v_add_co_u32 v16, s0, v35, v39
	v_add_co_ci_u32_e64 v17, s0, 0, v43, s0
	s_delay_alu instid0(VALU_DEP_4) | instskip(NEXT) | instid1(VALU_DEP_1)
	v_add_co_u32 v20, s0, v20, v40
	v_add_co_ci_u32_e64 v21, s0, 0, v21, s0
	s_clause 0x3
	global_store_b32 v[18:19], v28, off
	global_store_b32 v[25:26], v42, off
	;; [unrolled: 1-line block ×4, first 2 shown]
	s_waitcnt vmcnt(0)
	s_waitcnt_vscnt null, 0x0
	s_barrier
	buffer_gl0_inv
	v_add_nc_u32_e32 v20, v27, v27
	v_lshlrev_b64 v[18:19], 3, v[5:6]
	v_lshlrev_b32_e32 v25, 3, v32
	v_lshlrev_b32_e32 v26, 3, v33
	ds_store_b64 v36, v[7:8] offset:2048
	ds_store_b64 v37, v[9:10] offset:2048
	;; [unrolled: 1-line block ×4, first 2 shown]
	s_waitcnt lgkmcnt(0)
	s_barrier
	buffer_gl0_inv
	ds_load_b64 v[2:3], v31
	ds_load_b64 v[11:12], v14
	ds_load_b64 v[13:14], v34
	ds_load_b64 v[16:17], v41
	ds_load_2addr_stride64_b64 v[7:10], v4 offset0:16 offset1:32
	ds_load_b64 v[20:21], v20 offset:2048
	ds_load_b64 v[22:23], v4 offset:24576
	s_waitcnt lgkmcnt(6)
	v_lshlrev_b64 v[2:3], 3, v[2:3]
	s_waitcnt lgkmcnt(5)
	v_lshlrev_b64 v[11:12], 3, v[11:12]
	;; [unrolled: 2-line block ×4, first 2 shown]
	v_add_co_u32 v2, s0, s22, v2
	s_delay_alu instid0(VALU_DEP_1) | instskip(SKIP_1) | instid1(VALU_DEP_1)
	v_add_co_ci_u32_e64 v3, s0, s23, v3, s0
	v_add_co_u32 v4, s0, s22, v11
	v_add_co_ci_u32_e64 v12, s0, s23, v12, s0
	v_add_co_u32 v13, s0, s22, v13
	s_delay_alu instid0(VALU_DEP_1) | instskip(SKIP_1) | instid1(VALU_DEP_1)
	v_add_co_ci_u32_e64 v14, s0, s23, v14, s0
	v_add_co_u32 v16, s0, s22, v16
	v_add_co_ci_u32_e64 v17, s0, s23, v17, s0
	;; [unrolled: 5-line block ×4, first 2 shown]
	s_waitcnt lgkmcnt(1)
	s_clause 0x2
	global_store_b64 v[2:3], v[20:21], off
	global_store_b64 v[11:12], v[7:8], off
	;; [unrolled: 1-line block ×3, first 2 shown]
	s_waitcnt lgkmcnt(0)
	global_store_b64 v[16:17], v[22:23], off
                                        ; implicit-def: $vgpr2_vgpr3
	s_and_saveexec_b32 s0, s1
; %bb.98:
	v_add_co_u32 v2, vcc_lo, v0, v15
	v_add_co_ci_u32_e32 v3, vcc_lo, 0, v1, vcc_lo
	s_or_b32 s8, s8, exec_lo
; %bb.99:
	s_or_b32 exec_lo, exec_lo, s0
.LBB97_100:
	s_and_saveexec_b32 s0, s8
	s_cbranch_execnz .LBB97_102
; %bb.101:
	s_nop 0
	s_sendmsg sendmsg(MSG_DEALLOC_VGPRS)
	s_endpgm
.LBB97_102:
	v_lshlrev_b32_e32 v0, 3, v5
	v_lshlrev_b64 v[4:5], 3, v[5:6]
	ds_load_b64 v[0:1], v0
	v_add_co_u32 v4, vcc_lo, s26, v4
	v_add_co_ci_u32_e32 v5, vcc_lo, s27, v5, vcc_lo
	s_waitcnt lgkmcnt(0)
	v_add_co_u32 v0, vcc_lo, v0, v2
	v_add_co_ci_u32_e32 v1, vcc_lo, v1, v3, vcc_lo
	global_store_b64 v[4:5], v[0:1], off
	s_nop 0
	s_sendmsg sendmsg(MSG_DEALLOC_VGPRS)
	s_endpgm
.LBB97_103:
	global_load_b64 v[1:2], v[10:11], off
	s_or_b32 exec_lo, exec_lo, s10
                                        ; implicit-def: $vgpr3_vgpr4
	s_and_saveexec_b32 s10, s2
	s_cbranch_execz .LBB97_47
.LBB97_104:
	global_load_b64 v[3:4], v[10:11], off offset:256
	s_or_b32 exec_lo, exec_lo, s10
                                        ; implicit-def: $vgpr6_vgpr7
	s_and_saveexec_b32 s2, s3
	s_cbranch_execz .LBB97_48
.LBB97_105:
	global_load_b64 v[6:7], v[10:11], off offset:512
	s_or_b32 exec_lo, exec_lo, s2
                                        ; implicit-def: $vgpr8_vgpr9
	s_and_saveexec_b32 s2, s4
	s_cbranch_execnz .LBB97_49
	s_branch .LBB97_50
.LBB97_106:
	v_lshlrev_b32_e32 v2, 3, v24
	ds_load_b64 v[2:3], v2
	ds_load_b64 v[6:7], v1 offset:2048
	s_waitcnt lgkmcnt(1)
	v_lshlrev_b64 v[2:3], 3, v[2:3]
	s_delay_alu instid0(VALU_DEP_1) | instskip(NEXT) | instid1(VALU_DEP_2)
	v_add_co_u32 v2, vcc_lo, s22, v2
	v_add_co_ci_u32_e32 v3, vcc_lo, s23, v3, vcc_lo
	s_delay_alu instid0(VALU_DEP_2) | instskip(NEXT) | instid1(VALU_DEP_2)
	v_add_co_u32 v2, vcc_lo, v2, v1
	v_add_co_ci_u32_e32 v3, vcc_lo, 0, v3, vcc_lo
	s_waitcnt lgkmcnt(0)
	global_store_b64 v[2:3], v[6:7], off
	s_or_b32 exec_lo, exec_lo, s2
	s_and_saveexec_b32 s2, s7
	s_cbranch_execz .LBB97_60
.LBB97_107:
	v_lshlrev_b32_e32 v2, 3, v11
	v_lshlrev_b32_e32 v4, 3, v15
	ds_load_b64 v[2:3], v2
	ds_load_b64 v[6:7], v1 offset:10240
	s_waitcnt lgkmcnt(1)
	v_lshlrev_b64 v[2:3], 3, v[2:3]
	s_delay_alu instid0(VALU_DEP_1) | instskip(NEXT) | instid1(VALU_DEP_2)
	v_add_co_u32 v2, vcc_lo, s22, v2
	v_add_co_ci_u32_e32 v3, vcc_lo, s23, v3, vcc_lo
	s_delay_alu instid0(VALU_DEP_2) | instskip(NEXT) | instid1(VALU_DEP_2)
	v_add_co_u32 v2, vcc_lo, v2, v4
	v_add_co_ci_u32_e32 v3, vcc_lo, 0, v3, vcc_lo
	s_waitcnt lgkmcnt(0)
	global_store_b64 v[2:3], v[6:7], off
	s_or_b32 exec_lo, exec_lo, s2
	s_and_saveexec_b32 s2, s8
	s_cbranch_execz .LBB97_61
.LBB97_108:
	v_lshlrev_b32_e32 v2, 3, v23
	v_lshlrev_b32_e32 v4, 3, v20
	ds_load_b64 v[2:3], v2
	ds_load_b64 v[6:7], v1 offset:18432
	s_waitcnt lgkmcnt(1)
	v_lshlrev_b64 v[2:3], 3, v[2:3]
	s_delay_alu instid0(VALU_DEP_1) | instskip(NEXT) | instid1(VALU_DEP_2)
	v_add_co_u32 v2, vcc_lo, s22, v2
	v_add_co_ci_u32_e32 v3, vcc_lo, s23, v3, vcc_lo
	s_delay_alu instid0(VALU_DEP_2) | instskip(NEXT) | instid1(VALU_DEP_2)
	v_add_co_u32 v2, vcc_lo, v2, v4
	v_add_co_ci_u32_e32 v3, vcc_lo, 0, v3, vcc_lo
	s_waitcnt lgkmcnt(0)
	global_store_b64 v[2:3], v[6:7], off
	s_or_b32 exec_lo, exec_lo, s2
	s_and_saveexec_b32 s2, s9
	s_cbranch_execnz .LBB97_62
	s_branch .LBB97_63
	.section	.rodata,"a",@progbits
	.p2align	6, 0x0
	.amdhsa_kernel _ZN7rocprim17ROCPRIM_304000_NS6detail25onesweep_iteration_kernelINS1_34wrapped_radix_sort_onesweep_configINS0_14default_configEiN2at4cuda3cub6detail10OpaqueTypeILi8EEEEELb0EPiSC_PSA_SD_mNS0_19identity_decomposerEEEvT1_T2_T3_T4_jPT5_SK_PNS1_23onesweep_lookback_stateET6_jjj
		.amdhsa_group_segment_fixed_size 36992
		.amdhsa_private_segment_fixed_size 0
		.amdhsa_kernarg_size 336
		.amdhsa_user_sgpr_count 15
		.amdhsa_user_sgpr_dispatch_ptr 0
		.amdhsa_user_sgpr_queue_ptr 0
		.amdhsa_user_sgpr_kernarg_segment_ptr 1
		.amdhsa_user_sgpr_dispatch_id 0
		.amdhsa_user_sgpr_private_segment_size 0
		.amdhsa_wavefront_size32 1
		.amdhsa_uses_dynamic_stack 0
		.amdhsa_enable_private_segment 0
		.amdhsa_system_sgpr_workgroup_id_x 1
		.amdhsa_system_sgpr_workgroup_id_y 0
		.amdhsa_system_sgpr_workgroup_id_z 0
		.amdhsa_system_sgpr_workgroup_info 0
		.amdhsa_system_vgpr_workitem_id 2
		.amdhsa_next_free_vgpr 45
		.amdhsa_next_free_sgpr 36
		.amdhsa_reserve_vcc 1
		.amdhsa_float_round_mode_32 0
		.amdhsa_float_round_mode_16_64 0
		.amdhsa_float_denorm_mode_32 3
		.amdhsa_float_denorm_mode_16_64 3
		.amdhsa_dx10_clamp 1
		.amdhsa_ieee_mode 1
		.amdhsa_fp16_overflow 0
		.amdhsa_workgroup_processor_mode 1
		.amdhsa_memory_ordered 1
		.amdhsa_forward_progress 0
		.amdhsa_shared_vgpr_count 0
		.amdhsa_exception_fp_ieee_invalid_op 0
		.amdhsa_exception_fp_denorm_src 0
		.amdhsa_exception_fp_ieee_div_zero 0
		.amdhsa_exception_fp_ieee_overflow 0
		.amdhsa_exception_fp_ieee_underflow 0
		.amdhsa_exception_fp_ieee_inexact 0
		.amdhsa_exception_int_div_zero 0
	.end_amdhsa_kernel
	.section	.text._ZN7rocprim17ROCPRIM_304000_NS6detail25onesweep_iteration_kernelINS1_34wrapped_radix_sort_onesweep_configINS0_14default_configEiN2at4cuda3cub6detail10OpaqueTypeILi8EEEEELb0EPiSC_PSA_SD_mNS0_19identity_decomposerEEEvT1_T2_T3_T4_jPT5_SK_PNS1_23onesweep_lookback_stateET6_jjj,"axG",@progbits,_ZN7rocprim17ROCPRIM_304000_NS6detail25onesweep_iteration_kernelINS1_34wrapped_radix_sort_onesweep_configINS0_14default_configEiN2at4cuda3cub6detail10OpaqueTypeILi8EEEEELb0EPiSC_PSA_SD_mNS0_19identity_decomposerEEEvT1_T2_T3_T4_jPT5_SK_PNS1_23onesweep_lookback_stateET6_jjj,comdat
.Lfunc_end97:
	.size	_ZN7rocprim17ROCPRIM_304000_NS6detail25onesweep_iteration_kernelINS1_34wrapped_radix_sort_onesweep_configINS0_14default_configEiN2at4cuda3cub6detail10OpaqueTypeILi8EEEEELb0EPiSC_PSA_SD_mNS0_19identity_decomposerEEEvT1_T2_T3_T4_jPT5_SK_PNS1_23onesweep_lookback_stateET6_jjj, .Lfunc_end97-_ZN7rocprim17ROCPRIM_304000_NS6detail25onesweep_iteration_kernelINS1_34wrapped_radix_sort_onesweep_configINS0_14default_configEiN2at4cuda3cub6detail10OpaqueTypeILi8EEEEELb0EPiSC_PSA_SD_mNS0_19identity_decomposerEEEvT1_T2_T3_T4_jPT5_SK_PNS1_23onesweep_lookback_stateET6_jjj
                                        ; -- End function
	.section	.AMDGPU.csdata,"",@progbits
; Kernel info:
; codeLenInByte = 9004
; NumSgprs: 38
; NumVgprs: 45
; ScratchSize: 0
; MemoryBound: 0
; FloatMode: 240
; IeeeMode: 1
; LDSByteSize: 36992 bytes/workgroup (compile time only)
; SGPRBlocks: 4
; VGPRBlocks: 5
; NumSGPRsForWavesPerEU: 38
; NumVGPRsForWavesPerEU: 45
; Occupancy: 16
; WaveLimiterHint : 1
; COMPUTE_PGM_RSRC2:SCRATCH_EN: 0
; COMPUTE_PGM_RSRC2:USER_SGPR: 15
; COMPUTE_PGM_RSRC2:TRAP_HANDLER: 0
; COMPUTE_PGM_RSRC2:TGID_X_EN: 1
; COMPUTE_PGM_RSRC2:TGID_Y_EN: 0
; COMPUTE_PGM_RSRC2:TGID_Z_EN: 0
; COMPUTE_PGM_RSRC2:TIDIG_COMP_CNT: 2
	.section	.text._ZN7rocprim17ROCPRIM_304000_NS6detail28radix_sort_block_sort_kernelINS1_36wrapped_radix_sort_block_sort_configINS0_13kernel_configILj256ELj4ELj4294967295EEElN2at4cuda3cub6detail10OpaqueTypeILi8EEEEELb1EPKlPlPKSB_PSB_NS0_19identity_decomposerEEEvT1_T2_T3_T4_jT5_jj,"axG",@progbits,_ZN7rocprim17ROCPRIM_304000_NS6detail28radix_sort_block_sort_kernelINS1_36wrapped_radix_sort_block_sort_configINS0_13kernel_configILj256ELj4ELj4294967295EEElN2at4cuda3cub6detail10OpaqueTypeILi8EEEEELb1EPKlPlPKSB_PSB_NS0_19identity_decomposerEEEvT1_T2_T3_T4_jT5_jj,comdat
	.protected	_ZN7rocprim17ROCPRIM_304000_NS6detail28radix_sort_block_sort_kernelINS1_36wrapped_radix_sort_block_sort_configINS0_13kernel_configILj256ELj4ELj4294967295EEElN2at4cuda3cub6detail10OpaqueTypeILi8EEEEELb1EPKlPlPKSB_PSB_NS0_19identity_decomposerEEEvT1_T2_T3_T4_jT5_jj ; -- Begin function _ZN7rocprim17ROCPRIM_304000_NS6detail28radix_sort_block_sort_kernelINS1_36wrapped_radix_sort_block_sort_configINS0_13kernel_configILj256ELj4ELj4294967295EEElN2at4cuda3cub6detail10OpaqueTypeILi8EEEEELb1EPKlPlPKSB_PSB_NS0_19identity_decomposerEEEvT1_T2_T3_T4_jT5_jj
	.globl	_ZN7rocprim17ROCPRIM_304000_NS6detail28radix_sort_block_sort_kernelINS1_36wrapped_radix_sort_block_sort_configINS0_13kernel_configILj256ELj4ELj4294967295EEElN2at4cuda3cub6detail10OpaqueTypeILi8EEEEELb1EPKlPlPKSB_PSB_NS0_19identity_decomposerEEEvT1_T2_T3_T4_jT5_jj
	.p2align	8
	.type	_ZN7rocprim17ROCPRIM_304000_NS6detail28radix_sort_block_sort_kernelINS1_36wrapped_radix_sort_block_sort_configINS0_13kernel_configILj256ELj4ELj4294967295EEElN2at4cuda3cub6detail10OpaqueTypeILi8EEEEELb1EPKlPlPKSB_PSB_NS0_19identity_decomposerEEEvT1_T2_T3_T4_jT5_jj,@function
_ZN7rocprim17ROCPRIM_304000_NS6detail28radix_sort_block_sort_kernelINS1_36wrapped_radix_sort_block_sort_configINS0_13kernel_configILj256ELj4ELj4294967295EEElN2at4cuda3cub6detail10OpaqueTypeILi8EEEEELb1EPKlPlPKSB_PSB_NS0_19identity_decomposerEEEvT1_T2_T3_T4_jT5_jj: ; @_ZN7rocprim17ROCPRIM_304000_NS6detail28radix_sort_block_sort_kernelINS1_36wrapped_radix_sort_block_sort_configINS0_13kernel_configILj256ELj4ELj4294967295EEElN2at4cuda3cub6detail10OpaqueTypeILi8EEEEELb1EPKlPlPKSB_PSB_NS0_19identity_decomposerEEEvT1_T2_T3_T4_jT5_jj
; %bb.0:
	s_clause 0x1
	s_load_b32 s4, s[0:1], 0x20
	s_load_b256 s[16:23], s[0:1], 0x0
	v_and_b32_e32 v9, 0x3ff, v0
	v_mbcnt_lo_u32_b32 v12, -1, 0
	s_lshl_b32 s2, s15, 10
	s_mov_b32 s3, 0
	s_delay_alu instid0(VALU_DEP_2) | instskip(NEXT) | instid1(VALU_DEP_2)
	v_lshlrev_b32_e32 v1, 2, v9
	v_lshlrev_b32_e32 v17, 3, v12
	s_delay_alu instid0(VALU_DEP_2) | instskip(NEXT) | instid1(VALU_DEP_1)
	v_and_b32_e32 v13, 0x380, v1
	v_lshlrev_b32_e32 v18, 3, v13
	v_add_nc_u32_e32 v14, v12, v13
	s_waitcnt lgkmcnt(0)
	s_lshr_b32 s5, s4, 10
	s_delay_alu instid0(SALU_CYCLE_1) | instskip(SKIP_2) | instid1(SALU_CYCLE_1)
	s_cmp_lg_u32 s15, s5
	s_cselect_b32 s26, -1, 0
	s_lshl_b64 s[24:25], s[2:3], 3
	s_add_u32 s3, s16, s24
	s_addc_u32 s6, s17, s25
	v_add_co_u32 v1, s3, s3, v17
	s_delay_alu instid0(VALU_DEP_1) | instskip(SKIP_1) | instid1(VALU_DEP_2)
	v_add_co_ci_u32_e64 v2, null, s6, 0, s3
	s_cmp_eq_u32 s15, s5
	v_add_co_u32 v10, vcc_lo, v1, v18
	s_delay_alu instid0(VALU_DEP_2)
	v_add_co_ci_u32_e32 v11, vcc_lo, 0, v2, vcc_lo
	s_mov_b32 s3, -1
	s_cbranch_scc1 .LBB98_2
; %bb.1:
	s_add_u32 s3, s20, s24
	s_addc_u32 s5, s21, s25
	v_add_co_u32 v1, s3, s3, v17
	s_delay_alu instid0(VALU_DEP_1) | instskip(SKIP_1) | instid1(VALU_DEP_3)
	v_add_co_ci_u32_e64 v2, null, s5, 0, s3
	v_add_nc_u32_e32 v19, v12, v13
	v_add_co_u32 v15, vcc_lo, v1, v18
	s_delay_alu instid0(VALU_DEP_3)
	v_add_co_ci_u32_e32 v16, vcc_lo, 0, v2, vcc_lo
	s_clause 0x3
	global_load_b64 v[1:2], v[10:11], off
	global_load_b64 v[3:4], v[10:11], off offset:256
	global_load_b64 v[5:6], v[10:11], off offset:512
	;; [unrolled: 1-line block ×3, first 2 shown]
	s_clause 0x3
	global_load_b64 v[30:31], v[15:16], off
	global_load_b64 v[32:33], v[15:16], off offset:256
	global_load_b64 v[34:35], v[15:16], off offset:512
	;; [unrolled: 1-line block ×3, first 2 shown]
	v_add_nc_u32_e32 v13, 32, v19
	v_add_nc_u32_e32 v15, 64, v19
	;; [unrolled: 1-line block ×3, first 2 shown]
	s_sub_i32 s16, s4, s2
	s_cbranch_execz .LBB98_3
	s_branch .LBB98_17
.LBB98_2:
                                        ; implicit-def: $vgpr1_vgpr2_vgpr3_vgpr4_vgpr5_vgpr6_vgpr7_vgpr8
                                        ; implicit-def: $vgpr30_vgpr31
                                        ; implicit-def: $vgpr32_vgpr33
                                        ; implicit-def: $vgpr34_vgpr35
                                        ; implicit-def: $vgpr36_vgpr37
                                        ; implicit-def: $vgpr19
                                        ; implicit-def: $vgpr13
                                        ; implicit-def: $vgpr15
                                        ; implicit-def: $vgpr16
	s_and_not1_b32 vcc_lo, exec_lo, s3
	s_sub_i32 s16, s4, s2
	s_cbranch_vccnz .LBB98_17
.LBB98_3:
	s_mov_b32 s4, 0
	s_brev_b32 s5, 1
	s_mov_b32 s6, s4
	s_mov_b32 s7, s5
	;; [unrolled: 1-line block ×6, first 2 shown]
	s_waitcnt vmcnt(4)
	v_dual_mov_b32 v1, s4 :: v_dual_mov_b32 v2, s5
	v_cmp_gt_u32_e32 vcc_lo, s16, v14
	v_dual_mov_b32 v3, s6 :: v_dual_mov_b32 v4, s7
	v_dual_mov_b32 v5, s8 :: v_dual_mov_b32 v6, s9
	;; [unrolled: 1-line block ×3, first 2 shown]
	s_and_saveexec_b32 s2, vcc_lo
	s_cbranch_execz .LBB98_5
; %bb.4:
	global_load_b64 v[1:2], v[10:11], off
	v_bfrev_b32_e32 v4, 1
	s_delay_alu instid0(VALU_DEP_1) | instskip(NEXT) | instid1(VALU_DEP_1)
	v_dual_mov_b32 v3, 0 :: v_dual_mov_b32 v6, v4
	v_dual_mov_b32 v5, v3 :: v_dual_mov_b32 v8, v4
	v_mov_b32_e32 v7, v3
.LBB98_5:
	s_or_b32 exec_lo, exec_lo, s2
	v_add_nc_u32_e32 v13, 32, v14
	s_delay_alu instid0(VALU_DEP_1) | instskip(NEXT) | instid1(VALU_DEP_1)
	v_cmp_gt_u32_e64 s2, s16, v13
	s_and_saveexec_b32 s3, s2
	s_cbranch_execz .LBB98_7
; %bb.6:
	global_load_b64 v[3:4], v[10:11], off offset:256
.LBB98_7:
	s_or_b32 exec_lo, exec_lo, s3
	v_add_nc_u32_e32 v15, 64, v14
	s_delay_alu instid0(VALU_DEP_1) | instskip(NEXT) | instid1(VALU_DEP_1)
	v_cmp_gt_u32_e64 s3, s16, v15
	s_and_saveexec_b32 s4, s3
	s_cbranch_execz .LBB98_9
; %bb.8:
	global_load_b64 v[5:6], v[10:11], off offset:512
.LBB98_9:
	;; [unrolled: 9-line block ×3, first 2 shown]
	s_or_b32 exec_lo, exec_lo, s5
	s_add_u32 s5, s20, s24
	s_addc_u32 s6, s21, s25
	v_add_co_u32 v10, s5, s5, v17
	s_delay_alu instid0(VALU_DEP_1) | instskip(NEXT) | instid1(VALU_DEP_2)
	v_add_co_ci_u32_e64 v11, null, s6, 0, s5
                                        ; implicit-def: $vgpr30_vgpr31
	v_add_co_u32 v10, s5, v10, v18
	s_delay_alu instid0(VALU_DEP_1)
	v_add_co_ci_u32_e64 v11, s5, 0, v11, s5
	s_and_saveexec_b32 s5, vcc_lo
	s_cbranch_execnz .LBB98_54
; %bb.12:
	s_or_b32 exec_lo, exec_lo, s5
                                        ; implicit-def: $vgpr32_vgpr33
	s_and_saveexec_b32 s5, s2
	s_cbranch_execnz .LBB98_55
.LBB98_13:
	s_or_b32 exec_lo, exec_lo, s5
                                        ; implicit-def: $vgpr34_vgpr35
	s_and_saveexec_b32 s2, s3
	s_cbranch_execnz .LBB98_56
.LBB98_14:
	s_or_b32 exec_lo, exec_lo, s2
                                        ; implicit-def: $vgpr36_vgpr37
	s_and_saveexec_b32 s2, s4
	s_cbranch_execz .LBB98_16
.LBB98_15:
	global_load_b64 v[36:37], v[10:11], off offset:768
.LBB98_16:
	s_or_b32 exec_lo, exec_lo, s2
	v_mov_b32_e32 v19, v14
.LBB98_17:
	s_clause 0x1
	s_load_b32 s3, s[0:1], 0x3c
	s_load_b64 s[14:15], s[0:1], 0x28
	s_mov_b32 s20, 0
	s_waitcnt vmcnt(0)
	v_xor_b32_e32 v38, -1, v1
	v_xor_b32_e32 v1, -1, v3
	;; [unrolled: 1-line block ×4, first 2 shown]
	v_bfe_u32 v7, v0, 10, 10
	v_bfe_u32 v0, v0, 20, 10
	s_mov_b32 s28, s20
	s_mov_b32 s29, s20
	v_and_b32_e32 v10, 0x3e0, v9
	v_add_nc_u32_e32 v18, -1, v12
	v_xor_b32_e32 v39, 0x7fffffff, v2
	v_xor_b32_e32 v2, 0x7fffffff, v4
	;; [unrolled: 1-line block ×4, first 2 shown]
	v_cmp_gt_i32_e32 vcc_lo, 0, v18
	v_lshlrev_b32_e32 v8, 5, v9
	s_mov_b32 s21, s20
	s_waitcnt lgkmcnt(0)
	s_lshr_b32 s2, s3, 16
	s_and_b32 s3, s3, 0xffff
	v_mad_u32_u24 v0, v0, s2, v7
	v_min_u32_e32 v7, 0xe0, v10
	v_and_b32_e32 v14, 15, v12
	v_and_b32_e32 v17, 16, v12
	v_cmp_eq_u32_e64 s8, 0, v12
	v_mad_u64_u32 v[10:11], null, v0, s3, v[9:10]
	v_or_b32_e32 v0, 31, v7
	v_dual_cndmask_b32 v7, v18, v12 :: v_dual_lshlrev_b32 v46, 3, v13
	v_cmp_gt_u32_e64 s0, 8, v9
	v_add_nc_u32_e32 v40, 32, v8
	s_delay_alu instid0(VALU_DEP_4) | instskip(SKIP_4) | instid1(VALU_DEP_4)
	v_cmp_eq_u32_e64 s6, v0, v9
	v_lshrrev_b32_e32 v0, 3, v9
	v_lshlrev_b32_e32 v42, 2, v7
	v_dual_mov_b32 v12, s28 :: v_dual_and_b32 v7, 7, v12
	v_lshrrev_b32_e32 v41, 5, v10
	v_and_b32_e32 v43, 0x7c, v0
	v_mul_i32_i24_e32 v0, 0xffffffe4, v9
	v_mov_b32_e32 v10, s20
	v_cmp_eq_u32_e64 s5, 0, v17
	v_cmp_lt_u32_e64 s7, 31, v9
	v_cmp_eq_u32_e64 s9, 0, v9
	v_cmp_eq_u32_e64 s10, 0, v7
	v_cmp_lt_u32_e64 s11, 1, v7
	v_cmp_lt_u32_e64 s12, 3, v7
	v_add_nc_u32_e32 v44, -4, v43
	v_lshlrev_b32_e32 v45, 3, v19
	v_lshlrev_b32_e32 v47, 3, v15
	v_dual_mov_b32 v11, s21 :: v_dual_lshlrev_b32 v48, 3, v16
	v_cmp_eq_u32_e64 s1, 0, v14
	v_cmp_lt_u32_e64 s2, 1, v14
	v_cmp_lt_u32_e64 s3, 3, v14
	;; [unrolled: 1-line block ×3, first 2 shown]
	v_mov_b32_e32 v13, s29
	v_add_nc_u32_e32 v49, v8, v0
	s_add_i32 s17, s15, s14
	s_branch .LBB98_19
.LBB98_18:                              ;   in Loop: Header=BB98_19 Depth=1
	s_barrier
	buffer_gl0_inv
	ds_store_b64 v0, v[14:15]
	ds_store_b64 v7, v[28:29]
	;; [unrolled: 1-line block ×4, first 2 shown]
	s_waitcnt lgkmcnt(0)
	s_barrier
	buffer_gl0_inv
	ds_load_b64 v[38:39], v45
	ds_load_b64 v[1:2], v46
	ds_load_b64 v[3:4], v47
	ds_load_b64 v[5:6], v48
	s_waitcnt lgkmcnt(0)
	s_barrier
	buffer_gl0_inv
	ds_store_b64 v0, v[22:23]
	ds_store_b64 v7, v[20:21]
	;; [unrolled: 1-line block ×4, first 2 shown]
	s_waitcnt lgkmcnt(0)
	s_barrier
	buffer_gl0_inv
	ds_load_b64 v[30:31], v45
	ds_load_b64 v[32:33], v46
	ds_load_b64 v[34:35], v47
	ds_load_b64 v[36:37], v48
	s_add_i32 s15, s15, -8
	s_waitcnt lgkmcnt(0)
	s_barrier
	buffer_gl0_inv
	s_cbranch_execz .LBB98_35
.LBB98_19:                              ; =>This Inner Loop Header: Depth=1
	v_dual_mov_b32 v14, v38 :: v_dual_mov_b32 v15, v39
	s_min_u32 s13, s15, 8
	v_mov_b32_e32 v25, v6
	s_lshl_b32 s13, -1, s13
	ds_store_2addr_b64 v8, v[10:11], v[12:13] offset0:4 offset1:5
	ds_store_2addr_b64 v40, v[10:11], v[12:13] offset0:2 offset1:3
	v_lshrrev_b64 v[16:17], s14, v[14:15]
	s_not_b32 s20, s13
	s_waitcnt lgkmcnt(0)
	s_barrier
	buffer_gl0_inv
	v_dual_mov_b32 v24, v5 :: v_dual_and_b32 v7, s20, v16
	; wave barrier
	v_mov_b32_e32 v27, v4
	s_delay_alu instid0(VALU_DEP_2) | instskip(SKIP_3) | instid1(VALU_DEP_4)
	v_dual_mov_b32 v29, v2 :: v_dual_and_b32 v0, 1, v7
	v_lshlrev_b32_e32 v16, 30, v7
	v_dual_mov_b32 v26, v3 :: v_dual_lshlrev_b32 v17, 29, v7
	v_lshlrev_b32_e32 v18, 28, v7
	v_add_co_u32 v0, s13, v0, -1
	s_delay_alu instid0(VALU_DEP_1)
	v_cndmask_b32_e64 v19, 0, 1, s13
	v_not_b32_e32 v23, v16
	v_cmp_gt_i32_e64 s13, 0, v16
	v_not_b32_e32 v16, v17
	v_lshlrev_b32_e32 v20, 27, v7
	v_cmp_ne_u32_e32 vcc_lo, 0, v19
	v_ashrrev_i32_e32 v23, 31, v23
	v_dual_mov_b32 v28, v1 :: v_dual_lshlrev_b32 v21, 26, v7
	v_ashrrev_i32_e32 v16, 31, v16
	v_xor_b32_e32 v0, vcc_lo, v0
	v_cmp_gt_i32_e32 vcc_lo, 0, v17
	v_not_b32_e32 v17, v18
	v_xor_b32_e32 v23, s13, v23
	v_cmp_gt_i32_e64 s13, 0, v18
	v_and_b32_e32 v0, exec_lo, v0
	v_not_b32_e32 v18, v20
	v_ashrrev_i32_e32 v17, 31, v17
	v_xor_b32_e32 v16, vcc_lo, v16
	v_cmp_gt_i32_e32 vcc_lo, 0, v20
	v_and_b32_e32 v0, v0, v23
	v_not_b32_e32 v20, v21
	v_ashrrev_i32_e32 v18, 31, v18
	v_xor_b32_e32 v17, s13, v17
	v_lshlrev_b32_e32 v19, 24, v7
	v_and_b32_e32 v0, v0, v16
	v_cmp_gt_i32_e64 s13, 0, v21
	v_ashrrev_i32_e32 v20, 31, v20
	v_xor_b32_e32 v18, vcc_lo, v18
	v_lshlrev_b32_e32 v22, 25, v7
	v_and_b32_e32 v0, v0, v17
	v_not_b32_e32 v17, v19
	v_xor_b32_e32 v20, s13, v20
	v_cmp_gt_i32_e64 s13, 0, v19
	v_lshl_add_u32 v1, v7, 3, v41
	v_and_b32_e32 v0, v0, v18
	v_dual_mov_b32 v18, v34 :: v_dual_mov_b32 v19, v35
	v_not_b32_e32 v16, v22
	v_cmp_gt_i32_e32 vcc_lo, 0, v22
	v_ashrrev_i32_e32 v17, 31, v17
	v_and_b32_e32 v0, v0, v20
	v_mov_b32_e32 v22, v30
	v_ashrrev_i32_e32 v16, 31, v16
	v_mov_b32_e32 v23, v31
	v_xor_b32_e32 v17, s13, v17
	v_dual_mov_b32 v20, v32 :: v_dual_mov_b32 v21, v33
	s_delay_alu instid0(VALU_DEP_4) | instskip(SKIP_1) | instid1(VALU_DEP_2)
	v_xor_b32_e32 v16, vcc_lo, v16
	v_lshl_add_u32 v31, v1, 2, 32
	v_and_b32_e32 v0, v0, v16
	s_delay_alu instid0(VALU_DEP_1) | instskip(SKIP_1) | instid1(VALU_DEP_2)
	v_and_b32_e32 v0, v0, v17
	v_dual_mov_b32 v16, v36 :: v_dual_mov_b32 v17, v37
	v_mbcnt_lo_u32_b32 v30, v0, 0
	v_cmp_ne_u32_e64 s13, 0, v0
	s_delay_alu instid0(VALU_DEP_2) | instskip(NEXT) | instid1(VALU_DEP_2)
	v_cmp_eq_u32_e32 vcc_lo, 0, v30
	s_and_b32 s21, s13, vcc_lo
	s_delay_alu instid0(SALU_CYCLE_1)
	s_and_saveexec_b32 s13, s21
	s_cbranch_execz .LBB98_21
; %bb.20:                               ;   in Loop: Header=BB98_19 Depth=1
	v_bcnt_u32_b32 v0, v0, 0
	ds_store_b32 v31, v0
.LBB98_21:                              ;   in Loop: Header=BB98_19 Depth=1
	s_or_b32 exec_lo, exec_lo, s13
	v_lshrrev_b64 v[0:1], s14, v[28:29]
	; wave barrier
	s_delay_alu instid0(VALU_DEP_1) | instskip(NEXT) | instid1(VALU_DEP_1)
	v_and_b32_e32 v0, s20, v0
	v_and_b32_e32 v1, 1, v0
	v_lshlrev_b32_e32 v2, 30, v0
	v_lshlrev_b32_e32 v3, 29, v0
	;; [unrolled: 1-line block ×4, first 2 shown]
	v_add_co_u32 v1, s13, v1, -1
	s_delay_alu instid0(VALU_DEP_1)
	v_cndmask_b32_e64 v5, 0, 1, s13
	v_not_b32_e32 v33, v2
	v_cmp_gt_i32_e64 s13, 0, v2
	v_not_b32_e32 v2, v3
	v_lshlrev_b32_e32 v7, 26, v0
	v_cmp_ne_u32_e32 vcc_lo, 0, v5
	v_ashrrev_i32_e32 v33, 31, v33
	v_lshlrev_b32_e32 v32, 25, v0
	v_ashrrev_i32_e32 v2, 31, v2
	v_lshlrev_b32_e32 v5, 24, v0
	v_xor_b32_e32 v1, vcc_lo, v1
	v_cmp_gt_i32_e32 vcc_lo, 0, v3
	v_not_b32_e32 v3, v4
	v_xor_b32_e32 v33, s13, v33
	v_cmp_gt_i32_e64 s13, 0, v4
	v_and_b32_e32 v1, exec_lo, v1
	v_not_b32_e32 v4, v6
	v_ashrrev_i32_e32 v3, 31, v3
	v_xor_b32_e32 v2, vcc_lo, v2
	v_cmp_gt_i32_e32 vcc_lo, 0, v6
	v_and_b32_e32 v1, v1, v33
	v_not_b32_e32 v6, v7
	v_ashrrev_i32_e32 v4, 31, v4
	v_xor_b32_e32 v3, s13, v3
	v_cmp_gt_i32_e64 s13, 0, v7
	v_and_b32_e32 v1, v1, v2
	v_not_b32_e32 v2, v32
	v_ashrrev_i32_e32 v6, 31, v6
	v_xor_b32_e32 v4, vcc_lo, v4
	v_cmp_gt_i32_e32 vcc_lo, 0, v32
	v_and_b32_e32 v1, v1, v3
	v_not_b32_e32 v3, v5
	v_ashrrev_i32_e32 v2, 31, v2
	v_xor_b32_e32 v6, s13, v6
	v_lshlrev_b32_e32 v0, 3, v0
	v_and_b32_e32 v1, v1, v4
	v_cmp_gt_i32_e64 s13, 0, v5
	v_ashrrev_i32_e32 v3, 31, v3
	v_xor_b32_e32 v2, vcc_lo, v2
	v_add_lshl_u32 v4, v0, v41, 2
	v_and_b32_e32 v1, v1, v6
	s_delay_alu instid0(VALU_DEP_4) | instskip(SKIP_3) | instid1(VALU_DEP_2)
	v_xor_b32_e32 v0, s13, v3
	ds_load_b32 v32, v4 offset:32
	v_and_b32_e32 v1, v1, v2
	v_add_nc_u32_e32 v34, 32, v4
	; wave barrier
	v_and_b32_e32 v0, v1, v0
	s_delay_alu instid0(VALU_DEP_1) | instskip(SKIP_1) | instid1(VALU_DEP_2)
	v_mbcnt_lo_u32_b32 v33, v0, 0
	v_cmp_ne_u32_e64 s13, 0, v0
	v_cmp_eq_u32_e32 vcc_lo, 0, v33
	s_delay_alu instid0(VALU_DEP_2) | instskip(NEXT) | instid1(SALU_CYCLE_1)
	s_and_b32 s21, s13, vcc_lo
	s_and_saveexec_b32 s13, s21
	s_cbranch_execz .LBB98_23
; %bb.22:                               ;   in Loop: Header=BB98_19 Depth=1
	s_waitcnt lgkmcnt(0)
	v_bcnt_u32_b32 v0, v0, v32
	ds_store_b32 v34, v0
.LBB98_23:                              ;   in Loop: Header=BB98_19 Depth=1
	s_or_b32 exec_lo, exec_lo, s13
	v_lshrrev_b64 v[0:1], s14, v[26:27]
	; wave barrier
	s_delay_alu instid0(VALU_DEP_1) | instskip(NEXT) | instid1(VALU_DEP_1)
	v_and_b32_e32 v0, s20, v0
	v_and_b32_e32 v1, 1, v0
	v_lshlrev_b32_e32 v2, 30, v0
	v_lshlrev_b32_e32 v3, 29, v0
	;; [unrolled: 1-line block ×4, first 2 shown]
	v_add_co_u32 v1, s13, v1, -1
	s_delay_alu instid0(VALU_DEP_1)
	v_cndmask_b32_e64 v5, 0, 1, s13
	v_not_b32_e32 v36, v2
	v_cmp_gt_i32_e64 s13, 0, v2
	v_not_b32_e32 v2, v3
	v_lshlrev_b32_e32 v7, 26, v0
	v_cmp_ne_u32_e32 vcc_lo, 0, v5
	v_ashrrev_i32_e32 v36, 31, v36
	v_lshlrev_b32_e32 v35, 25, v0
	v_ashrrev_i32_e32 v2, 31, v2
	v_lshlrev_b32_e32 v5, 24, v0
	v_xor_b32_e32 v1, vcc_lo, v1
	v_cmp_gt_i32_e32 vcc_lo, 0, v3
	v_not_b32_e32 v3, v4
	v_xor_b32_e32 v36, s13, v36
	v_cmp_gt_i32_e64 s13, 0, v4
	v_and_b32_e32 v1, exec_lo, v1
	v_not_b32_e32 v4, v6
	v_ashrrev_i32_e32 v3, 31, v3
	v_xor_b32_e32 v2, vcc_lo, v2
	v_cmp_gt_i32_e32 vcc_lo, 0, v6
	v_and_b32_e32 v1, v1, v36
	v_not_b32_e32 v6, v7
	v_ashrrev_i32_e32 v4, 31, v4
	v_xor_b32_e32 v3, s13, v3
	v_cmp_gt_i32_e64 s13, 0, v7
	v_and_b32_e32 v1, v1, v2
	v_not_b32_e32 v2, v35
	v_ashrrev_i32_e32 v6, 31, v6
	v_xor_b32_e32 v4, vcc_lo, v4
	v_cmp_gt_i32_e32 vcc_lo, 0, v35
	v_and_b32_e32 v1, v1, v3
	v_not_b32_e32 v3, v5
	v_ashrrev_i32_e32 v2, 31, v2
	v_xor_b32_e32 v6, s13, v6
	v_lshlrev_b32_e32 v0, 3, v0
	v_and_b32_e32 v1, v1, v4
	v_cmp_gt_i32_e64 s13, 0, v5
	v_ashrrev_i32_e32 v3, 31, v3
	v_xor_b32_e32 v2, vcc_lo, v2
	v_add_lshl_u32 v4, v0, v41, 2
	v_and_b32_e32 v1, v1, v6
	s_delay_alu instid0(VALU_DEP_4) | instskip(SKIP_3) | instid1(VALU_DEP_2)
	v_xor_b32_e32 v0, s13, v3
	ds_load_b32 v35, v4 offset:32
	v_and_b32_e32 v1, v1, v2
	v_add_nc_u32_e32 v37, 32, v4
	; wave barrier
	v_and_b32_e32 v0, v1, v0
	s_delay_alu instid0(VALU_DEP_1) | instskip(SKIP_1) | instid1(VALU_DEP_2)
	v_mbcnt_lo_u32_b32 v36, v0, 0
	v_cmp_ne_u32_e64 s13, 0, v0
	v_cmp_eq_u32_e32 vcc_lo, 0, v36
	s_delay_alu instid0(VALU_DEP_2) | instskip(NEXT) | instid1(SALU_CYCLE_1)
	s_and_b32 s21, s13, vcc_lo
	s_and_saveexec_b32 s13, s21
	s_cbranch_execz .LBB98_25
; %bb.24:                               ;   in Loop: Header=BB98_19 Depth=1
	s_waitcnt lgkmcnt(0)
	v_bcnt_u32_b32 v0, v0, v35
	ds_store_b32 v37, v0
.LBB98_25:                              ;   in Loop: Header=BB98_19 Depth=1
	s_or_b32 exec_lo, exec_lo, s13
	v_lshrrev_b64 v[0:1], s14, v[24:25]
	; wave barrier
	s_delay_alu instid0(VALU_DEP_1) | instskip(NEXT) | instid1(VALU_DEP_1)
	v_and_b32_e32 v0, s20, v0
	v_and_b32_e32 v1, 1, v0
	v_lshlrev_b32_e32 v2, 30, v0
	v_lshlrev_b32_e32 v3, 29, v0
	;; [unrolled: 1-line block ×4, first 2 shown]
	v_add_co_u32 v1, s13, v1, -1
	s_delay_alu instid0(VALU_DEP_1)
	v_cndmask_b32_e64 v5, 0, 1, s13
	v_not_b32_e32 v39, v2
	v_cmp_gt_i32_e64 s13, 0, v2
	v_not_b32_e32 v2, v3
	v_lshlrev_b32_e32 v7, 26, v0
	v_cmp_ne_u32_e32 vcc_lo, 0, v5
	v_ashrrev_i32_e32 v39, 31, v39
	v_lshlrev_b32_e32 v38, 25, v0
	v_ashrrev_i32_e32 v2, 31, v2
	v_lshlrev_b32_e32 v5, 24, v0
	v_xor_b32_e32 v1, vcc_lo, v1
	v_cmp_gt_i32_e32 vcc_lo, 0, v3
	v_not_b32_e32 v3, v4
	v_xor_b32_e32 v39, s13, v39
	v_cmp_gt_i32_e64 s13, 0, v4
	v_and_b32_e32 v1, exec_lo, v1
	v_not_b32_e32 v4, v6
	v_ashrrev_i32_e32 v3, 31, v3
	v_xor_b32_e32 v2, vcc_lo, v2
	v_cmp_gt_i32_e32 vcc_lo, 0, v6
	v_and_b32_e32 v1, v1, v39
	v_not_b32_e32 v6, v7
	v_ashrrev_i32_e32 v4, 31, v4
	v_xor_b32_e32 v3, s13, v3
	v_cmp_gt_i32_e64 s13, 0, v7
	v_and_b32_e32 v1, v1, v2
	v_not_b32_e32 v2, v38
	v_ashrrev_i32_e32 v6, 31, v6
	v_xor_b32_e32 v4, vcc_lo, v4
	v_cmp_gt_i32_e32 vcc_lo, 0, v38
	v_and_b32_e32 v1, v1, v3
	v_not_b32_e32 v3, v5
	v_ashrrev_i32_e32 v2, 31, v2
	v_xor_b32_e32 v6, s13, v6
	v_lshlrev_b32_e32 v0, 3, v0
	v_and_b32_e32 v1, v1, v4
	v_cmp_gt_i32_e64 s13, 0, v5
	v_ashrrev_i32_e32 v3, 31, v3
	v_xor_b32_e32 v2, vcc_lo, v2
	v_add_lshl_u32 v4, v0, v41, 2
	v_and_b32_e32 v1, v1, v6
	s_delay_alu instid0(VALU_DEP_4) | instskip(SKIP_3) | instid1(VALU_DEP_2)
	v_xor_b32_e32 v0, s13, v3
	ds_load_b32 v38, v4 offset:32
	v_and_b32_e32 v1, v1, v2
	v_add_nc_u32_e32 v50, 32, v4
	; wave barrier
	v_and_b32_e32 v0, v1, v0
	s_delay_alu instid0(VALU_DEP_1) | instskip(SKIP_1) | instid1(VALU_DEP_2)
	v_mbcnt_lo_u32_b32 v39, v0, 0
	v_cmp_ne_u32_e64 s13, 0, v0
	v_cmp_eq_u32_e32 vcc_lo, 0, v39
	s_delay_alu instid0(VALU_DEP_2) | instskip(NEXT) | instid1(SALU_CYCLE_1)
	s_and_b32 s20, s13, vcc_lo
	s_and_saveexec_b32 s13, s20
	s_cbranch_execz .LBB98_27
; %bb.26:                               ;   in Loop: Header=BB98_19 Depth=1
	s_waitcnt lgkmcnt(0)
	v_bcnt_u32_b32 v0, v0, v38
	ds_store_b32 v50, v0
.LBB98_27:                              ;   in Loop: Header=BB98_19 Depth=1
	s_or_b32 exec_lo, exec_lo, s13
	; wave barrier
	s_waitcnt lgkmcnt(0)
	s_barrier
	buffer_gl0_inv
	ds_load_2addr_b64 v[4:7], v8 offset0:4 offset1:5
	ds_load_2addr_b64 v[0:3], v40 offset0:2 offset1:3
	s_waitcnt lgkmcnt(1)
	v_add_nc_u32_e32 v51, v5, v4
	s_delay_alu instid0(VALU_DEP_1) | instskip(SKIP_1) | instid1(VALU_DEP_1)
	v_add3_u32 v51, v51, v6, v7
	s_waitcnt lgkmcnt(0)
	v_add3_u32 v51, v51, v0, v1
	s_delay_alu instid0(VALU_DEP_1) | instskip(NEXT) | instid1(VALU_DEP_1)
	v_add3_u32 v3, v51, v2, v3
	v_mov_b32_dpp v51, v3 row_shr:1 row_mask:0xf bank_mask:0xf
	s_delay_alu instid0(VALU_DEP_1) | instskip(NEXT) | instid1(VALU_DEP_1)
	v_cndmask_b32_e64 v51, v51, 0, s1
	v_add_nc_u32_e32 v3, v51, v3
	s_delay_alu instid0(VALU_DEP_1) | instskip(NEXT) | instid1(VALU_DEP_1)
	v_mov_b32_dpp v51, v3 row_shr:2 row_mask:0xf bank_mask:0xf
	v_cndmask_b32_e64 v51, 0, v51, s2
	s_delay_alu instid0(VALU_DEP_1) | instskip(NEXT) | instid1(VALU_DEP_1)
	v_add_nc_u32_e32 v3, v3, v51
	v_mov_b32_dpp v51, v3 row_shr:4 row_mask:0xf bank_mask:0xf
	s_delay_alu instid0(VALU_DEP_1) | instskip(NEXT) | instid1(VALU_DEP_1)
	v_cndmask_b32_e64 v51, 0, v51, s3
	v_add_nc_u32_e32 v3, v3, v51
	s_delay_alu instid0(VALU_DEP_1) | instskip(NEXT) | instid1(VALU_DEP_1)
	v_mov_b32_dpp v51, v3 row_shr:8 row_mask:0xf bank_mask:0xf
	v_cndmask_b32_e64 v51, 0, v51, s4
	s_delay_alu instid0(VALU_DEP_1) | instskip(SKIP_3) | instid1(VALU_DEP_1)
	v_add_nc_u32_e32 v3, v3, v51
	ds_swizzle_b32 v51, v3 offset:swizzle(BROADCAST,32,15)
	s_waitcnt lgkmcnt(0)
	v_cndmask_b32_e64 v51, v51, 0, s5
	v_add_nc_u32_e32 v3, v3, v51
	s_and_saveexec_b32 s13, s6
	s_cbranch_execz .LBB98_29
; %bb.28:                               ;   in Loop: Header=BB98_19 Depth=1
	ds_store_b32 v43, v3
.LBB98_29:                              ;   in Loop: Header=BB98_19 Depth=1
	s_or_b32 exec_lo, exec_lo, s13
	s_waitcnt lgkmcnt(0)
	s_barrier
	buffer_gl0_inv
	s_and_saveexec_b32 s13, s0
	s_cbranch_execz .LBB98_31
; %bb.30:                               ;   in Loop: Header=BB98_19 Depth=1
	ds_load_b32 v51, v49
	s_waitcnt lgkmcnt(0)
	v_mov_b32_dpp v52, v51 row_shr:1 row_mask:0xf bank_mask:0xf
	s_delay_alu instid0(VALU_DEP_1) | instskip(NEXT) | instid1(VALU_DEP_1)
	v_cndmask_b32_e64 v52, v52, 0, s10
	v_add_nc_u32_e32 v51, v52, v51
	s_delay_alu instid0(VALU_DEP_1) | instskip(NEXT) | instid1(VALU_DEP_1)
	v_mov_b32_dpp v52, v51 row_shr:2 row_mask:0xf bank_mask:0xf
	v_cndmask_b32_e64 v52, 0, v52, s11
	s_delay_alu instid0(VALU_DEP_1) | instskip(NEXT) | instid1(VALU_DEP_1)
	v_add_nc_u32_e32 v51, v51, v52
	v_mov_b32_dpp v52, v51 row_shr:4 row_mask:0xf bank_mask:0xf
	s_delay_alu instid0(VALU_DEP_1) | instskip(NEXT) | instid1(VALU_DEP_1)
	v_cndmask_b32_e64 v52, 0, v52, s12
	v_add_nc_u32_e32 v51, v51, v52
	ds_store_b32 v49, v51
.LBB98_31:                              ;   in Loop: Header=BB98_19 Depth=1
	s_or_b32 exec_lo, exec_lo, s13
	v_mov_b32_e32 v51, 0
	s_waitcnt lgkmcnt(0)
	s_barrier
	buffer_gl0_inv
	s_and_saveexec_b32 s13, s7
	s_cbranch_execz .LBB98_33
; %bb.32:                               ;   in Loop: Header=BB98_19 Depth=1
	ds_load_b32 v51, v44
.LBB98_33:                              ;   in Loop: Header=BB98_19 Depth=1
	s_or_b32 exec_lo, exec_lo, s13
	s_waitcnt lgkmcnt(0)
	v_add_nc_u32_e32 v3, v51, v3
	s_add_i32 s14, s14, 8
	s_delay_alu instid0(SALU_CYCLE_1) | instskip(SKIP_3) | instid1(VALU_DEP_1)
	s_cmp_ge_u32 s14, s17
	ds_bpermute_b32 v3, v42, v3
	s_waitcnt lgkmcnt(0)
	v_cndmask_b32_e64 v3, v3, v51, s8
	v_cndmask_b32_e64 v3, v3, 0, s9
	s_delay_alu instid0(VALU_DEP_1) | instskip(NEXT) | instid1(VALU_DEP_1)
	v_add_nc_u32_e32 v4, v3, v4
	v_add_nc_u32_e32 v5, v4, v5
	s_delay_alu instid0(VALU_DEP_1) | instskip(NEXT) | instid1(VALU_DEP_1)
	v_add_nc_u32_e32 v6, v5, v6
	v_add_nc_u32_e32 v51, v6, v7
	;; [unrolled: 3-line block ×3, first 2 shown]
	s_delay_alu instid0(VALU_DEP_1)
	v_add_nc_u32_e32 v1, v0, v2
	ds_store_2addr_b64 v8, v[3:4], v[5:6] offset0:4 offset1:5
	ds_store_2addr_b64 v40, v[51:52], v[0:1] offset0:2 offset1:3
	s_waitcnt lgkmcnt(0)
	s_barrier
	buffer_gl0_inv
	ds_load_b32 v0, v34
	ds_load_b32 v1, v37
	;; [unrolled: 1-line block ×4, first 2 shown]
	v_lshlrev_b32_e32 v4, 3, v30
	v_lshlrev_b32_e32 v5, 3, v33
	;; [unrolled: 1-line block ×7, first 2 shown]
	s_waitcnt lgkmcnt(0)
	v_lshlrev_b32_e32 v7, 3, v0
	v_lshlrev_b32_e32 v1, 3, v1
	;; [unrolled: 1-line block ×3, first 2 shown]
	v_lshl_add_u32 v0, v3, 3, v4
	s_delay_alu instid0(VALU_DEP_4) | instskip(NEXT) | instid1(VALU_DEP_4)
	v_add3_u32 v7, v5, v6, v7
	v_add3_u32 v50, v30, v31, v1
	s_delay_alu instid0(VALU_DEP_4)
	v_add3_u32 v51, v32, v33, v2
	s_cbranch_scc0 .LBB98_18
; %bb.34:
                                        ; implicit-def: $vgpr5_vgpr6
                                        ; implicit-def: $vgpr3_vgpr4
                                        ; implicit-def: $vgpr1_vgpr2
                                        ; implicit-def: $vgpr38_vgpr39
                                        ; implicit-def: $sgpr14
                                        ; implicit-def: $vgpr30_vgpr31
                                        ; implicit-def: $vgpr32_vgpr33
                                        ; implicit-def: $vgpr34_vgpr35
                                        ; implicit-def: $vgpr36_vgpr37
.LBB98_35:
	s_barrier
	buffer_gl0_inv
	ds_store_b64 v0, v[14:15]
	ds_store_b64 v7, v[28:29]
	;; [unrolled: 1-line block ×3, first 2 shown]
	v_lshlrev_b32_e32 v26, 3, v9
	ds_store_b64 v51, v[24:25]
	s_waitcnt lgkmcnt(0)
	s_barrier
	buffer_gl0_inv
	ds_load_2addr_stride64_b64 v[10:13], v26 offset1:4
	ds_load_2addr_stride64_b64 v[27:30], v26 offset0:8 offset1:12
	s_waitcnt lgkmcnt(0)
	s_barrier
	buffer_gl0_inv
	ds_store_b64 v0, v[22:23]
	ds_store_b64 v7, v[20:21]
	;; [unrolled: 1-line block ×4, first 2 shown]
	s_waitcnt lgkmcnt(0)
	s_barrier
	buffer_gl0_inv
	ds_load_2addr_stride64_b64 v[4:7], v26 offset1:4
	ds_load_2addr_stride64_b64 v[0:3], v26 offset0:8 offset1:12
	s_add_u32 s0, s18, s24
	s_addc_u32 s1, s19, s25
	v_add_co_u32 v14, s0, s0, v26
	s_delay_alu instid0(VALU_DEP_1)
	v_add_co_ci_u32_e64 v15, null, s1, 0, s0
	s_mov_b32 s0, -1
	s_and_not1_b32 vcc_lo, exec_lo, s26
	s_mov_b32 s3, 0
	v_xor_b32_e32 v19, 0x7fffffff, v11
	v_xor_b32_e32 v18, -1, v10
	v_xor_b32_e32 v17, 0x7fffffff, v13
	v_xor_b32_e32 v16, -1, v12
	;; [unrolled: 2-line block ×4, first 2 shown]
	s_cbranch_vccz .LBB98_39
; %bb.36:
	s_and_not1_b32 vcc_lo, exec_lo, s0
	s_cbranch_vccz .LBB98_40
.LBB98_37:
	s_and_saveexec_b32 s0, s3
	s_cbranch_execnz .LBB98_53
.LBB98_38:
	s_nop 0
	s_sendmsg sendmsg(MSG_DEALLOC_VGPRS)
	s_endpgm
.LBB98_39:
	s_add_u32 s4, s22, s24
	s_addc_u32 s5, s23, s25
	v_add_co_u32 v8, s1, s4, v26
	s_delay_alu instid0(VALU_DEP_1) | instskip(SKIP_2) | instid1(VALU_DEP_4)
	v_add_co_ci_u32_e64 v23, null, s5, 0, s1
	v_add_co_u32 v20, vcc_lo, 0x1000, v14
	v_add_co_ci_u32_e32 v21, vcc_lo, 0, v15, vcc_lo
	v_add_co_u32 v22, vcc_lo, 0x1000, v8
	s_delay_alu instid0(VALU_DEP_4)
	v_add_co_ci_u32_e32 v23, vcc_lo, 0, v23, vcc_lo
	s_mov_b32 s3, -1
	s_clause 0x3
	global_store_b64 v[14:15], v[18:19], off
	global_store_b64 v[14:15], v[16:17], off offset:2048
	global_store_b64 v[20:21], v[10:11], off
	global_store_b64 v[20:21], v[12:13], off offset:2048
	s_waitcnt lgkmcnt(1)
	s_clause 0x1
	global_store_b64 v26, v[4:5], s[4:5]
	global_store_b64 v26, v[6:7], s[4:5] offset:2048
	s_waitcnt lgkmcnt(0)
	global_store_b64 v[22:23], v[0:1], off
	s_cbranch_execnz .LBB98_37
.LBB98_40:
	v_cmp_gt_u32_e32 vcc_lo, s16, v9
	s_and_saveexec_b32 s0, vcc_lo
	s_cbranch_execz .LBB98_42
; %bb.41:
	global_store_b64 v[14:15], v[18:19], off
.LBB98_42:
	s_or_b32 exec_lo, exec_lo, s0
	v_add_nc_u32_e32 v8, 0x100, v9
	s_delay_alu instid0(VALU_DEP_1) | instskip(NEXT) | instid1(VALU_DEP_1)
	v_cmp_gt_u32_e64 s0, s16, v8
	s_and_saveexec_b32 s1, s0
	s_cbranch_execz .LBB98_44
; %bb.43:
	global_store_b64 v[14:15], v[16:17], off offset:2048
.LBB98_44:
	s_or_b32 exec_lo, exec_lo, s1
	v_add_nc_u32_e32 v8, 0x200, v9
	s_delay_alu instid0(VALU_DEP_1) | instskip(NEXT) | instid1(VALU_DEP_1)
	v_cmp_gt_u32_e64 s1, s16, v8
	s_and_saveexec_b32 s3, s1
	s_cbranch_execz .LBB98_46
; %bb.45:
	v_add_co_u32 v16, s2, 0x1000, v14
	s_delay_alu instid0(VALU_DEP_1)
	v_add_co_ci_u32_e64 v17, s2, 0, v15, s2
	global_store_b64 v[16:17], v[10:11], off
.LBB98_46:
	s_or_b32 exec_lo, exec_lo, s3
	v_add_nc_u32_e32 v8, 0x300, v9
	s_delay_alu instid0(VALU_DEP_1) | instskip(NEXT) | instid1(VALU_DEP_1)
	v_cmp_gt_u32_e64 s3, s16, v8
	s_and_saveexec_b32 s4, s3
	s_cbranch_execz .LBB98_48
; %bb.47:
	v_add_co_u32 v8, s2, 0x1000, v14
	s_delay_alu instid0(VALU_DEP_1)
	v_add_co_ci_u32_e64 v9, s2, 0, v15, s2
	global_store_b64 v[8:9], v[12:13], off offset:2048
.LBB98_48:
	s_or_b32 exec_lo, exec_lo, s4
	s_add_u32 s2, s22, s24
	s_addc_u32 s4, s23, s25
	v_add_co_u32 v8, s2, s2, v26
	s_delay_alu instid0(VALU_DEP_1)
	v_add_co_ci_u32_e64 v9, null, s4, 0, s2
	s_and_saveexec_b32 s2, vcc_lo
	s_cbranch_execnz .LBB98_57
; %bb.49:
	s_or_b32 exec_lo, exec_lo, s2
	s_and_saveexec_b32 s2, s0
	s_cbranch_execnz .LBB98_58
.LBB98_50:
	s_or_b32 exec_lo, exec_lo, s2
	s_and_saveexec_b32 s0, s1
	s_cbranch_execz .LBB98_52
.LBB98_51:
	s_waitcnt lgkmcnt(1)
	v_add_co_u32 v4, vcc_lo, 0x1000, v8
	v_add_co_ci_u32_e32 v5, vcc_lo, 0, v9, vcc_lo
	s_waitcnt lgkmcnt(0)
	global_store_b64 v[4:5], v[0:1], off
.LBB98_52:
	s_or_b32 exec_lo, exec_lo, s0
	s_and_saveexec_b32 s0, s3
	s_cbranch_execz .LBB98_38
.LBB98_53:
	s_add_u32 s0, s22, s24
	s_addc_u32 s1, s23, s25
	s_waitcnt lgkmcnt(0)
	v_add_co_u32 v0, s0, s0, v26
	s_delay_alu instid0(VALU_DEP_1) | instskip(NEXT) | instid1(VALU_DEP_2)
	v_add_co_ci_u32_e64 v1, null, s1, 0, s0
	v_add_co_u32 v0, vcc_lo, 0x1000, v0
	s_delay_alu instid0(VALU_DEP_2)
	v_add_co_ci_u32_e32 v1, vcc_lo, 0, v1, vcc_lo
	global_store_b64 v[0:1], v[2:3], off offset:2048
	s_nop 0
	s_sendmsg sendmsg(MSG_DEALLOC_VGPRS)
	s_endpgm
.LBB98_54:
	global_load_b64 v[30:31], v[10:11], off
	s_or_b32 exec_lo, exec_lo, s5
                                        ; implicit-def: $vgpr32_vgpr33
	s_and_saveexec_b32 s5, s2
	s_cbranch_execz .LBB98_13
.LBB98_55:
	global_load_b64 v[32:33], v[10:11], off offset:256
	s_or_b32 exec_lo, exec_lo, s5
                                        ; implicit-def: $vgpr34_vgpr35
	s_and_saveexec_b32 s2, s3
	s_cbranch_execz .LBB98_14
.LBB98_56:
	global_load_b64 v[34:35], v[10:11], off offset:512
	s_or_b32 exec_lo, exec_lo, s2
                                        ; implicit-def: $vgpr36_vgpr37
	s_and_saveexec_b32 s2, s4
	s_cbranch_execnz .LBB98_15
	s_branch .LBB98_16
.LBB98_57:
	s_waitcnt lgkmcnt(1)
	global_store_b64 v[8:9], v[4:5], off
	s_or_b32 exec_lo, exec_lo, s2
	s_and_saveexec_b32 s2, s0
	s_cbranch_execz .LBB98_50
.LBB98_58:
	s_waitcnt lgkmcnt(1)
	global_store_b64 v[8:9], v[6:7], off offset:2048
	s_or_b32 exec_lo, exec_lo, s2
	s_and_saveexec_b32 s0, s1
	s_cbranch_execnz .LBB98_51
	s_branch .LBB98_52
	.section	.rodata,"a",@progbits
	.p2align	6, 0x0
	.amdhsa_kernel _ZN7rocprim17ROCPRIM_304000_NS6detail28radix_sort_block_sort_kernelINS1_36wrapped_radix_sort_block_sort_configINS0_13kernel_configILj256ELj4ELj4294967295EEElN2at4cuda3cub6detail10OpaqueTypeILi8EEEEELb1EPKlPlPKSB_PSB_NS0_19identity_decomposerEEEvT1_T2_T3_T4_jT5_jj
		.amdhsa_group_segment_fixed_size 8224
		.amdhsa_private_segment_fixed_size 0
		.amdhsa_kernarg_size 304
		.amdhsa_user_sgpr_count 15
		.amdhsa_user_sgpr_dispatch_ptr 0
		.amdhsa_user_sgpr_queue_ptr 0
		.amdhsa_user_sgpr_kernarg_segment_ptr 1
		.amdhsa_user_sgpr_dispatch_id 0
		.amdhsa_user_sgpr_private_segment_size 0
		.amdhsa_wavefront_size32 1
		.amdhsa_uses_dynamic_stack 0
		.amdhsa_enable_private_segment 0
		.amdhsa_system_sgpr_workgroup_id_x 1
		.amdhsa_system_sgpr_workgroup_id_y 0
		.amdhsa_system_sgpr_workgroup_id_z 0
		.amdhsa_system_sgpr_workgroup_info 0
		.amdhsa_system_vgpr_workitem_id 2
		.amdhsa_next_free_vgpr 53
		.amdhsa_next_free_sgpr 30
		.amdhsa_reserve_vcc 1
		.amdhsa_float_round_mode_32 0
		.amdhsa_float_round_mode_16_64 0
		.amdhsa_float_denorm_mode_32 3
		.amdhsa_float_denorm_mode_16_64 3
		.amdhsa_dx10_clamp 1
		.amdhsa_ieee_mode 1
		.amdhsa_fp16_overflow 0
		.amdhsa_workgroup_processor_mode 1
		.amdhsa_memory_ordered 1
		.amdhsa_forward_progress 0
		.amdhsa_shared_vgpr_count 0
		.amdhsa_exception_fp_ieee_invalid_op 0
		.amdhsa_exception_fp_denorm_src 0
		.amdhsa_exception_fp_ieee_div_zero 0
		.amdhsa_exception_fp_ieee_overflow 0
		.amdhsa_exception_fp_ieee_underflow 0
		.amdhsa_exception_fp_ieee_inexact 0
		.amdhsa_exception_int_div_zero 0
	.end_amdhsa_kernel
	.section	.text._ZN7rocprim17ROCPRIM_304000_NS6detail28radix_sort_block_sort_kernelINS1_36wrapped_radix_sort_block_sort_configINS0_13kernel_configILj256ELj4ELj4294967295EEElN2at4cuda3cub6detail10OpaqueTypeILi8EEEEELb1EPKlPlPKSB_PSB_NS0_19identity_decomposerEEEvT1_T2_T3_T4_jT5_jj,"axG",@progbits,_ZN7rocprim17ROCPRIM_304000_NS6detail28radix_sort_block_sort_kernelINS1_36wrapped_radix_sort_block_sort_configINS0_13kernel_configILj256ELj4ELj4294967295EEElN2at4cuda3cub6detail10OpaqueTypeILi8EEEEELb1EPKlPlPKSB_PSB_NS0_19identity_decomposerEEEvT1_T2_T3_T4_jT5_jj,comdat
.Lfunc_end98:
	.size	_ZN7rocprim17ROCPRIM_304000_NS6detail28radix_sort_block_sort_kernelINS1_36wrapped_radix_sort_block_sort_configINS0_13kernel_configILj256ELj4ELj4294967295EEElN2at4cuda3cub6detail10OpaqueTypeILi8EEEEELb1EPKlPlPKSB_PSB_NS0_19identity_decomposerEEEvT1_T2_T3_T4_jT5_jj, .Lfunc_end98-_ZN7rocprim17ROCPRIM_304000_NS6detail28radix_sort_block_sort_kernelINS1_36wrapped_radix_sort_block_sort_configINS0_13kernel_configILj256ELj4ELj4294967295EEElN2at4cuda3cub6detail10OpaqueTypeILi8EEEEELb1EPKlPlPKSB_PSB_NS0_19identity_decomposerEEEvT1_T2_T3_T4_jT5_jj
                                        ; -- End function
	.section	.AMDGPU.csdata,"",@progbits
; Kernel info:
; codeLenInByte = 4192
; NumSgprs: 32
; NumVgprs: 53
; ScratchSize: 0
; MemoryBound: 1
; FloatMode: 240
; IeeeMode: 1
; LDSByteSize: 8224 bytes/workgroup (compile time only)
; SGPRBlocks: 3
; VGPRBlocks: 6
; NumSGPRsForWavesPerEU: 32
; NumVGPRsForWavesPerEU: 53
; Occupancy: 16
; WaveLimiterHint : 1
; COMPUTE_PGM_RSRC2:SCRATCH_EN: 0
; COMPUTE_PGM_RSRC2:USER_SGPR: 15
; COMPUTE_PGM_RSRC2:TRAP_HANDLER: 0
; COMPUTE_PGM_RSRC2:TGID_X_EN: 1
; COMPUTE_PGM_RSRC2:TGID_Y_EN: 0
; COMPUTE_PGM_RSRC2:TGID_Z_EN: 0
; COMPUTE_PGM_RSRC2:TIDIG_COMP_CNT: 2
	.section	.text._ZN7rocprim17ROCPRIM_304000_NS6detail39device_merge_sort_compile_time_verifierINS1_36wrapped_merge_sort_block_sort_configINS1_28merge_sort_block_sort_configILj256ELj4ELNS0_20block_sort_algorithmE0EEElN2at4cuda3cub6detail10OpaqueTypeILi8EEEEENS1_37wrapped_merge_sort_block_merge_configINS0_14default_configElSC_EEEEvv,"axG",@progbits,_ZN7rocprim17ROCPRIM_304000_NS6detail39device_merge_sort_compile_time_verifierINS1_36wrapped_merge_sort_block_sort_configINS1_28merge_sort_block_sort_configILj256ELj4ELNS0_20block_sort_algorithmE0EEElN2at4cuda3cub6detail10OpaqueTypeILi8EEEEENS1_37wrapped_merge_sort_block_merge_configINS0_14default_configElSC_EEEEvv,comdat
	.protected	_ZN7rocprim17ROCPRIM_304000_NS6detail39device_merge_sort_compile_time_verifierINS1_36wrapped_merge_sort_block_sort_configINS1_28merge_sort_block_sort_configILj256ELj4ELNS0_20block_sort_algorithmE0EEElN2at4cuda3cub6detail10OpaqueTypeILi8EEEEENS1_37wrapped_merge_sort_block_merge_configINS0_14default_configElSC_EEEEvv ; -- Begin function _ZN7rocprim17ROCPRIM_304000_NS6detail39device_merge_sort_compile_time_verifierINS1_36wrapped_merge_sort_block_sort_configINS1_28merge_sort_block_sort_configILj256ELj4ELNS0_20block_sort_algorithmE0EEElN2at4cuda3cub6detail10OpaqueTypeILi8EEEEENS1_37wrapped_merge_sort_block_merge_configINS0_14default_configElSC_EEEEvv
	.globl	_ZN7rocprim17ROCPRIM_304000_NS6detail39device_merge_sort_compile_time_verifierINS1_36wrapped_merge_sort_block_sort_configINS1_28merge_sort_block_sort_configILj256ELj4ELNS0_20block_sort_algorithmE0EEElN2at4cuda3cub6detail10OpaqueTypeILi8EEEEENS1_37wrapped_merge_sort_block_merge_configINS0_14default_configElSC_EEEEvv
	.p2align	8
	.type	_ZN7rocprim17ROCPRIM_304000_NS6detail39device_merge_sort_compile_time_verifierINS1_36wrapped_merge_sort_block_sort_configINS1_28merge_sort_block_sort_configILj256ELj4ELNS0_20block_sort_algorithmE0EEElN2at4cuda3cub6detail10OpaqueTypeILi8EEEEENS1_37wrapped_merge_sort_block_merge_configINS0_14default_configElSC_EEEEvv,@function
_ZN7rocprim17ROCPRIM_304000_NS6detail39device_merge_sort_compile_time_verifierINS1_36wrapped_merge_sort_block_sort_configINS1_28merge_sort_block_sort_configILj256ELj4ELNS0_20block_sort_algorithmE0EEElN2at4cuda3cub6detail10OpaqueTypeILi8EEEEENS1_37wrapped_merge_sort_block_merge_configINS0_14default_configElSC_EEEEvv: ; @_ZN7rocprim17ROCPRIM_304000_NS6detail39device_merge_sort_compile_time_verifierINS1_36wrapped_merge_sort_block_sort_configINS1_28merge_sort_block_sort_configILj256ELj4ELNS0_20block_sort_algorithmE0EEElN2at4cuda3cub6detail10OpaqueTypeILi8EEEEENS1_37wrapped_merge_sort_block_merge_configINS0_14default_configElSC_EEEEvv
; %bb.0:
	s_endpgm
	.section	.rodata,"a",@progbits
	.p2align	6, 0x0
	.amdhsa_kernel _ZN7rocprim17ROCPRIM_304000_NS6detail39device_merge_sort_compile_time_verifierINS1_36wrapped_merge_sort_block_sort_configINS1_28merge_sort_block_sort_configILj256ELj4ELNS0_20block_sort_algorithmE0EEElN2at4cuda3cub6detail10OpaqueTypeILi8EEEEENS1_37wrapped_merge_sort_block_merge_configINS0_14default_configElSC_EEEEvv
		.amdhsa_group_segment_fixed_size 0
		.amdhsa_private_segment_fixed_size 0
		.amdhsa_kernarg_size 0
		.amdhsa_user_sgpr_count 15
		.amdhsa_user_sgpr_dispatch_ptr 0
		.amdhsa_user_sgpr_queue_ptr 0
		.amdhsa_user_sgpr_kernarg_segment_ptr 0
		.amdhsa_user_sgpr_dispatch_id 0
		.amdhsa_user_sgpr_private_segment_size 0
		.amdhsa_wavefront_size32 1
		.amdhsa_uses_dynamic_stack 0
		.amdhsa_enable_private_segment 0
		.amdhsa_system_sgpr_workgroup_id_x 1
		.amdhsa_system_sgpr_workgroup_id_y 0
		.amdhsa_system_sgpr_workgroup_id_z 0
		.amdhsa_system_sgpr_workgroup_info 0
		.amdhsa_system_vgpr_workitem_id 0
		.amdhsa_next_free_vgpr 1
		.amdhsa_next_free_sgpr 1
		.amdhsa_reserve_vcc 0
		.amdhsa_float_round_mode_32 0
		.amdhsa_float_round_mode_16_64 0
		.amdhsa_float_denorm_mode_32 3
		.amdhsa_float_denorm_mode_16_64 3
		.amdhsa_dx10_clamp 1
		.amdhsa_ieee_mode 1
		.amdhsa_fp16_overflow 0
		.amdhsa_workgroup_processor_mode 1
		.amdhsa_memory_ordered 1
		.amdhsa_forward_progress 0
		.amdhsa_shared_vgpr_count 0
		.amdhsa_exception_fp_ieee_invalid_op 0
		.amdhsa_exception_fp_denorm_src 0
		.amdhsa_exception_fp_ieee_div_zero 0
		.amdhsa_exception_fp_ieee_overflow 0
		.amdhsa_exception_fp_ieee_underflow 0
		.amdhsa_exception_fp_ieee_inexact 0
		.amdhsa_exception_int_div_zero 0
	.end_amdhsa_kernel
	.section	.text._ZN7rocprim17ROCPRIM_304000_NS6detail39device_merge_sort_compile_time_verifierINS1_36wrapped_merge_sort_block_sort_configINS1_28merge_sort_block_sort_configILj256ELj4ELNS0_20block_sort_algorithmE0EEElN2at4cuda3cub6detail10OpaqueTypeILi8EEEEENS1_37wrapped_merge_sort_block_merge_configINS0_14default_configElSC_EEEEvv,"axG",@progbits,_ZN7rocprim17ROCPRIM_304000_NS6detail39device_merge_sort_compile_time_verifierINS1_36wrapped_merge_sort_block_sort_configINS1_28merge_sort_block_sort_configILj256ELj4ELNS0_20block_sort_algorithmE0EEElN2at4cuda3cub6detail10OpaqueTypeILi8EEEEENS1_37wrapped_merge_sort_block_merge_configINS0_14default_configElSC_EEEEvv,comdat
.Lfunc_end99:
	.size	_ZN7rocprim17ROCPRIM_304000_NS6detail39device_merge_sort_compile_time_verifierINS1_36wrapped_merge_sort_block_sort_configINS1_28merge_sort_block_sort_configILj256ELj4ELNS0_20block_sort_algorithmE0EEElN2at4cuda3cub6detail10OpaqueTypeILi8EEEEENS1_37wrapped_merge_sort_block_merge_configINS0_14default_configElSC_EEEEvv, .Lfunc_end99-_ZN7rocprim17ROCPRIM_304000_NS6detail39device_merge_sort_compile_time_verifierINS1_36wrapped_merge_sort_block_sort_configINS1_28merge_sort_block_sort_configILj256ELj4ELNS0_20block_sort_algorithmE0EEElN2at4cuda3cub6detail10OpaqueTypeILi8EEEEENS1_37wrapped_merge_sort_block_merge_configINS0_14default_configElSC_EEEEvv
                                        ; -- End function
	.section	.AMDGPU.csdata,"",@progbits
; Kernel info:
; codeLenInByte = 4
; NumSgprs: 0
; NumVgprs: 0
; ScratchSize: 0
; MemoryBound: 0
; FloatMode: 240
; IeeeMode: 1
; LDSByteSize: 0 bytes/workgroup (compile time only)
; SGPRBlocks: 0
; VGPRBlocks: 0
; NumSGPRsForWavesPerEU: 1
; NumVGPRsForWavesPerEU: 1
; Occupancy: 16
; WaveLimiterHint : 0
; COMPUTE_PGM_RSRC2:SCRATCH_EN: 0
; COMPUTE_PGM_RSRC2:USER_SGPR: 15
; COMPUTE_PGM_RSRC2:TRAP_HANDLER: 0
; COMPUTE_PGM_RSRC2:TGID_X_EN: 1
; COMPUTE_PGM_RSRC2:TGID_Y_EN: 0
; COMPUTE_PGM_RSRC2:TGID_Z_EN: 0
; COMPUTE_PGM_RSRC2:TIDIG_COMP_CNT: 0
	.section	.text._ZN7rocprim17ROCPRIM_304000_NS6detail45device_block_merge_mergepath_partition_kernelINS1_37wrapped_merge_sort_block_merge_configINS0_14default_configElN2at4cuda3cub6detail10OpaqueTypeILi8EEEEEPljNS1_19radix_merge_compareILb1ELb0ElNS0_19identity_decomposerEEEEEvT0_T1_jPSH_T2_SH_,"axG",@progbits,_ZN7rocprim17ROCPRIM_304000_NS6detail45device_block_merge_mergepath_partition_kernelINS1_37wrapped_merge_sort_block_merge_configINS0_14default_configElN2at4cuda3cub6detail10OpaqueTypeILi8EEEEEPljNS1_19radix_merge_compareILb1ELb0ElNS0_19identity_decomposerEEEEEvT0_T1_jPSH_T2_SH_,comdat
	.protected	_ZN7rocprim17ROCPRIM_304000_NS6detail45device_block_merge_mergepath_partition_kernelINS1_37wrapped_merge_sort_block_merge_configINS0_14default_configElN2at4cuda3cub6detail10OpaqueTypeILi8EEEEEPljNS1_19radix_merge_compareILb1ELb0ElNS0_19identity_decomposerEEEEEvT0_T1_jPSH_T2_SH_ ; -- Begin function _ZN7rocprim17ROCPRIM_304000_NS6detail45device_block_merge_mergepath_partition_kernelINS1_37wrapped_merge_sort_block_merge_configINS0_14default_configElN2at4cuda3cub6detail10OpaqueTypeILi8EEEEEPljNS1_19radix_merge_compareILb1ELb0ElNS0_19identity_decomposerEEEEEvT0_T1_jPSH_T2_SH_
	.globl	_ZN7rocprim17ROCPRIM_304000_NS6detail45device_block_merge_mergepath_partition_kernelINS1_37wrapped_merge_sort_block_merge_configINS0_14default_configElN2at4cuda3cub6detail10OpaqueTypeILi8EEEEEPljNS1_19radix_merge_compareILb1ELb0ElNS0_19identity_decomposerEEEEEvT0_T1_jPSH_T2_SH_
	.p2align	8
	.type	_ZN7rocprim17ROCPRIM_304000_NS6detail45device_block_merge_mergepath_partition_kernelINS1_37wrapped_merge_sort_block_merge_configINS0_14default_configElN2at4cuda3cub6detail10OpaqueTypeILi8EEEEEPljNS1_19radix_merge_compareILb1ELb0ElNS0_19identity_decomposerEEEEEvT0_T1_jPSH_T2_SH_,@function
_ZN7rocprim17ROCPRIM_304000_NS6detail45device_block_merge_mergepath_partition_kernelINS1_37wrapped_merge_sort_block_merge_configINS0_14default_configElN2at4cuda3cub6detail10OpaqueTypeILi8EEEEEPljNS1_19radix_merge_compareILb1ELb0ElNS0_19identity_decomposerEEEEEvT0_T1_jPSH_T2_SH_: ; @_ZN7rocprim17ROCPRIM_304000_NS6detail45device_block_merge_mergepath_partition_kernelINS1_37wrapped_merge_sort_block_merge_configINS0_14default_configElN2at4cuda3cub6detail10OpaqueTypeILi8EEEEEPljNS1_19radix_merge_compareILb1ELb0ElNS0_19identity_decomposerEEEEEvT0_T1_jPSH_T2_SH_
; %bb.0:
	s_load_b64 s[2:3], s[0:1], 0x8
	v_lshl_or_b32 v0, s15, 7, v0
	s_waitcnt lgkmcnt(0)
	s_delay_alu instid0(VALU_DEP_1)
	v_cmp_gt_u32_e32 vcc_lo, s3, v0
	s_and_saveexec_b32 s3, vcc_lo
	s_cbranch_execz .LBB100_6
; %bb.1:
	s_load_b32 s3, s[0:1], 0x1c
	s_waitcnt lgkmcnt(0)
	s_lshr_b32 s4, s3, 9
	s_delay_alu instid0(SALU_CYCLE_1) | instskip(NEXT) | instid1(SALU_CYCLE_1)
	s_and_b32 s4, s4, 0x7ffffe
	s_sub_i32 s5, 0, s4
	s_add_i32 s4, s4, -1
	v_and_b32_e32 v1, s5, v0
	v_and_b32_e32 v5, s4, v0
	s_delay_alu instid0(VALU_DEP_2) | instskip(NEXT) | instid1(VALU_DEP_1)
	v_lshlrev_b32_e32 v1, 10, v1
	v_add_nc_u32_e32 v2, s3, v1
	s_delay_alu instid0(VALU_DEP_1) | instskip(SKIP_1) | instid1(VALU_DEP_2)
	v_min_u32_e32 v4, s2, v2
	v_min_u32_e32 v2, s2, v1
	v_add_nc_u32_e32 v3, s3, v4
	s_delay_alu instid0(VALU_DEP_1) | instskip(SKIP_2) | instid1(VALU_DEP_2)
	v_min_u32_e32 v1, s2, v3
	v_lshlrev_b32_e32 v3, 10, v5
	s_mov_b32 s2, exec_lo
	v_sub_nc_u32_e32 v5, v1, v2
	v_sub_nc_u32_e32 v6, v1, v4
	s_delay_alu instid0(VALU_DEP_2) | instskip(SKIP_1) | instid1(VALU_DEP_2)
	v_min_u32_e32 v1, v5, v3
	v_sub_nc_u32_e32 v3, v4, v2
	v_sub_nc_u32_e64 v6, v1, v6 clamp
	s_delay_alu instid0(VALU_DEP_2) | instskip(NEXT) | instid1(VALU_DEP_1)
	v_min_u32_e32 v7, v1, v3
	v_cmpx_lt_u32_e64 v6, v7
	s_cbranch_execz .LBB100_5
; %bb.2:
	s_load_b64 s[4:5], s[0:1], 0x0
	v_mov_b32_e32 v5, 0
	s_mov_b32 s3, 0
	s_delay_alu instid0(VALU_DEP_1) | instskip(SKIP_1) | instid1(VALU_DEP_2)
	v_mov_b32_e32 v3, v5
	v_lshlrev_b64 v[10:11], 3, v[4:5]
	v_lshlrev_b64 v[8:9], 3, v[2:3]
	s_waitcnt lgkmcnt(0)
	s_delay_alu instid0(VALU_DEP_1) | instskip(NEXT) | instid1(VALU_DEP_2)
	v_add_co_u32 v3, vcc_lo, s4, v8
	v_add_co_ci_u32_e32 v8, vcc_lo, s5, v9, vcc_lo
	s_delay_alu instid0(VALU_DEP_4)
	v_add_co_u32 v9, vcc_lo, s4, v10
	v_add_co_ci_u32_e32 v10, vcc_lo, s5, v11, vcc_lo
	.p2align	6
.LBB100_3:                              ; =>This Inner Loop Header: Depth=1
	v_add_nc_u32_e32 v4, v7, v6
	s_delay_alu instid0(VALU_DEP_1) | instskip(SKIP_1) | instid1(VALU_DEP_2)
	v_lshrrev_b32_e32 v4, 1, v4
	v_mov_b32_e32 v12, v5
	v_xad_u32 v11, v4, -1, v1
	v_lshlrev_b64 v[13:14], 3, v[4:5]
	s_delay_alu instid0(VALU_DEP_2) | instskip(NEXT) | instid1(VALU_DEP_2)
	v_lshlrev_b64 v[11:12], 3, v[11:12]
	v_add_co_u32 v13, vcc_lo, v3, v13
	s_delay_alu instid0(VALU_DEP_3) | instskip(NEXT) | instid1(VALU_DEP_3)
	v_add_co_ci_u32_e32 v14, vcc_lo, v8, v14, vcc_lo
	v_add_co_u32 v11, vcc_lo, v9, v11
	s_delay_alu instid0(VALU_DEP_4)
	v_add_co_ci_u32_e32 v12, vcc_lo, v10, v12, vcc_lo
	s_clause 0x1
	global_load_b64 v[13:14], v[13:14], off
	global_load_b64 v[11:12], v[11:12], off
	s_waitcnt vmcnt(0)
	v_cmp_gt_i64_e32 vcc_lo, v[11:12], v[13:14]
	v_add_nc_u32_e32 v11, 1, v4
	v_cndmask_b32_e32 v7, v7, v4, vcc_lo
	s_delay_alu instid0(VALU_DEP_2) | instskip(NEXT) | instid1(VALU_DEP_1)
	v_cndmask_b32_e32 v6, v11, v6, vcc_lo
	v_cmp_ge_u32_e32 vcc_lo, v6, v7
	s_or_b32 s3, vcc_lo, s3
	s_delay_alu instid0(SALU_CYCLE_1)
	s_and_not1_b32 exec_lo, exec_lo, s3
	s_cbranch_execnz .LBB100_3
; %bb.4:
	s_or_b32 exec_lo, exec_lo, s3
.LBB100_5:
	s_delay_alu instid0(SALU_CYCLE_1) | instskip(SKIP_2) | instid1(VALU_DEP_1)
	s_or_b32 exec_lo, exec_lo, s2
	s_load_b64 s[0:1], s[0:1], 0x10
	v_dual_mov_b32 v1, 0 :: v_dual_add_nc_u32 v2, v6, v2
	v_lshlrev_b64 v[0:1], 2, v[0:1]
	s_waitcnt lgkmcnt(0)
	s_delay_alu instid0(VALU_DEP_1) | instskip(NEXT) | instid1(VALU_DEP_2)
	v_add_co_u32 v0, vcc_lo, s0, v0
	v_add_co_ci_u32_e32 v1, vcc_lo, s1, v1, vcc_lo
	global_store_b32 v[0:1], v2, off
.LBB100_6:
	s_nop 0
	s_sendmsg sendmsg(MSG_DEALLOC_VGPRS)
	s_endpgm
	.section	.rodata,"a",@progbits
	.p2align	6, 0x0
	.amdhsa_kernel _ZN7rocprim17ROCPRIM_304000_NS6detail45device_block_merge_mergepath_partition_kernelINS1_37wrapped_merge_sort_block_merge_configINS0_14default_configElN2at4cuda3cub6detail10OpaqueTypeILi8EEEEEPljNS1_19radix_merge_compareILb1ELb0ElNS0_19identity_decomposerEEEEEvT0_T1_jPSH_T2_SH_
		.amdhsa_group_segment_fixed_size 0
		.amdhsa_private_segment_fixed_size 0
		.amdhsa_kernarg_size 32
		.amdhsa_user_sgpr_count 15
		.amdhsa_user_sgpr_dispatch_ptr 0
		.amdhsa_user_sgpr_queue_ptr 0
		.amdhsa_user_sgpr_kernarg_segment_ptr 1
		.amdhsa_user_sgpr_dispatch_id 0
		.amdhsa_user_sgpr_private_segment_size 0
		.amdhsa_wavefront_size32 1
		.amdhsa_uses_dynamic_stack 0
		.amdhsa_enable_private_segment 0
		.amdhsa_system_sgpr_workgroup_id_x 1
		.amdhsa_system_sgpr_workgroup_id_y 0
		.amdhsa_system_sgpr_workgroup_id_z 0
		.amdhsa_system_sgpr_workgroup_info 0
		.amdhsa_system_vgpr_workitem_id 0
		.amdhsa_next_free_vgpr 15
		.amdhsa_next_free_sgpr 16
		.amdhsa_reserve_vcc 1
		.amdhsa_float_round_mode_32 0
		.amdhsa_float_round_mode_16_64 0
		.amdhsa_float_denorm_mode_32 3
		.amdhsa_float_denorm_mode_16_64 3
		.amdhsa_dx10_clamp 1
		.amdhsa_ieee_mode 1
		.amdhsa_fp16_overflow 0
		.amdhsa_workgroup_processor_mode 1
		.amdhsa_memory_ordered 1
		.amdhsa_forward_progress 0
		.amdhsa_shared_vgpr_count 0
		.amdhsa_exception_fp_ieee_invalid_op 0
		.amdhsa_exception_fp_denorm_src 0
		.amdhsa_exception_fp_ieee_div_zero 0
		.amdhsa_exception_fp_ieee_overflow 0
		.amdhsa_exception_fp_ieee_underflow 0
		.amdhsa_exception_fp_ieee_inexact 0
		.amdhsa_exception_int_div_zero 0
	.end_amdhsa_kernel
	.section	.text._ZN7rocprim17ROCPRIM_304000_NS6detail45device_block_merge_mergepath_partition_kernelINS1_37wrapped_merge_sort_block_merge_configINS0_14default_configElN2at4cuda3cub6detail10OpaqueTypeILi8EEEEEPljNS1_19radix_merge_compareILb1ELb0ElNS0_19identity_decomposerEEEEEvT0_T1_jPSH_T2_SH_,"axG",@progbits,_ZN7rocprim17ROCPRIM_304000_NS6detail45device_block_merge_mergepath_partition_kernelINS1_37wrapped_merge_sort_block_merge_configINS0_14default_configElN2at4cuda3cub6detail10OpaqueTypeILi8EEEEEPljNS1_19radix_merge_compareILb1ELb0ElNS0_19identity_decomposerEEEEEvT0_T1_jPSH_T2_SH_,comdat
.Lfunc_end100:
	.size	_ZN7rocprim17ROCPRIM_304000_NS6detail45device_block_merge_mergepath_partition_kernelINS1_37wrapped_merge_sort_block_merge_configINS0_14default_configElN2at4cuda3cub6detail10OpaqueTypeILi8EEEEEPljNS1_19radix_merge_compareILb1ELb0ElNS0_19identity_decomposerEEEEEvT0_T1_jPSH_T2_SH_, .Lfunc_end100-_ZN7rocprim17ROCPRIM_304000_NS6detail45device_block_merge_mergepath_partition_kernelINS1_37wrapped_merge_sort_block_merge_configINS0_14default_configElN2at4cuda3cub6detail10OpaqueTypeILi8EEEEEPljNS1_19radix_merge_compareILb1ELb0ElNS0_19identity_decomposerEEEEEvT0_T1_jPSH_T2_SH_
                                        ; -- End function
	.section	.AMDGPU.csdata,"",@progbits
; Kernel info:
; codeLenInByte = 464
; NumSgprs: 18
; NumVgprs: 15
; ScratchSize: 0
; MemoryBound: 0
; FloatMode: 240
; IeeeMode: 1
; LDSByteSize: 0 bytes/workgroup (compile time only)
; SGPRBlocks: 2
; VGPRBlocks: 1
; NumSGPRsForWavesPerEU: 18
; NumVGPRsForWavesPerEU: 15
; Occupancy: 16
; WaveLimiterHint : 0
; COMPUTE_PGM_RSRC2:SCRATCH_EN: 0
; COMPUTE_PGM_RSRC2:USER_SGPR: 15
; COMPUTE_PGM_RSRC2:TRAP_HANDLER: 0
; COMPUTE_PGM_RSRC2:TGID_X_EN: 1
; COMPUTE_PGM_RSRC2:TGID_Y_EN: 0
; COMPUTE_PGM_RSRC2:TGID_Z_EN: 0
; COMPUTE_PGM_RSRC2:TIDIG_COMP_CNT: 0
	.section	.text._ZN7rocprim17ROCPRIM_304000_NS6detail35device_block_merge_mergepath_kernelINS1_37wrapped_merge_sort_block_merge_configINS0_14default_configElN2at4cuda3cub6detail10OpaqueTypeILi8EEEEEPlSC_PSA_SD_jNS1_19radix_merge_compareILb1ELb0ElNS0_19identity_decomposerEEEEEvT0_T1_T2_T3_T4_SL_jT5_PKSL_NS1_7vsmem_tE,"axG",@progbits,_ZN7rocprim17ROCPRIM_304000_NS6detail35device_block_merge_mergepath_kernelINS1_37wrapped_merge_sort_block_merge_configINS0_14default_configElN2at4cuda3cub6detail10OpaqueTypeILi8EEEEEPlSC_PSA_SD_jNS1_19radix_merge_compareILb1ELb0ElNS0_19identity_decomposerEEEEEvT0_T1_T2_T3_T4_SL_jT5_PKSL_NS1_7vsmem_tE,comdat
	.protected	_ZN7rocprim17ROCPRIM_304000_NS6detail35device_block_merge_mergepath_kernelINS1_37wrapped_merge_sort_block_merge_configINS0_14default_configElN2at4cuda3cub6detail10OpaqueTypeILi8EEEEEPlSC_PSA_SD_jNS1_19radix_merge_compareILb1ELb0ElNS0_19identity_decomposerEEEEEvT0_T1_T2_T3_T4_SL_jT5_PKSL_NS1_7vsmem_tE ; -- Begin function _ZN7rocprim17ROCPRIM_304000_NS6detail35device_block_merge_mergepath_kernelINS1_37wrapped_merge_sort_block_merge_configINS0_14default_configElN2at4cuda3cub6detail10OpaqueTypeILi8EEEEEPlSC_PSA_SD_jNS1_19radix_merge_compareILb1ELb0ElNS0_19identity_decomposerEEEEEvT0_T1_T2_T3_T4_SL_jT5_PKSL_NS1_7vsmem_tE
	.globl	_ZN7rocprim17ROCPRIM_304000_NS6detail35device_block_merge_mergepath_kernelINS1_37wrapped_merge_sort_block_merge_configINS0_14default_configElN2at4cuda3cub6detail10OpaqueTypeILi8EEEEEPlSC_PSA_SD_jNS1_19radix_merge_compareILb1ELb0ElNS0_19identity_decomposerEEEEEvT0_T1_T2_T3_T4_SL_jT5_PKSL_NS1_7vsmem_tE
	.p2align	8
	.type	_ZN7rocprim17ROCPRIM_304000_NS6detail35device_block_merge_mergepath_kernelINS1_37wrapped_merge_sort_block_merge_configINS0_14default_configElN2at4cuda3cub6detail10OpaqueTypeILi8EEEEEPlSC_PSA_SD_jNS1_19radix_merge_compareILb1ELb0ElNS0_19identity_decomposerEEEEEvT0_T1_T2_T3_T4_SL_jT5_PKSL_NS1_7vsmem_tE,@function
_ZN7rocprim17ROCPRIM_304000_NS6detail35device_block_merge_mergepath_kernelINS1_37wrapped_merge_sort_block_merge_configINS0_14default_configElN2at4cuda3cub6detail10OpaqueTypeILi8EEEEEPlSC_PSA_SD_jNS1_19radix_merge_compareILb1ELb0ElNS0_19identity_decomposerEEEEEvT0_T1_T2_T3_T4_SL_jT5_PKSL_NS1_7vsmem_tE: ; @_ZN7rocprim17ROCPRIM_304000_NS6detail35device_block_merge_mergepath_kernelINS1_37wrapped_merge_sort_block_merge_configINS0_14default_configElN2at4cuda3cub6detail10OpaqueTypeILi8EEEEEPlSC_PSA_SD_jNS1_19radix_merge_compareILb1ELb0ElNS0_19identity_decomposerEEEEEvT0_T1_T2_T3_T4_SL_jT5_PKSL_NS1_7vsmem_tE
; %bb.0:
	s_clause 0x1
	s_load_b64 s[2:3], s[0:1], 0x40
	s_load_b128 s[8:11], s[0:1], 0x20
	s_waitcnt lgkmcnt(0)
	s_mul_i32 s3, s3, s15
	s_delay_alu instid0(SALU_CYCLE_1) | instskip(NEXT) | instid1(SALU_CYCLE_1)
	s_add_i32 s3, s3, s14
	s_mul_i32 s2, s3, s2
	s_delay_alu instid0(SALU_CYCLE_1) | instskip(NEXT) | instid1(SALU_CYCLE_1)
	s_add_i32 s14, s2, s13
	s_cmp_ge_u32 s14, s10
	s_cbranch_scc1 .LBB101_38
; %bb.1:
	s_load_b64 s[2:3], s[0:1], 0x30
	s_lshr_b32 s4, s8, 10
	s_mov_b32 s15, 0
	s_cmp_lg_u32 s14, s4
                                        ; implicit-def: $vgpr2_vgpr3
	s_cselect_b32 s11, -1, 0
	s_lshl_b64 s[4:5], s[14:15], 2
	s_waitcnt lgkmcnt(0)
	s_add_u32 s2, s2, s4
	s_addc_u32 s3, s3, s5
	s_load_b64 s[12:13], s[2:3], 0x0
	s_lshr_b32 s2, s9, 9
	s_delay_alu instid0(SALU_CYCLE_1)
	s_and_b32 s10, s2, 0x7ffffe
	s_load_b256 s[0:7], s[0:1], 0x0
	s_sub_i32 s16, 0, s10
	s_lshl_b32 s10, s14, 10
	s_and_b32 s17, s14, s16
	s_or_b32 s16, s14, s16
	s_lshl_b32 s14, s17, 11
	s_lshl_b32 s17, s17, 10
	s_add_i32 s14, s14, s9
	s_sub_i32 s18, s10, s17
	s_sub_i32 s17, s14, s17
	s_add_i32 s14, s14, s18
	s_min_u32 s18, s8, s17
	s_add_i32 s17, s17, s9
	s_waitcnt lgkmcnt(0)
	s_sub_i32 s19, s14, s12
	s_sub_i32 s20, s14, s13
	s_min_u32 s14, s8, s19
	s_addk_i32 s20, 0x400
	s_cmp_eq_u32 s16, -1
	s_cselect_b32 s9, s17, s20
	s_cselect_b32 s13, s18, s13
	s_min_u32 s9, s9, s8
	s_sub_i32 s16, s13, s12
	s_sub_i32 s17, s9, s14
	s_mov_b32 s13, s15
	s_add_i32 s18, s17, s16
	s_delay_alu instid0(SALU_CYCLE_1) | instskip(SKIP_1) | instid1(SALU_CYCLE_1)
	v_cmp_gt_u32_e32 vcc_lo, s18, v0
	s_or_b32 s9, s11, vcc_lo
	s_and_saveexec_b32 s19, s9
	s_delay_alu instid0(SALU_CYCLE_1)
	s_xor_b32 s19, exec_lo, s19
	s_cbranch_execz .LBB101_3
; %bb.2:
	v_dual_mov_b32 v1, 0 :: v_dual_lshlrev_b32 v4, 3, v0
	s_lshl_b64 s[20:21], s[12:13], 3
	v_subrev_nc_u32_e32 v2, s16, v0
	s_add_u32 s22, s0, s20
	s_addc_u32 s23, s1, s21
	v_add_co_u32 v4, s22, s22, v4
	v_mov_b32_e32 v3, v1
	s_lshl_b64 s[20:21], s[14:15], 3
	v_add_co_ci_u32_e64 v5, null, s23, 0, s22
	s_add_u32 s0, s0, s20
	s_delay_alu instid0(VALU_DEP_2) | instskip(SKIP_1) | instid1(VALU_DEP_1)
	v_lshlrev_b64 v[2:3], 3, v[2:3]
	s_addc_u32 s1, s1, s21
	v_add_co_u32 v2, vcc_lo, s0, v2
	s_delay_alu instid0(VALU_DEP_2) | instskip(SKIP_1) | instid1(VALU_DEP_2)
	v_add_co_ci_u32_e32 v3, vcc_lo, s1, v3, vcc_lo
	v_cmp_gt_u32_e32 vcc_lo, s16, v0
	v_dual_cndmask_b32 v2, v2, v4 :: v_dual_cndmask_b32 v3, v3, v5
	global_load_b64 v[2:3], v[2:3], off
.LBB101_3:
	s_and_not1_saveexec_b32 s0, s19
; %bb.4:
	v_mov_b32_e32 v1, 0
                                        ; implicit-def: $vgpr2_vgpr3
; %bb.5:
	s_or_b32 exec_lo, exec_lo, s0
	v_min_u32_e32 v4, s18, v0
	v_lshlrev_b32_e32 v8, 3, v0
	s_mov_b32 s0, exec_lo
	s_delay_alu instid0(VALU_DEP_2)
	v_sub_nc_u32_e64 v6, v4, s17 clamp
	v_min_u32_e32 v5, s16, v4
	s_waitcnt vmcnt(0)
	ds_store_b64 v8, v[2:3]
	s_waitcnt lgkmcnt(0)
	s_barrier
	buffer_gl0_inv
	v_cmpx_lt_u32_e64 v6, v5
	s_cbranch_execz .LBB101_9
; %bb.6:
	v_lshlrev_b32_e32 v7, 3, v4
	s_mov_b32 s1, 0
	s_delay_alu instid0(VALU_DEP_1)
	v_lshl_add_u32 v7, s16, 3, v7
	.p2align	6
.LBB101_7:                              ; =>This Inner Loop Header: Depth=1
	v_add_nc_u32_e32 v9, v5, v6
	s_delay_alu instid0(VALU_DEP_1) | instskip(NEXT) | instid1(VALU_DEP_1)
	v_lshrrev_b32_e32 v13, 1, v9
	v_not_b32_e32 v9, v13
	v_lshlrev_b32_e32 v10, 3, v13
	s_delay_alu instid0(VALU_DEP_2)
	v_lshl_add_u32 v11, v9, 3, v7
	ds_load_b64 v[9:10], v10
	ds_load_b64 v[11:12], v11
	s_waitcnt lgkmcnt(0)
	v_cmp_gt_i64_e32 vcc_lo, v[11:12], v[9:10]
	v_add_nc_u32_e32 v9, 1, v13
	v_cndmask_b32_e32 v5, v5, v13, vcc_lo
	s_delay_alu instid0(VALU_DEP_2) | instskip(NEXT) | instid1(VALU_DEP_1)
	v_cndmask_b32_e32 v6, v9, v6, vcc_lo
	v_cmp_ge_u32_e32 vcc_lo, v6, v5
	s_or_b32 s1, vcc_lo, s1
	s_delay_alu instid0(SALU_CYCLE_1)
	s_and_not1_b32 exec_lo, exec_lo, s1
	s_cbranch_execnz .LBB101_7
; %bb.8:
	s_or_b32 exec_lo, exec_lo, s1
.LBB101_9:
	s_delay_alu instid0(SALU_CYCLE_1) | instskip(SKIP_3) | instid1(VALU_DEP_3)
	s_or_b32 exec_lo, exec_lo, s0
	v_sub_nc_u32_e32 v4, v4, v6
	v_cmp_ge_u32_e32 vcc_lo, s16, v6
	v_mov_b32_e32 v9, 0
	v_add_nc_u32_e32 v7, s16, v4
	s_delay_alu instid0(VALU_DEP_1) | instskip(NEXT) | instid1(VALU_DEP_1)
	v_cmp_ge_u32_e64 s0, s18, v7
	s_or_b32 s0, vcc_lo, s0
	s_delay_alu instid0(SALU_CYCLE_1)
	s_and_saveexec_b32 s19, s0
	s_cbranch_execz .LBB101_15
; %bb.10:
	v_cmp_gt_u32_e32 vcc_lo, s16, v6
                                        ; implicit-def: $vgpr2_vgpr3
	s_and_saveexec_b32 s0, vcc_lo
	s_cbranch_execz .LBB101_12
; %bb.11:
	v_lshlrev_b32_e32 v2, 3, v6
	ds_load_b64 v[2:3], v2
.LBB101_12:
	s_or_b32 exec_lo, exec_lo, s0
	v_cmp_le_u32_e64 s0, s18, v7
	v_cmp_gt_u32_e64 s1, s18, v7
                                        ; implicit-def: $vgpr4_vgpr5
	s_delay_alu instid0(VALU_DEP_1)
	s_and_saveexec_b32 s18, s1
	s_cbranch_execz .LBB101_14
; %bb.13:
	v_lshlrev_b32_e32 v4, 3, v7
	ds_load_b64 v[4:5], v4
.LBB101_14:
	s_or_b32 exec_lo, exec_lo, s18
	s_waitcnt lgkmcnt(0)
	v_cmp_le_i64_e64 s1, v[4:5], v[2:3]
	s_delay_alu instid0(VALU_DEP_1) | instskip(NEXT) | instid1(SALU_CYCLE_1)
	s_and_b32 s1, vcc_lo, s1
	s_or_b32 vcc_lo, s0, s1
	v_cndmask_b32_e32 v9, v7, v6, vcc_lo
	v_dual_cndmask_b32 v3, v5, v3 :: v_dual_cndmask_b32 v2, v4, v2
.LBB101_15:
	s_or_b32 exec_lo, exec_lo, s19
	s_lshl_b64 s[12:13], s[12:13], 3
	v_cmp_le_u32_e64 s0, s16, v0
	s_add_u32 s1, s4, s12
	s_addc_u32 s12, s5, s13
	s_lshl_b64 s[14:15], s[14:15], 3
	s_delay_alu instid0(SALU_CYCLE_1)
	s_add_u32 s13, s4, s14
	s_addc_u32 s5, s5, s15
	s_and_b32 vcc_lo, exec_lo, s11
	s_barrier
	buffer_gl0_inv
	s_cbranch_vccz .LBB101_21
; %bb.16:
                                        ; implicit-def: $vgpr4_vgpr5
	s_and_saveexec_b32 s4, s0
	s_delay_alu instid0(SALU_CYCLE_1)
	s_xor_b32 s4, exec_lo, s4
; %bb.17:
	v_subrev_nc_u32_e32 v4, s16, v0
	v_mov_b32_e32 v5, 0
	s_delay_alu instid0(VALU_DEP_1) | instskip(NEXT) | instid1(VALU_DEP_1)
	v_lshlrev_b64 v[4:5], 3, v[4:5]
	v_add_co_u32 v4, vcc_lo, s13, v4
	s_delay_alu instid0(VALU_DEP_2)
	v_add_co_ci_u32_e32 v5, vcc_lo, s5, v5, vcc_lo
; %bb.18:
	s_and_not1_saveexec_b32 s4, s4
; %bb.19:
	v_lshlrev_b64 v[4:5], 3, v[0:1]
	s_delay_alu instid0(VALU_DEP_1) | instskip(NEXT) | instid1(VALU_DEP_2)
	v_add_co_u32 v4, vcc_lo, s1, v4
	v_add_co_ci_u32_e32 v5, vcc_lo, s12, v5, vcc_lo
; %bb.20:
	s_or_b32 exec_lo, exec_lo, s4
	s_mov_b32 s4, -1
	s_cbranch_execz .LBB101_22
	s_branch .LBB101_29
.LBB101_21:
	s_mov_b32 s4, 0
                                        ; implicit-def: $vgpr4_vgpr5
.LBB101_22:
                                        ; implicit-def: $vgpr4_vgpr5
	s_and_saveexec_b32 s14, s0
	s_delay_alu instid0(SALU_CYCLE_1)
	s_xor_b32 s0, exec_lo, s14
	s_cbranch_execz .LBB101_26
; %bb.23:
	v_subrev_nc_u32_e32 v6, s16, v0
	s_mov_b32 s15, s4
	s_mov_b32 s14, exec_lo
                                        ; implicit-def: $vgpr4_vgpr5
	s_delay_alu instid0(VALU_DEP_1)
	v_cmpx_gt_u32_e64 s17, v6
	s_xor_b32 s14, exec_lo, s14
; %bb.24:
	v_mov_b32_e32 v7, 0
	s_or_b32 s15, s4, exec_lo
	s_delay_alu instid0(VALU_DEP_1) | instskip(NEXT) | instid1(VALU_DEP_1)
	v_lshlrev_b64 v[4:5], 3, v[6:7]
	v_add_co_u32 v4, vcc_lo, s13, v4
	s_delay_alu instid0(VALU_DEP_2)
	v_add_co_ci_u32_e32 v5, vcc_lo, s5, v5, vcc_lo
; %bb.25:
	s_or_b32 exec_lo, exec_lo, s14
	s_delay_alu instid0(SALU_CYCLE_1) | instskip(SKIP_1) | instid1(SALU_CYCLE_1)
	s_and_not1_b32 s4, s4, exec_lo
	s_and_b32 s5, s15, exec_lo
	s_or_b32 s4, s4, s5
.LBB101_26:
	s_and_not1_saveexec_b32 s0, s0
; %bb.27:
	v_lshlrev_b64 v[4:5], 3, v[0:1]
	s_or_b32 s4, s4, exec_lo
	s_delay_alu instid0(VALU_DEP_1) | instskip(NEXT) | instid1(VALU_DEP_2)
	v_add_co_u32 v4, vcc_lo, s1, v4
	v_add_co_ci_u32_e32 v5, vcc_lo, s12, v5, vcc_lo
; %bb.28:
	s_or_b32 exec_lo, exec_lo, s0
.LBB101_29:
	s_and_saveexec_b32 s0, s4
	s_cbranch_execz .LBB101_31
; %bb.30:
	global_load_b64 v[4:5], v[4:5], off
	s_waitcnt vmcnt(0)
	ds_store_b64 v8, v[4:5]
.LBB101_31:
	s_or_b32 exec_lo, exec_lo, s0
	s_waitcnt lgkmcnt(0)
	s_barrier
	buffer_gl0_inv
	s_and_saveexec_b32 s0, s9
	s_cbranch_execz .LBB101_33
; %bb.32:
	v_dual_mov_b32 v7, 0 :: v_dual_lshlrev_b32 v4, 3, v9
	v_or_b32_e32 v6, s10, v0
	ds_load_b64 v[4:5], v4
	v_lshlrev_b64 v[6:7], 3, v[6:7]
	s_delay_alu instid0(VALU_DEP_1) | instskip(NEXT) | instid1(VALU_DEP_2)
	v_add_co_u32 v6, vcc_lo, s6, v6
	v_add_co_ci_u32_e32 v7, vcc_lo, s7, v7, vcc_lo
	s_waitcnt lgkmcnt(0)
	global_store_b64 v[6:7], v[4:5], off
.LBB101_33:
	s_or_b32 exec_lo, exec_lo, s0
	s_delay_alu instid0(SALU_CYCLE_1)
	s_and_b32 vcc_lo, exec_lo, s11
	s_mov_b32 s11, -1
	s_waitcnt_vscnt null, 0x0
	s_barrier
	buffer_gl0_inv
	s_barrier
	buffer_gl0_inv
	s_cbranch_vccz .LBB101_35
; %bb.34:
	ds_store_b64 v8, v[2:3]
	s_waitcnt lgkmcnt(0)
	s_barrier
	buffer_gl0_inv
	ds_load_b64 v[4:5], v8
	s_mov_b32 s11, 0
	v_lshlrev_b64 v[6:7], 3, v[0:1]
	s_lshl_b64 s[0:1], s[10:11], 3
	s_delay_alu instid0(SALU_CYCLE_1) | instskip(SKIP_1) | instid1(VALU_DEP_1)
	s_add_u32 s0, s2, s0
	s_addc_u32 s1, s3, s1
	v_add_co_u32 v6, vcc_lo, s0, v6
	s_delay_alu instid0(VALU_DEP_2)
	v_add_co_ci_u32_e32 v7, vcc_lo, s1, v7, vcc_lo
	s_waitcnt lgkmcnt(0)
	global_store_b64 v[6:7], v[4:5], off
.LBB101_35:
	s_and_not1_b32 vcc_lo, exec_lo, s11
	s_cbranch_vccnz .LBB101_38
; %bb.36:
	s_sub_i32 s0, s8, s10
	ds_store_b64 v8, v[2:3]
	v_cmp_gt_u32_e32 vcc_lo, s0, v0
	s_waitcnt lgkmcnt(0)
	s_waitcnt_vscnt null, 0x0
	s_barrier
	buffer_gl0_inv
	s_and_saveexec_b32 s0, vcc_lo
	s_cbranch_execz .LBB101_38
; %bb.37:
	ds_load_b64 v[2:3], v8
	s_mov_b32 s11, 0
	v_lshlrev_b64 v[0:1], 3, v[0:1]
	s_lshl_b64 s[0:1], s[10:11], 3
	s_delay_alu instid0(SALU_CYCLE_1) | instskip(SKIP_1) | instid1(VALU_DEP_1)
	s_add_u32 s0, s2, s0
	s_addc_u32 s1, s3, s1
	v_add_co_u32 v0, vcc_lo, s0, v0
	s_delay_alu instid0(VALU_DEP_2)
	v_add_co_ci_u32_e32 v1, vcc_lo, s1, v1, vcc_lo
	s_waitcnt lgkmcnt(0)
	global_store_b64 v[0:1], v[2:3], off
.LBB101_38:
	s_nop 0
	s_sendmsg sendmsg(MSG_DEALLOC_VGPRS)
	s_endpgm
	.section	.rodata,"a",@progbits
	.p2align	6, 0x0
	.amdhsa_kernel _ZN7rocprim17ROCPRIM_304000_NS6detail35device_block_merge_mergepath_kernelINS1_37wrapped_merge_sort_block_merge_configINS0_14default_configElN2at4cuda3cub6detail10OpaqueTypeILi8EEEEEPlSC_PSA_SD_jNS1_19radix_merge_compareILb1ELb0ElNS0_19identity_decomposerEEEEEvT0_T1_T2_T3_T4_SL_jT5_PKSL_NS1_7vsmem_tE
		.amdhsa_group_segment_fixed_size 8208
		.amdhsa_private_segment_fixed_size 0
		.amdhsa_kernarg_size 320
		.amdhsa_user_sgpr_count 13
		.amdhsa_user_sgpr_dispatch_ptr 0
		.amdhsa_user_sgpr_queue_ptr 0
		.amdhsa_user_sgpr_kernarg_segment_ptr 1
		.amdhsa_user_sgpr_dispatch_id 0
		.amdhsa_user_sgpr_private_segment_size 0
		.amdhsa_wavefront_size32 1
		.amdhsa_uses_dynamic_stack 0
		.amdhsa_enable_private_segment 0
		.amdhsa_system_sgpr_workgroup_id_x 1
		.amdhsa_system_sgpr_workgroup_id_y 1
		.amdhsa_system_sgpr_workgroup_id_z 1
		.amdhsa_system_sgpr_workgroup_info 0
		.amdhsa_system_vgpr_workitem_id 0
		.amdhsa_next_free_vgpr 14
		.amdhsa_next_free_sgpr 24
		.amdhsa_reserve_vcc 1
		.amdhsa_float_round_mode_32 0
		.amdhsa_float_round_mode_16_64 0
		.amdhsa_float_denorm_mode_32 3
		.amdhsa_float_denorm_mode_16_64 3
		.amdhsa_dx10_clamp 1
		.amdhsa_ieee_mode 1
		.amdhsa_fp16_overflow 0
		.amdhsa_workgroup_processor_mode 1
		.amdhsa_memory_ordered 1
		.amdhsa_forward_progress 0
		.amdhsa_shared_vgpr_count 0
		.amdhsa_exception_fp_ieee_invalid_op 0
		.amdhsa_exception_fp_denorm_src 0
		.amdhsa_exception_fp_ieee_div_zero 0
		.amdhsa_exception_fp_ieee_overflow 0
		.amdhsa_exception_fp_ieee_underflow 0
		.amdhsa_exception_fp_ieee_inexact 0
		.amdhsa_exception_int_div_zero 0
	.end_amdhsa_kernel
	.section	.text._ZN7rocprim17ROCPRIM_304000_NS6detail35device_block_merge_mergepath_kernelINS1_37wrapped_merge_sort_block_merge_configINS0_14default_configElN2at4cuda3cub6detail10OpaqueTypeILi8EEEEEPlSC_PSA_SD_jNS1_19radix_merge_compareILb1ELb0ElNS0_19identity_decomposerEEEEEvT0_T1_T2_T3_T4_SL_jT5_PKSL_NS1_7vsmem_tE,"axG",@progbits,_ZN7rocprim17ROCPRIM_304000_NS6detail35device_block_merge_mergepath_kernelINS1_37wrapped_merge_sort_block_merge_configINS0_14default_configElN2at4cuda3cub6detail10OpaqueTypeILi8EEEEEPlSC_PSA_SD_jNS1_19radix_merge_compareILb1ELb0ElNS0_19identity_decomposerEEEEEvT0_T1_T2_T3_T4_SL_jT5_PKSL_NS1_7vsmem_tE,comdat
.Lfunc_end101:
	.size	_ZN7rocprim17ROCPRIM_304000_NS6detail35device_block_merge_mergepath_kernelINS1_37wrapped_merge_sort_block_merge_configINS0_14default_configElN2at4cuda3cub6detail10OpaqueTypeILi8EEEEEPlSC_PSA_SD_jNS1_19radix_merge_compareILb1ELb0ElNS0_19identity_decomposerEEEEEvT0_T1_T2_T3_T4_SL_jT5_PKSL_NS1_7vsmem_tE, .Lfunc_end101-_ZN7rocprim17ROCPRIM_304000_NS6detail35device_block_merge_mergepath_kernelINS1_37wrapped_merge_sort_block_merge_configINS0_14default_configElN2at4cuda3cub6detail10OpaqueTypeILi8EEEEEPlSC_PSA_SD_jNS1_19radix_merge_compareILb1ELb0ElNS0_19identity_decomposerEEEEEvT0_T1_T2_T3_T4_SL_jT5_PKSL_NS1_7vsmem_tE
                                        ; -- End function
	.section	.AMDGPU.csdata,"",@progbits
; Kernel info:
; codeLenInByte = 1384
; NumSgprs: 26
; NumVgprs: 14
; ScratchSize: 0
; MemoryBound: 1
; FloatMode: 240
; IeeeMode: 1
; LDSByteSize: 8208 bytes/workgroup (compile time only)
; SGPRBlocks: 3
; VGPRBlocks: 1
; NumSGPRsForWavesPerEU: 26
; NumVGPRsForWavesPerEU: 14
; Occupancy: 16
; WaveLimiterHint : 1
; COMPUTE_PGM_RSRC2:SCRATCH_EN: 0
; COMPUTE_PGM_RSRC2:USER_SGPR: 13
; COMPUTE_PGM_RSRC2:TRAP_HANDLER: 0
; COMPUTE_PGM_RSRC2:TGID_X_EN: 1
; COMPUTE_PGM_RSRC2:TGID_Y_EN: 1
; COMPUTE_PGM_RSRC2:TGID_Z_EN: 1
; COMPUTE_PGM_RSRC2:TIDIG_COMP_CNT: 0
	.section	.text._ZN7rocprim17ROCPRIM_304000_NS6detail33device_block_merge_oddeven_kernelINS1_37wrapped_merge_sort_block_merge_configINS0_14default_configElN2at4cuda3cub6detail10OpaqueTypeILi8EEEEEPlSC_PSA_SD_jNS1_19radix_merge_compareILb1ELb0ElNS0_19identity_decomposerEEEEEvT0_T1_T2_T3_T4_SL_T5_,"axG",@progbits,_ZN7rocprim17ROCPRIM_304000_NS6detail33device_block_merge_oddeven_kernelINS1_37wrapped_merge_sort_block_merge_configINS0_14default_configElN2at4cuda3cub6detail10OpaqueTypeILi8EEEEEPlSC_PSA_SD_jNS1_19radix_merge_compareILb1ELb0ElNS0_19identity_decomposerEEEEEvT0_T1_T2_T3_T4_SL_T5_,comdat
	.protected	_ZN7rocprim17ROCPRIM_304000_NS6detail33device_block_merge_oddeven_kernelINS1_37wrapped_merge_sort_block_merge_configINS0_14default_configElN2at4cuda3cub6detail10OpaqueTypeILi8EEEEEPlSC_PSA_SD_jNS1_19radix_merge_compareILb1ELb0ElNS0_19identity_decomposerEEEEEvT0_T1_T2_T3_T4_SL_T5_ ; -- Begin function _ZN7rocprim17ROCPRIM_304000_NS6detail33device_block_merge_oddeven_kernelINS1_37wrapped_merge_sort_block_merge_configINS0_14default_configElN2at4cuda3cub6detail10OpaqueTypeILi8EEEEEPlSC_PSA_SD_jNS1_19radix_merge_compareILb1ELb0ElNS0_19identity_decomposerEEEEEvT0_T1_T2_T3_T4_SL_T5_
	.globl	_ZN7rocprim17ROCPRIM_304000_NS6detail33device_block_merge_oddeven_kernelINS1_37wrapped_merge_sort_block_merge_configINS0_14default_configElN2at4cuda3cub6detail10OpaqueTypeILi8EEEEEPlSC_PSA_SD_jNS1_19radix_merge_compareILb1ELb0ElNS0_19identity_decomposerEEEEEvT0_T1_T2_T3_T4_SL_T5_
	.p2align	8
	.type	_ZN7rocprim17ROCPRIM_304000_NS6detail33device_block_merge_oddeven_kernelINS1_37wrapped_merge_sort_block_merge_configINS0_14default_configElN2at4cuda3cub6detail10OpaqueTypeILi8EEEEEPlSC_PSA_SD_jNS1_19radix_merge_compareILb1ELb0ElNS0_19identity_decomposerEEEEEvT0_T1_T2_T3_T4_SL_T5_,@function
_ZN7rocprim17ROCPRIM_304000_NS6detail33device_block_merge_oddeven_kernelINS1_37wrapped_merge_sort_block_merge_configINS0_14default_configElN2at4cuda3cub6detail10OpaqueTypeILi8EEEEEPlSC_PSA_SD_jNS1_19radix_merge_compareILb1ELb0ElNS0_19identity_decomposerEEEEEvT0_T1_T2_T3_T4_SL_T5_: ; @_ZN7rocprim17ROCPRIM_304000_NS6detail33device_block_merge_oddeven_kernelINS1_37wrapped_merge_sort_block_merge_configINS0_14default_configElN2at4cuda3cub6detail10OpaqueTypeILi8EEEEEPlSC_PSA_SD_jNS1_19radix_merge_compareILb1ELb0ElNS0_19identity_decomposerEEEEEvT0_T1_T2_T3_T4_SL_T5_
; %bb.0:
	s_load_b64 s[16:17], s[0:1], 0x20
	s_waitcnt lgkmcnt(0)
	s_lshr_b32 s2, s16, 8
	s_delay_alu instid0(SALU_CYCLE_1) | instskip(SKIP_4) | instid1(SALU_CYCLE_1)
	s_cmp_lg_u32 s15, s2
	s_cselect_b32 s4, -1, 0
	s_cmp_eq_u32 s15, s2
	s_cselect_b32 s3, -1, 0
	s_lshl_b32 s12, s15, 8
	s_sub_i32 s2, s16, s12
	s_delay_alu instid0(SALU_CYCLE_1) | instskip(NEXT) | instid1(VALU_DEP_1)
	v_cmp_gt_u32_e64 s2, s2, v0
	s_or_b32 s4, s4, s2
	s_delay_alu instid0(SALU_CYCLE_1)
	s_and_saveexec_b32 s5, s4
	s_cbranch_execz .LBB102_26
; %bb.1:
	s_load_b256 s[4:11], s[0:1], 0x0
	s_mov_b32 s13, 0
	v_lshlrev_b32_e32 v3, 3, v0
	s_lshl_b64 s[0:1], s[12:13], 3
	v_add_nc_u32_e32 v7, s12, v0
	s_waitcnt lgkmcnt(0)
	s_add_u32 s18, s4, s0
	s_addc_u32 s19, s5, s1
	s_add_u32 s0, s8, s0
	s_addc_u32 s1, s9, s1
	s_clause 0x1
	global_load_b64 v[1:2], v3, s[0:1]
	global_load_b64 v[3:4], v3, s[18:19]
	s_lshr_b32 s0, s17, 8
	s_delay_alu instid0(SALU_CYCLE_1) | instskip(NEXT) | instid1(SALU_CYCLE_1)
	s_sub_i32 s1, 0, s0
	s_and_b32 s1, s15, s1
	s_delay_alu instid0(SALU_CYCLE_1) | instskip(SKIP_4) | instid1(SALU_CYCLE_1)
	s_and_b32 s0, s1, s0
	s_lshl_b32 s9, s1, 8
	s_sub_i32 s1, 0, s17
	s_cmp_eq_u32 s0, 0
	s_cselect_b32 s0, -1, 0
	s_and_b32 s8, s0, exec_lo
	s_cselect_b32 s1, s17, s1
	s_delay_alu instid0(SALU_CYCLE_1) | instskip(NEXT) | instid1(SALU_CYCLE_1)
	s_add_i32 s1, s1, s9
	s_cmp_lt_u32 s1, s16
	s_cbranch_scc1 .LBB102_6
; %bb.2:
	s_and_b32 vcc_lo, exec_lo, s3
	s_cbranch_vccz .LBB102_7
; %bb.3:
	s_mov_b32 s8, 0
	s_mov_b32 s12, exec_lo
                                        ; implicit-def: $vgpr5_vgpr6
	v_cmpx_gt_u32_e64 s16, v7
	s_cbranch_execz .LBB102_5
; %bb.4:
	v_mov_b32_e32 v8, 0
	s_mov_b32 s13, exec_lo
	s_delay_alu instid0(VALU_DEP_1) | instskip(NEXT) | instid1(VALU_DEP_1)
	v_lshlrev_b64 v[5:6], 3, v[7:8]
	v_add_co_u32 v8, vcc_lo, s6, v5
	s_delay_alu instid0(VALU_DEP_2)
	v_add_co_ci_u32_e32 v9, vcc_lo, s7, v6, vcc_lo
	v_add_co_u32 v5, vcc_lo, s10, v5
	v_add_co_ci_u32_e32 v6, vcc_lo, s11, v6, vcc_lo
	s_waitcnt vmcnt(0)
	global_store_b64 v[8:9], v[3:4], off
.LBB102_5:
	s_or_b32 exec_lo, exec_lo, s12
	s_delay_alu instid0(SALU_CYCLE_1)
	s_and_b32 vcc_lo, exec_lo, s8
	s_cbranch_vccnz .LBB102_8
	s_branch .LBB102_9
.LBB102_6:
                                        ; implicit-def: $vgpr5_vgpr6
	s_cbranch_execnz .LBB102_10
	s_branch .LBB102_24
.LBB102_7:
                                        ; implicit-def: $vgpr5_vgpr6
	s_cbranch_execz .LBB102_9
.LBB102_8:
	v_mov_b32_e32 v8, 0
	s_or_b32 s13, s13, exec_lo
	s_delay_alu instid0(VALU_DEP_1) | instskip(NEXT) | instid1(VALU_DEP_1)
	v_lshlrev_b64 v[5:6], 3, v[7:8]
	v_add_co_u32 v8, vcc_lo, s6, v5
	s_delay_alu instid0(VALU_DEP_2)
	v_add_co_ci_u32_e32 v9, vcc_lo, s7, v6, vcc_lo
	v_add_co_u32 v5, vcc_lo, s10, v5
	v_add_co_ci_u32_e32 v6, vcc_lo, s11, v6, vcc_lo
	s_waitcnt vmcnt(0)
	global_store_b64 v[8:9], v[3:4], off
.LBB102_9:
	s_branch .LBB102_24
.LBB102_10:
	s_min_u32 s8, s1, s16
	s_and_b32 vcc_lo, exec_lo, s3
	s_add_i32 s12, s9, s8
	s_min_u32 s9, s9, s8
	v_subrev_nc_u32_e32 v0, s12, v7
	s_add_i32 s12, s8, s17
	s_delay_alu instid0(SALU_CYCLE_1) | instskip(NEXT) | instid1(VALU_DEP_1)
	s_min_u32 s3, s12, s16
	v_add_nc_u32_e32 v0, s9, v0
	s_cbranch_vccz .LBB102_18
; %bb.11:
                                        ; implicit-def: $vgpr5_vgpr6
	s_and_saveexec_b32 s9, s2
	s_cbranch_execz .LBB102_17
; %bb.12:
	v_mov_b32_e32 v7, s8
	s_cmp_ge_u32 s1, s3
	s_cbranch_scc1 .LBB102_16
; %bb.13:
	v_dual_mov_b32 v8, s3 :: v_dual_mov_b32 v7, s8
	v_mov_b32_e32 v6, 0
	s_mov_b32 s2, 0
	.p2align	6
.LBB102_14:                             ; =>This Inner Loop Header: Depth=1
	s_delay_alu instid0(VALU_DEP_2) | instskip(NEXT) | instid1(VALU_DEP_1)
	v_add_nc_u32_e32 v5, v7, v8
	v_lshrrev_b32_e32 v5, 1, v5
	s_delay_alu instid0(VALU_DEP_1) | instskip(NEXT) | instid1(VALU_DEP_1)
	v_lshlrev_b64 v[9:10], 3, v[5:6]
	v_add_co_u32 v9, vcc_lo, s4, v9
	s_delay_alu instid0(VALU_DEP_2)
	v_add_co_ci_u32_e32 v10, vcc_lo, s5, v10, vcc_lo
	global_load_b64 v[9:10], v[9:10], off
	s_waitcnt vmcnt(0)
	v_cmp_gt_i64_e32 vcc_lo, v[9:10], v[3:4]
	v_cndmask_b32_e64 v11, 0, 1, vcc_lo
	v_cmp_le_i64_e32 vcc_lo, v[3:4], v[9:10]
	v_add_nc_u32_e32 v10, 1, v5
	v_cndmask_b32_e64 v9, 0, 1, vcc_lo
	s_delay_alu instid0(VALU_DEP_1) | instskip(NEXT) | instid1(VALU_DEP_1)
	v_cndmask_b32_e64 v9, v9, v11, s0
	v_and_b32_e32 v9, 1, v9
	s_delay_alu instid0(VALU_DEP_1) | instskip(SKIP_1) | instid1(VALU_DEP_1)
	v_cmp_eq_u32_e32 vcc_lo, 1, v9
	v_dual_cndmask_b32 v8, v5, v8 :: v_dual_cndmask_b32 v7, v7, v10
	v_cmp_ge_u32_e32 vcc_lo, v7, v8
	s_or_b32 s2, vcc_lo, s2
	s_delay_alu instid0(SALU_CYCLE_1)
	s_and_not1_b32 exec_lo, exec_lo, s2
	s_cbranch_execnz .LBB102_14
; %bb.15:
	s_or_b32 exec_lo, exec_lo, s2
.LBB102_16:
	s_delay_alu instid0(VALU_DEP_1) | instskip(SKIP_1) | instid1(VALU_DEP_1)
	v_dual_mov_b32 v6, 0 :: v_dual_add_nc_u32 v5, v7, v0
	s_or_b32 s13, s13, exec_lo
	v_lshlrev_b64 v[5:6], 3, v[5:6]
	s_delay_alu instid0(VALU_DEP_1) | instskip(NEXT) | instid1(VALU_DEP_2)
	v_add_co_u32 v7, vcc_lo, s6, v5
	v_add_co_ci_u32_e32 v8, vcc_lo, s7, v6, vcc_lo
	v_add_co_u32 v5, vcc_lo, s10, v5
	v_add_co_ci_u32_e32 v6, vcc_lo, s11, v6, vcc_lo
	s_waitcnt vmcnt(0)
	global_store_b64 v[7:8], v[3:4], off
.LBB102_17:
	s_or_b32 exec_lo, exec_lo, s9
	s_branch .LBB102_24
.LBB102_18:
                                        ; implicit-def: $vgpr5_vgpr6
	s_cbranch_execz .LBB102_24
; %bb.19:
	v_mov_b32_e32 v7, s8
	s_cmp_ge_u32 s1, s3
	s_cbranch_scc1 .LBB102_23
; %bb.20:
	v_dual_mov_b32 v8, s3 :: v_dual_mov_b32 v7, s8
	v_mov_b32_e32 v6, 0
	s_mov_b32 s1, 0
	.p2align	6
.LBB102_21:                             ; =>This Inner Loop Header: Depth=1
	s_delay_alu instid0(VALU_DEP_2) | instskip(NEXT) | instid1(VALU_DEP_1)
	v_add_nc_u32_e32 v5, v7, v8
	v_lshrrev_b32_e32 v5, 1, v5
	s_delay_alu instid0(VALU_DEP_1) | instskip(NEXT) | instid1(VALU_DEP_1)
	v_lshlrev_b64 v[9:10], 3, v[5:6]
	v_add_co_u32 v9, vcc_lo, s4, v9
	s_delay_alu instid0(VALU_DEP_2)
	v_add_co_ci_u32_e32 v10, vcc_lo, s5, v10, vcc_lo
	global_load_b64 v[9:10], v[9:10], off
	s_waitcnt vmcnt(0)
	v_cmp_gt_i64_e32 vcc_lo, v[9:10], v[3:4]
	v_cndmask_b32_e64 v11, 0, 1, vcc_lo
	v_cmp_le_i64_e32 vcc_lo, v[3:4], v[9:10]
	v_add_nc_u32_e32 v10, 1, v5
	v_cndmask_b32_e64 v9, 0, 1, vcc_lo
	s_delay_alu instid0(VALU_DEP_1) | instskip(NEXT) | instid1(VALU_DEP_1)
	v_cndmask_b32_e64 v9, v9, v11, s0
	v_and_b32_e32 v9, 1, v9
	s_delay_alu instid0(VALU_DEP_1) | instskip(SKIP_1) | instid1(VALU_DEP_1)
	v_cmp_eq_u32_e32 vcc_lo, 1, v9
	v_dual_cndmask_b32 v8, v5, v8 :: v_dual_cndmask_b32 v7, v7, v10
	v_cmp_ge_u32_e32 vcc_lo, v7, v8
	s_or_b32 s1, vcc_lo, s1
	s_delay_alu instid0(SALU_CYCLE_1)
	s_and_not1_b32 exec_lo, exec_lo, s1
	s_cbranch_execnz .LBB102_21
; %bb.22:
	s_or_b32 exec_lo, exec_lo, s1
.LBB102_23:
	s_delay_alu instid0(VALU_DEP_1) | instskip(SKIP_1) | instid1(VALU_DEP_1)
	v_dual_mov_b32 v6, 0 :: v_dual_add_nc_u32 v5, v7, v0
	s_mov_b32 s13, -1
	v_lshlrev_b64 v[5:6], 3, v[5:6]
	s_delay_alu instid0(VALU_DEP_1) | instskip(NEXT) | instid1(VALU_DEP_2)
	v_add_co_u32 v7, vcc_lo, s6, v5
	v_add_co_ci_u32_e32 v8, vcc_lo, s7, v6, vcc_lo
	v_add_co_u32 v5, vcc_lo, s10, v5
	v_add_co_ci_u32_e32 v6, vcc_lo, s11, v6, vcc_lo
	s_waitcnt vmcnt(0)
	global_store_b64 v[7:8], v[3:4], off
.LBB102_24:
	s_and_b32 exec_lo, exec_lo, s13
	s_cbranch_execz .LBB102_26
; %bb.25:
	s_waitcnt vmcnt(1)
	global_store_b64 v[5:6], v[1:2], off
.LBB102_26:
	s_nop 0
	s_sendmsg sendmsg(MSG_DEALLOC_VGPRS)
	s_endpgm
	.section	.rodata,"a",@progbits
	.p2align	6, 0x0
	.amdhsa_kernel _ZN7rocprim17ROCPRIM_304000_NS6detail33device_block_merge_oddeven_kernelINS1_37wrapped_merge_sort_block_merge_configINS0_14default_configElN2at4cuda3cub6detail10OpaqueTypeILi8EEEEEPlSC_PSA_SD_jNS1_19radix_merge_compareILb1ELb0ElNS0_19identity_decomposerEEEEEvT0_T1_T2_T3_T4_SL_T5_
		.amdhsa_group_segment_fixed_size 0
		.amdhsa_private_segment_fixed_size 0
		.amdhsa_kernarg_size 44
		.amdhsa_user_sgpr_count 15
		.amdhsa_user_sgpr_dispatch_ptr 0
		.amdhsa_user_sgpr_queue_ptr 0
		.amdhsa_user_sgpr_kernarg_segment_ptr 1
		.amdhsa_user_sgpr_dispatch_id 0
		.amdhsa_user_sgpr_private_segment_size 0
		.amdhsa_wavefront_size32 1
		.amdhsa_uses_dynamic_stack 0
		.amdhsa_enable_private_segment 0
		.amdhsa_system_sgpr_workgroup_id_x 1
		.amdhsa_system_sgpr_workgroup_id_y 0
		.amdhsa_system_sgpr_workgroup_id_z 0
		.amdhsa_system_sgpr_workgroup_info 0
		.amdhsa_system_vgpr_workitem_id 0
		.amdhsa_next_free_vgpr 12
		.amdhsa_next_free_sgpr 20
		.amdhsa_reserve_vcc 1
		.amdhsa_float_round_mode_32 0
		.amdhsa_float_round_mode_16_64 0
		.amdhsa_float_denorm_mode_32 3
		.amdhsa_float_denorm_mode_16_64 3
		.amdhsa_dx10_clamp 1
		.amdhsa_ieee_mode 1
		.amdhsa_fp16_overflow 0
		.amdhsa_workgroup_processor_mode 1
		.amdhsa_memory_ordered 1
		.amdhsa_forward_progress 0
		.amdhsa_shared_vgpr_count 0
		.amdhsa_exception_fp_ieee_invalid_op 0
		.amdhsa_exception_fp_denorm_src 0
		.amdhsa_exception_fp_ieee_div_zero 0
		.amdhsa_exception_fp_ieee_overflow 0
		.amdhsa_exception_fp_ieee_underflow 0
		.amdhsa_exception_fp_ieee_inexact 0
		.amdhsa_exception_int_div_zero 0
	.end_amdhsa_kernel
	.section	.text._ZN7rocprim17ROCPRIM_304000_NS6detail33device_block_merge_oddeven_kernelINS1_37wrapped_merge_sort_block_merge_configINS0_14default_configElN2at4cuda3cub6detail10OpaqueTypeILi8EEEEEPlSC_PSA_SD_jNS1_19radix_merge_compareILb1ELb0ElNS0_19identity_decomposerEEEEEvT0_T1_T2_T3_T4_SL_T5_,"axG",@progbits,_ZN7rocprim17ROCPRIM_304000_NS6detail33device_block_merge_oddeven_kernelINS1_37wrapped_merge_sort_block_merge_configINS0_14default_configElN2at4cuda3cub6detail10OpaqueTypeILi8EEEEEPlSC_PSA_SD_jNS1_19radix_merge_compareILb1ELb0ElNS0_19identity_decomposerEEEEEvT0_T1_T2_T3_T4_SL_T5_,comdat
.Lfunc_end102:
	.size	_ZN7rocprim17ROCPRIM_304000_NS6detail33device_block_merge_oddeven_kernelINS1_37wrapped_merge_sort_block_merge_configINS0_14default_configElN2at4cuda3cub6detail10OpaqueTypeILi8EEEEEPlSC_PSA_SD_jNS1_19radix_merge_compareILb1ELb0ElNS0_19identity_decomposerEEEEEvT0_T1_T2_T3_T4_SL_T5_, .Lfunc_end102-_ZN7rocprim17ROCPRIM_304000_NS6detail33device_block_merge_oddeven_kernelINS1_37wrapped_merge_sort_block_merge_configINS0_14default_configElN2at4cuda3cub6detail10OpaqueTypeILi8EEEEEPlSC_PSA_SD_jNS1_19radix_merge_compareILb1ELb0ElNS0_19identity_decomposerEEEEEvT0_T1_T2_T3_T4_SL_T5_
                                        ; -- End function
	.section	.AMDGPU.csdata,"",@progbits
; Kernel info:
; codeLenInByte = 932
; NumSgprs: 22
; NumVgprs: 12
; ScratchSize: 0
; MemoryBound: 0
; FloatMode: 240
; IeeeMode: 1
; LDSByteSize: 0 bytes/workgroup (compile time only)
; SGPRBlocks: 2
; VGPRBlocks: 1
; NumSGPRsForWavesPerEU: 22
; NumVGPRsForWavesPerEU: 12
; Occupancy: 16
; WaveLimiterHint : 0
; COMPUTE_PGM_RSRC2:SCRATCH_EN: 0
; COMPUTE_PGM_RSRC2:USER_SGPR: 15
; COMPUTE_PGM_RSRC2:TRAP_HANDLER: 0
; COMPUTE_PGM_RSRC2:TGID_X_EN: 1
; COMPUTE_PGM_RSRC2:TGID_Y_EN: 0
; COMPUTE_PGM_RSRC2:TGID_Z_EN: 0
; COMPUTE_PGM_RSRC2:TIDIG_COMP_CNT: 0
	.section	.text._ZN7rocprim17ROCPRIM_304000_NS6detail16transform_kernelINS1_24wrapped_transform_configINS0_14default_configElEElPlS6_NS0_8identityIlEEEEvT1_mT2_T3_,"axG",@progbits,_ZN7rocprim17ROCPRIM_304000_NS6detail16transform_kernelINS1_24wrapped_transform_configINS0_14default_configElEElPlS6_NS0_8identityIlEEEEvT1_mT2_T3_,comdat
	.protected	_ZN7rocprim17ROCPRIM_304000_NS6detail16transform_kernelINS1_24wrapped_transform_configINS0_14default_configElEElPlS6_NS0_8identityIlEEEEvT1_mT2_T3_ ; -- Begin function _ZN7rocprim17ROCPRIM_304000_NS6detail16transform_kernelINS1_24wrapped_transform_configINS0_14default_configElEElPlS6_NS0_8identityIlEEEEvT1_mT2_T3_
	.globl	_ZN7rocprim17ROCPRIM_304000_NS6detail16transform_kernelINS1_24wrapped_transform_configINS0_14default_configElEElPlS6_NS0_8identityIlEEEEvT1_mT2_T3_
	.p2align	8
	.type	_ZN7rocprim17ROCPRIM_304000_NS6detail16transform_kernelINS1_24wrapped_transform_configINS0_14default_configElEElPlS6_NS0_8identityIlEEEEvT1_mT2_T3_,@function
_ZN7rocprim17ROCPRIM_304000_NS6detail16transform_kernelINS1_24wrapped_transform_configINS0_14default_configElEElPlS6_NS0_8identityIlEEEEvT1_mT2_T3_: ; @_ZN7rocprim17ROCPRIM_304000_NS6detail16transform_kernelINS1_24wrapped_transform_configINS0_14default_configElEElPlS6_NS0_8identityIlEEEEvT1_mT2_T3_
; %bb.0:
	s_clause 0x2
	s_load_b32 s3, s[0:1], 0x20
	s_load_b128 s[4:7], s[0:1], 0x0
	s_load_b64 s[0:1], s[0:1], 0x10
	v_lshlrev_b32_e32 v2, 3, v0
	s_lshl_b32 s2, s15, 9
	s_waitcnt lgkmcnt(0)
	s_add_i32 s7, s3, -1
	s_mov_b32 s3, 0
	s_cmp_lg_u32 s15, s7
	s_mov_b32 s7, -1
	s_cbranch_scc0 .LBB103_2
; %bb.1:
	s_lshl_b64 s[8:9], s[2:3], 3
	s_mov_b32 s7, s3
	s_add_u32 s10, s4, s8
	s_addc_u32 s11, s5, s9
	s_add_u32 s8, s0, s8
	global_load_b64 v[3:4], v2, s[10:11]
	s_addc_u32 s9, s1, s9
	s_waitcnt vmcnt(0)
	global_store_b64 v2, v[3:4], s[8:9]
.LBB103_2:
	s_and_not1_b32 vcc_lo, exec_lo, s7
	s_cbranch_vccnz .LBB103_7
; %bb.3:
	s_sub_i32 s6, s6, s2
	s_delay_alu instid0(SALU_CYCLE_1)
	v_cmp_gt_u32_e32 vcc_lo, s6, v0
                                        ; implicit-def: $vgpr0_vgpr1
	s_and_saveexec_b32 s6, vcc_lo
	s_cbranch_execz .LBB103_5
; %bb.4:
	s_lshl_b64 s[8:9], s[2:3], 3
	s_delay_alu instid0(SALU_CYCLE_1)
	s_add_u32 s4, s4, s8
	s_addc_u32 s5, s5, s9
	global_load_b64 v[0:1], v2, s[4:5]
.LBB103_5:
	s_or_b32 exec_lo, exec_lo, s6
	s_and_saveexec_b32 s4, vcc_lo
	s_cbranch_execz .LBB103_7
; %bb.6:
	s_lshl_b64 s[2:3], s[2:3], 3
	s_delay_alu instid0(SALU_CYCLE_1)
	s_add_u32 s0, s0, s2
	s_addc_u32 s1, s1, s3
	s_waitcnt vmcnt(0)
	global_store_b64 v2, v[0:1], s[0:1]
.LBB103_7:
	s_nop 0
	s_sendmsg sendmsg(MSG_DEALLOC_VGPRS)
	s_endpgm
	.section	.rodata,"a",@progbits
	.p2align	6, 0x0
	.amdhsa_kernel _ZN7rocprim17ROCPRIM_304000_NS6detail16transform_kernelINS1_24wrapped_transform_configINS0_14default_configElEElPlS6_NS0_8identityIlEEEEvT1_mT2_T3_
		.amdhsa_group_segment_fixed_size 0
		.amdhsa_private_segment_fixed_size 0
		.amdhsa_kernarg_size 288
		.amdhsa_user_sgpr_count 15
		.amdhsa_user_sgpr_dispatch_ptr 0
		.amdhsa_user_sgpr_queue_ptr 0
		.amdhsa_user_sgpr_kernarg_segment_ptr 1
		.amdhsa_user_sgpr_dispatch_id 0
		.amdhsa_user_sgpr_private_segment_size 0
		.amdhsa_wavefront_size32 1
		.amdhsa_uses_dynamic_stack 0
		.amdhsa_enable_private_segment 0
		.amdhsa_system_sgpr_workgroup_id_x 1
		.amdhsa_system_sgpr_workgroup_id_y 0
		.amdhsa_system_sgpr_workgroup_id_z 0
		.amdhsa_system_sgpr_workgroup_info 0
		.amdhsa_system_vgpr_workitem_id 0
		.amdhsa_next_free_vgpr 5
		.amdhsa_next_free_sgpr 16
		.amdhsa_reserve_vcc 1
		.amdhsa_float_round_mode_32 0
		.amdhsa_float_round_mode_16_64 0
		.amdhsa_float_denorm_mode_32 3
		.amdhsa_float_denorm_mode_16_64 3
		.amdhsa_dx10_clamp 1
		.amdhsa_ieee_mode 1
		.amdhsa_fp16_overflow 0
		.amdhsa_workgroup_processor_mode 1
		.amdhsa_memory_ordered 1
		.amdhsa_forward_progress 0
		.amdhsa_shared_vgpr_count 0
		.amdhsa_exception_fp_ieee_invalid_op 0
		.amdhsa_exception_fp_denorm_src 0
		.amdhsa_exception_fp_ieee_div_zero 0
		.amdhsa_exception_fp_ieee_overflow 0
		.amdhsa_exception_fp_ieee_underflow 0
		.amdhsa_exception_fp_ieee_inexact 0
		.amdhsa_exception_int_div_zero 0
	.end_amdhsa_kernel
	.section	.text._ZN7rocprim17ROCPRIM_304000_NS6detail16transform_kernelINS1_24wrapped_transform_configINS0_14default_configElEElPlS6_NS0_8identityIlEEEEvT1_mT2_T3_,"axG",@progbits,_ZN7rocprim17ROCPRIM_304000_NS6detail16transform_kernelINS1_24wrapped_transform_configINS0_14default_configElEElPlS6_NS0_8identityIlEEEEvT1_mT2_T3_,comdat
.Lfunc_end103:
	.size	_ZN7rocprim17ROCPRIM_304000_NS6detail16transform_kernelINS1_24wrapped_transform_configINS0_14default_configElEElPlS6_NS0_8identityIlEEEEvT1_mT2_T3_, .Lfunc_end103-_ZN7rocprim17ROCPRIM_304000_NS6detail16transform_kernelINS1_24wrapped_transform_configINS0_14default_configElEElPlS6_NS0_8identityIlEEEEvT1_mT2_T3_
                                        ; -- End function
	.section	.AMDGPU.csdata,"",@progbits
; Kernel info:
; codeLenInByte = 208
; NumSgprs: 18
; NumVgprs: 5
; ScratchSize: 0
; MemoryBound: 0
; FloatMode: 240
; IeeeMode: 1
; LDSByteSize: 0 bytes/workgroup (compile time only)
; SGPRBlocks: 2
; VGPRBlocks: 0
; NumSGPRsForWavesPerEU: 18
; NumVGPRsForWavesPerEU: 5
; Occupancy: 16
; WaveLimiterHint : 0
; COMPUTE_PGM_RSRC2:SCRATCH_EN: 0
; COMPUTE_PGM_RSRC2:USER_SGPR: 15
; COMPUTE_PGM_RSRC2:TRAP_HANDLER: 0
; COMPUTE_PGM_RSRC2:TGID_X_EN: 1
; COMPUTE_PGM_RSRC2:TGID_Y_EN: 0
; COMPUTE_PGM_RSRC2:TGID_Z_EN: 0
; COMPUTE_PGM_RSRC2:TIDIG_COMP_CNT: 0
	.section	.text._ZN7rocprim17ROCPRIM_304000_NS6detail45device_block_merge_mergepath_partition_kernelINS1_37wrapped_merge_sort_block_merge_configINS0_14default_configElN2at4cuda3cub6detail10OpaqueTypeILi8EEEEEPljNS1_19radix_merge_compareILb1ELb1ElNS0_19identity_decomposerEEEEEvT0_T1_jPSH_T2_SH_,"axG",@progbits,_ZN7rocprim17ROCPRIM_304000_NS6detail45device_block_merge_mergepath_partition_kernelINS1_37wrapped_merge_sort_block_merge_configINS0_14default_configElN2at4cuda3cub6detail10OpaqueTypeILi8EEEEEPljNS1_19radix_merge_compareILb1ELb1ElNS0_19identity_decomposerEEEEEvT0_T1_jPSH_T2_SH_,comdat
	.protected	_ZN7rocprim17ROCPRIM_304000_NS6detail45device_block_merge_mergepath_partition_kernelINS1_37wrapped_merge_sort_block_merge_configINS0_14default_configElN2at4cuda3cub6detail10OpaqueTypeILi8EEEEEPljNS1_19radix_merge_compareILb1ELb1ElNS0_19identity_decomposerEEEEEvT0_T1_jPSH_T2_SH_ ; -- Begin function _ZN7rocprim17ROCPRIM_304000_NS6detail45device_block_merge_mergepath_partition_kernelINS1_37wrapped_merge_sort_block_merge_configINS0_14default_configElN2at4cuda3cub6detail10OpaqueTypeILi8EEEEEPljNS1_19radix_merge_compareILb1ELb1ElNS0_19identity_decomposerEEEEEvT0_T1_jPSH_T2_SH_
	.globl	_ZN7rocprim17ROCPRIM_304000_NS6detail45device_block_merge_mergepath_partition_kernelINS1_37wrapped_merge_sort_block_merge_configINS0_14default_configElN2at4cuda3cub6detail10OpaqueTypeILi8EEEEEPljNS1_19radix_merge_compareILb1ELb1ElNS0_19identity_decomposerEEEEEvT0_T1_jPSH_T2_SH_
	.p2align	8
	.type	_ZN7rocprim17ROCPRIM_304000_NS6detail45device_block_merge_mergepath_partition_kernelINS1_37wrapped_merge_sort_block_merge_configINS0_14default_configElN2at4cuda3cub6detail10OpaqueTypeILi8EEEEEPljNS1_19radix_merge_compareILb1ELb1ElNS0_19identity_decomposerEEEEEvT0_T1_jPSH_T2_SH_,@function
_ZN7rocprim17ROCPRIM_304000_NS6detail45device_block_merge_mergepath_partition_kernelINS1_37wrapped_merge_sort_block_merge_configINS0_14default_configElN2at4cuda3cub6detail10OpaqueTypeILi8EEEEEPljNS1_19radix_merge_compareILb1ELb1ElNS0_19identity_decomposerEEEEEvT0_T1_jPSH_T2_SH_: ; @_ZN7rocprim17ROCPRIM_304000_NS6detail45device_block_merge_mergepath_partition_kernelINS1_37wrapped_merge_sort_block_merge_configINS0_14default_configElN2at4cuda3cub6detail10OpaqueTypeILi8EEEEEPljNS1_19radix_merge_compareILb1ELb1ElNS0_19identity_decomposerEEEEEvT0_T1_jPSH_T2_SH_
; %bb.0:
	s_load_b64 s[2:3], s[0:1], 0x8
	v_lshl_or_b32 v0, s15, 7, v0
	s_waitcnt lgkmcnt(0)
	s_delay_alu instid0(VALU_DEP_1)
	v_cmp_gt_u32_e32 vcc_lo, s3, v0
	s_and_saveexec_b32 s3, vcc_lo
	s_cbranch_execz .LBB104_6
; %bb.1:
	s_load_b32 s3, s[0:1], 0x20
	s_waitcnt lgkmcnt(0)
	s_lshr_b32 s4, s3, 9
	s_delay_alu instid0(SALU_CYCLE_1) | instskip(NEXT) | instid1(SALU_CYCLE_1)
	s_and_b32 s4, s4, 0x7ffffe
	s_sub_i32 s5, 0, s4
	s_add_i32 s4, s4, -1
	v_and_b32_e32 v1, s5, v0
	v_and_b32_e32 v5, s4, v0
	s_load_b128 s[4:7], s[0:1], 0x10
	s_delay_alu instid0(VALU_DEP_2) | instskip(NEXT) | instid1(VALU_DEP_1)
	v_lshlrev_b32_e32 v1, 10, v1
	v_add_nc_u32_e32 v2, s3, v1
	s_delay_alu instid0(VALU_DEP_1) | instskip(SKIP_1) | instid1(VALU_DEP_2)
	v_min_u32_e32 v4, s2, v2
	v_min_u32_e32 v2, s2, v1
	v_add_nc_u32_e32 v3, s3, v4
	s_delay_alu instid0(VALU_DEP_1) | instskip(SKIP_2) | instid1(VALU_DEP_2)
	v_min_u32_e32 v1, s2, v3
	v_lshlrev_b32_e32 v3, 10, v5
	s_mov_b32 s2, exec_lo
	v_sub_nc_u32_e32 v5, v1, v2
	v_sub_nc_u32_e32 v6, v1, v4
	s_delay_alu instid0(VALU_DEP_2) | instskip(SKIP_1) | instid1(VALU_DEP_2)
	v_min_u32_e32 v1, v5, v3
	v_sub_nc_u32_e32 v3, v4, v2
	v_sub_nc_u32_e64 v6, v1, v6 clamp
	s_delay_alu instid0(VALU_DEP_2) | instskip(NEXT) | instid1(VALU_DEP_1)
	v_min_u32_e32 v7, v1, v3
	v_cmpx_lt_u32_e64 v6, v7
	s_cbranch_execz .LBB104_5
; %bb.2:
	s_load_b64 s[0:1], s[0:1], 0x0
	v_mov_b32_e32 v5, 0
	s_delay_alu instid0(VALU_DEP_1) | instskip(SKIP_1) | instid1(VALU_DEP_2)
	v_mov_b32_e32 v3, v5
	v_lshlrev_b64 v[10:11], 3, v[4:5]
	v_lshlrev_b64 v[8:9], 3, v[2:3]
	s_waitcnt lgkmcnt(0)
	s_delay_alu instid0(VALU_DEP_1) | instskip(NEXT) | instid1(VALU_DEP_2)
	v_add_co_u32 v3, vcc_lo, s0, v8
	v_add_co_ci_u32_e32 v8, vcc_lo, s1, v9, vcc_lo
	s_delay_alu instid0(VALU_DEP_4)
	v_add_co_u32 v9, vcc_lo, s0, v10
	v_add_co_ci_u32_e32 v10, vcc_lo, s1, v11, vcc_lo
	s_mov_b32 s0, 0
	.p2align	6
.LBB104_3:                              ; =>This Inner Loop Header: Depth=1
	v_add_nc_u32_e32 v4, v7, v6
	v_mov_b32_e32 v12, v5
	s_delay_alu instid0(VALU_DEP_2) | instskip(NEXT) | instid1(VALU_DEP_1)
	v_lshrrev_b32_e32 v4, 1, v4
	v_xad_u32 v11, v4, -1, v1
	v_lshlrev_b64 v[13:14], 3, v[4:5]
	s_delay_alu instid0(VALU_DEP_2) | instskip(NEXT) | instid1(VALU_DEP_2)
	v_lshlrev_b64 v[11:12], 3, v[11:12]
	v_add_co_u32 v13, vcc_lo, v3, v13
	s_delay_alu instid0(VALU_DEP_3) | instskip(NEXT) | instid1(VALU_DEP_3)
	v_add_co_ci_u32_e32 v14, vcc_lo, v8, v14, vcc_lo
	v_add_co_u32 v11, vcc_lo, v9, v11
	s_delay_alu instid0(VALU_DEP_4)
	v_add_co_ci_u32_e32 v12, vcc_lo, v10, v12, vcc_lo
	s_clause 0x1
	global_load_b64 v[13:14], v[13:14], off
	global_load_b64 v[11:12], v[11:12], off
	s_waitcnt vmcnt(1)
	v_and_b32_e32 v13, s6, v13
	v_and_b32_e32 v14, s7, v14
	s_waitcnt vmcnt(0)
	v_and_b32_e32 v12, s7, v12
	v_and_b32_e32 v11, s6, v11
	s_delay_alu instid0(VALU_DEP_1) | instskip(SKIP_2) | instid1(VALU_DEP_2)
	v_cmp_gt_i64_e32 vcc_lo, v[11:12], v[13:14]
	v_add_nc_u32_e32 v11, 1, v4
	v_cndmask_b32_e32 v7, v7, v4, vcc_lo
	v_cndmask_b32_e32 v6, v11, v6, vcc_lo
	s_delay_alu instid0(VALU_DEP_1) | instskip(SKIP_1) | instid1(SALU_CYCLE_1)
	v_cmp_ge_u32_e32 vcc_lo, v6, v7
	s_or_b32 s0, vcc_lo, s0
	s_and_not1_b32 exec_lo, exec_lo, s0
	s_cbranch_execnz .LBB104_3
; %bb.4:
	s_or_b32 exec_lo, exec_lo, s0
.LBB104_5:
	s_delay_alu instid0(SALU_CYCLE_1) | instskip(SKIP_1) | instid1(VALU_DEP_1)
	s_or_b32 exec_lo, exec_lo, s2
	v_dual_mov_b32 v1, 0 :: v_dual_add_nc_u32 v2, v6, v2
	v_lshlrev_b64 v[0:1], 2, v[0:1]
	s_waitcnt lgkmcnt(0)
	s_delay_alu instid0(VALU_DEP_1) | instskip(NEXT) | instid1(VALU_DEP_2)
	v_add_co_u32 v0, vcc_lo, s4, v0
	v_add_co_ci_u32_e32 v1, vcc_lo, s5, v1, vcc_lo
	global_store_b32 v[0:1], v2, off
.LBB104_6:
	s_nop 0
	s_sendmsg sendmsg(MSG_DEALLOC_VGPRS)
	s_endpgm
	.section	.rodata,"a",@progbits
	.p2align	6, 0x0
	.amdhsa_kernel _ZN7rocprim17ROCPRIM_304000_NS6detail45device_block_merge_mergepath_partition_kernelINS1_37wrapped_merge_sort_block_merge_configINS0_14default_configElN2at4cuda3cub6detail10OpaqueTypeILi8EEEEEPljNS1_19radix_merge_compareILb1ELb1ElNS0_19identity_decomposerEEEEEvT0_T1_jPSH_T2_SH_
		.amdhsa_group_segment_fixed_size 0
		.amdhsa_private_segment_fixed_size 0
		.amdhsa_kernarg_size 36
		.amdhsa_user_sgpr_count 15
		.amdhsa_user_sgpr_dispatch_ptr 0
		.amdhsa_user_sgpr_queue_ptr 0
		.amdhsa_user_sgpr_kernarg_segment_ptr 1
		.amdhsa_user_sgpr_dispatch_id 0
		.amdhsa_user_sgpr_private_segment_size 0
		.amdhsa_wavefront_size32 1
		.amdhsa_uses_dynamic_stack 0
		.amdhsa_enable_private_segment 0
		.amdhsa_system_sgpr_workgroup_id_x 1
		.amdhsa_system_sgpr_workgroup_id_y 0
		.amdhsa_system_sgpr_workgroup_id_z 0
		.amdhsa_system_sgpr_workgroup_info 0
		.amdhsa_system_vgpr_workitem_id 0
		.amdhsa_next_free_vgpr 15
		.amdhsa_next_free_sgpr 16
		.amdhsa_reserve_vcc 1
		.amdhsa_float_round_mode_32 0
		.amdhsa_float_round_mode_16_64 0
		.amdhsa_float_denorm_mode_32 3
		.amdhsa_float_denorm_mode_16_64 3
		.amdhsa_dx10_clamp 1
		.amdhsa_ieee_mode 1
		.amdhsa_fp16_overflow 0
		.amdhsa_workgroup_processor_mode 1
		.amdhsa_memory_ordered 1
		.amdhsa_forward_progress 0
		.amdhsa_shared_vgpr_count 0
		.amdhsa_exception_fp_ieee_invalid_op 0
		.amdhsa_exception_fp_denorm_src 0
		.amdhsa_exception_fp_ieee_div_zero 0
		.amdhsa_exception_fp_ieee_overflow 0
		.amdhsa_exception_fp_ieee_underflow 0
		.amdhsa_exception_fp_ieee_inexact 0
		.amdhsa_exception_int_div_zero 0
	.end_amdhsa_kernel
	.section	.text._ZN7rocprim17ROCPRIM_304000_NS6detail45device_block_merge_mergepath_partition_kernelINS1_37wrapped_merge_sort_block_merge_configINS0_14default_configElN2at4cuda3cub6detail10OpaqueTypeILi8EEEEEPljNS1_19radix_merge_compareILb1ELb1ElNS0_19identity_decomposerEEEEEvT0_T1_jPSH_T2_SH_,"axG",@progbits,_ZN7rocprim17ROCPRIM_304000_NS6detail45device_block_merge_mergepath_partition_kernelINS1_37wrapped_merge_sort_block_merge_configINS0_14default_configElN2at4cuda3cub6detail10OpaqueTypeILi8EEEEEPljNS1_19radix_merge_compareILb1ELb1ElNS0_19identity_decomposerEEEEEvT0_T1_jPSH_T2_SH_,comdat
.Lfunc_end104:
	.size	_ZN7rocprim17ROCPRIM_304000_NS6detail45device_block_merge_mergepath_partition_kernelINS1_37wrapped_merge_sort_block_merge_configINS0_14default_configElN2at4cuda3cub6detail10OpaqueTypeILi8EEEEEPljNS1_19radix_merge_compareILb1ELb1ElNS0_19identity_decomposerEEEEEvT0_T1_jPSH_T2_SH_, .Lfunc_end104-_ZN7rocprim17ROCPRIM_304000_NS6detail45device_block_merge_mergepath_partition_kernelINS1_37wrapped_merge_sort_block_merge_configINS0_14default_configElN2at4cuda3cub6detail10OpaqueTypeILi8EEEEEPljNS1_19radix_merge_compareILb1ELb1ElNS0_19identity_decomposerEEEEEvT0_T1_jPSH_T2_SH_
                                        ; -- End function
	.section	.AMDGPU.csdata,"",@progbits
; Kernel info:
; codeLenInByte = 484
; NumSgprs: 18
; NumVgprs: 15
; ScratchSize: 0
; MemoryBound: 0
; FloatMode: 240
; IeeeMode: 1
; LDSByteSize: 0 bytes/workgroup (compile time only)
; SGPRBlocks: 2
; VGPRBlocks: 1
; NumSGPRsForWavesPerEU: 18
; NumVGPRsForWavesPerEU: 15
; Occupancy: 16
; WaveLimiterHint : 0
; COMPUTE_PGM_RSRC2:SCRATCH_EN: 0
; COMPUTE_PGM_RSRC2:USER_SGPR: 15
; COMPUTE_PGM_RSRC2:TRAP_HANDLER: 0
; COMPUTE_PGM_RSRC2:TGID_X_EN: 1
; COMPUTE_PGM_RSRC2:TGID_Y_EN: 0
; COMPUTE_PGM_RSRC2:TGID_Z_EN: 0
; COMPUTE_PGM_RSRC2:TIDIG_COMP_CNT: 0
	.section	.text._ZN7rocprim17ROCPRIM_304000_NS6detail35device_block_merge_mergepath_kernelINS1_37wrapped_merge_sort_block_merge_configINS0_14default_configElN2at4cuda3cub6detail10OpaqueTypeILi8EEEEEPlSC_PSA_SD_jNS1_19radix_merge_compareILb1ELb1ElNS0_19identity_decomposerEEEEEvT0_T1_T2_T3_T4_SL_jT5_PKSL_NS1_7vsmem_tE,"axG",@progbits,_ZN7rocprim17ROCPRIM_304000_NS6detail35device_block_merge_mergepath_kernelINS1_37wrapped_merge_sort_block_merge_configINS0_14default_configElN2at4cuda3cub6detail10OpaqueTypeILi8EEEEEPlSC_PSA_SD_jNS1_19radix_merge_compareILb1ELb1ElNS0_19identity_decomposerEEEEEvT0_T1_T2_T3_T4_SL_jT5_PKSL_NS1_7vsmem_tE,comdat
	.protected	_ZN7rocprim17ROCPRIM_304000_NS6detail35device_block_merge_mergepath_kernelINS1_37wrapped_merge_sort_block_merge_configINS0_14default_configElN2at4cuda3cub6detail10OpaqueTypeILi8EEEEEPlSC_PSA_SD_jNS1_19radix_merge_compareILb1ELb1ElNS0_19identity_decomposerEEEEEvT0_T1_T2_T3_T4_SL_jT5_PKSL_NS1_7vsmem_tE ; -- Begin function _ZN7rocprim17ROCPRIM_304000_NS6detail35device_block_merge_mergepath_kernelINS1_37wrapped_merge_sort_block_merge_configINS0_14default_configElN2at4cuda3cub6detail10OpaqueTypeILi8EEEEEPlSC_PSA_SD_jNS1_19radix_merge_compareILb1ELb1ElNS0_19identity_decomposerEEEEEvT0_T1_T2_T3_T4_SL_jT5_PKSL_NS1_7vsmem_tE
	.globl	_ZN7rocprim17ROCPRIM_304000_NS6detail35device_block_merge_mergepath_kernelINS1_37wrapped_merge_sort_block_merge_configINS0_14default_configElN2at4cuda3cub6detail10OpaqueTypeILi8EEEEEPlSC_PSA_SD_jNS1_19radix_merge_compareILb1ELb1ElNS0_19identity_decomposerEEEEEvT0_T1_T2_T3_T4_SL_jT5_PKSL_NS1_7vsmem_tE
	.p2align	8
	.type	_ZN7rocprim17ROCPRIM_304000_NS6detail35device_block_merge_mergepath_kernelINS1_37wrapped_merge_sort_block_merge_configINS0_14default_configElN2at4cuda3cub6detail10OpaqueTypeILi8EEEEEPlSC_PSA_SD_jNS1_19radix_merge_compareILb1ELb1ElNS0_19identity_decomposerEEEEEvT0_T1_T2_T3_T4_SL_jT5_PKSL_NS1_7vsmem_tE,@function
_ZN7rocprim17ROCPRIM_304000_NS6detail35device_block_merge_mergepath_kernelINS1_37wrapped_merge_sort_block_merge_configINS0_14default_configElN2at4cuda3cub6detail10OpaqueTypeILi8EEEEEPlSC_PSA_SD_jNS1_19radix_merge_compareILb1ELb1ElNS0_19identity_decomposerEEEEEvT0_T1_T2_T3_T4_SL_jT5_PKSL_NS1_7vsmem_tE: ; @_ZN7rocprim17ROCPRIM_304000_NS6detail35device_block_merge_mergepath_kernelINS1_37wrapped_merge_sort_block_merge_configINS0_14default_configElN2at4cuda3cub6detail10OpaqueTypeILi8EEEEEPlSC_PSA_SD_jNS1_19radix_merge_compareILb1ELb1ElNS0_19identity_decomposerEEEEEvT0_T1_T2_T3_T4_SL_jT5_PKSL_NS1_7vsmem_tE
; %bb.0:
	s_clause 0x1
	s_load_b64 s[2:3], s[0:1], 0x48
	s_load_b128 s[8:11], s[0:1], 0x20
	s_waitcnt lgkmcnt(0)
	s_mul_i32 s3, s3, s15
	s_delay_alu instid0(SALU_CYCLE_1) | instskip(NEXT) | instid1(SALU_CYCLE_1)
	s_add_i32 s3, s3, s14
	s_mul_i32 s2, s3, s2
	s_delay_alu instid0(SALU_CYCLE_1) | instskip(NEXT) | instid1(SALU_CYCLE_1)
	s_add_i32 s16, s2, s13
	s_cmp_ge_u32 s16, s10
	s_cbranch_scc1 .LBB105_38
; %bb.1:
	s_load_b128 s[12:15], s[0:1], 0x30
	s_lshr_b32 s2, s8, 10
	s_mov_b32 s17, 0
	s_cmp_lg_u32 s16, s2
                                        ; implicit-def: $vgpr2_vgpr3
	s_cselect_b32 s11, -1, 0
	s_lshl_b64 s[2:3], s[16:17], 2
	s_waitcnt lgkmcnt(0)
	s_add_u32 s2, s14, s2
	s_addc_u32 s3, s15, s3
	s_load_b64 s[14:15], s[2:3], 0x0
	s_lshr_b32 s2, s9, 9
	s_delay_alu instid0(SALU_CYCLE_1)
	s_and_b32 s10, s2, 0x7ffffe
	s_load_b256 s[0:7], s[0:1], 0x0
	s_sub_i32 s18, 0, s10
	s_lshl_b32 s10, s16, 10
	s_and_b32 s19, s16, s18
	s_or_b32 s18, s16, s18
	s_lshl_b32 s16, s19, 11
	s_lshl_b32 s19, s19, 10
	s_add_i32 s16, s16, s9
	s_sub_i32 s20, s10, s19
	s_sub_i32 s19, s16, s19
	s_add_i32 s16, s16, s20
	s_min_u32 s20, s8, s19
	s_add_i32 s19, s19, s9
	s_waitcnt lgkmcnt(0)
	s_sub_i32 s21, s16, s14
	s_sub_i32 s22, s16, s15
	s_min_u32 s16, s8, s21
	s_addk_i32 s22, 0x400
	s_cmp_eq_u32 s18, -1
	s_cselect_b32 s9, s19, s22
	s_cselect_b32 s15, s20, s15
	s_min_u32 s9, s9, s8
	s_sub_i32 s18, s15, s14
	s_sub_i32 s19, s9, s16
	s_mov_b32 s15, s17
	s_add_i32 s20, s19, s18
	s_delay_alu instid0(SALU_CYCLE_1) | instskip(SKIP_1) | instid1(SALU_CYCLE_1)
	v_cmp_gt_u32_e32 vcc_lo, s20, v0
	s_or_b32 s9, s11, vcc_lo
	s_and_saveexec_b32 s21, s9
	s_delay_alu instid0(SALU_CYCLE_1)
	s_xor_b32 s21, exec_lo, s21
	s_cbranch_execz .LBB105_3
; %bb.2:
	v_dual_mov_b32 v1, 0 :: v_dual_lshlrev_b32 v4, 3, v0
	s_lshl_b64 s[22:23], s[14:15], 3
	v_subrev_nc_u32_e32 v2, s18, v0
	s_add_u32 s24, s0, s22
	s_addc_u32 s25, s1, s23
	v_add_co_u32 v4, s24, s24, v4
	v_mov_b32_e32 v3, v1
	s_lshl_b64 s[22:23], s[16:17], 3
	v_add_co_ci_u32_e64 v5, null, s25, 0, s24
	s_add_u32 s0, s0, s22
	s_delay_alu instid0(VALU_DEP_2) | instskip(SKIP_1) | instid1(VALU_DEP_1)
	v_lshlrev_b64 v[2:3], 3, v[2:3]
	s_addc_u32 s1, s1, s23
	v_add_co_u32 v2, vcc_lo, s0, v2
	s_delay_alu instid0(VALU_DEP_2) | instskip(SKIP_1) | instid1(VALU_DEP_2)
	v_add_co_ci_u32_e32 v3, vcc_lo, s1, v3, vcc_lo
	v_cmp_gt_u32_e32 vcc_lo, s18, v0
	v_dual_cndmask_b32 v2, v2, v4 :: v_dual_cndmask_b32 v3, v3, v5
	global_load_b64 v[2:3], v[2:3], off
.LBB105_3:
	s_and_not1_saveexec_b32 s0, s21
; %bb.4:
	v_mov_b32_e32 v1, 0
                                        ; implicit-def: $vgpr2_vgpr3
; %bb.5:
	s_or_b32 exec_lo, exec_lo, s0
	v_min_u32_e32 v4, s20, v0
	v_lshlrev_b32_e32 v8, 3, v0
	s_mov_b32 s0, exec_lo
	s_delay_alu instid0(VALU_DEP_2)
	v_sub_nc_u32_e64 v6, v4, s19 clamp
	v_min_u32_e32 v5, s18, v4
	s_waitcnt vmcnt(0)
	ds_store_b64 v8, v[2:3]
	s_waitcnt lgkmcnt(0)
	s_barrier
	buffer_gl0_inv
	v_cmpx_lt_u32_e64 v6, v5
	s_cbranch_execz .LBB105_9
; %bb.6:
	v_lshlrev_b32_e32 v7, 3, v4
	s_mov_b32 s1, 0
	s_delay_alu instid0(VALU_DEP_1)
	v_lshl_add_u32 v7, s18, 3, v7
	.p2align	6
.LBB105_7:                              ; =>This Inner Loop Header: Depth=1
	v_add_nc_u32_e32 v9, v5, v6
	s_delay_alu instid0(VALU_DEP_1) | instskip(NEXT) | instid1(VALU_DEP_1)
	v_lshrrev_b32_e32 v13, 1, v9
	v_not_b32_e32 v9, v13
	v_lshlrev_b32_e32 v10, 3, v13
	s_delay_alu instid0(VALU_DEP_2)
	v_lshl_add_u32 v11, v9, 3, v7
	ds_load_b64 v[9:10], v10
	ds_load_b64 v[11:12], v11
	s_waitcnt lgkmcnt(1)
	v_and_b32_e32 v10, s13, v10
	v_and_b32_e32 v9, s12, v9
	s_waitcnt lgkmcnt(0)
	v_and_b32_e32 v12, s13, v12
	v_and_b32_e32 v11, s12, v11
	s_delay_alu instid0(VALU_DEP_1) | instskip(SKIP_1) | instid1(VALU_DEP_1)
	v_cmp_gt_i64_e32 vcc_lo, v[11:12], v[9:10]
	v_add_nc_u32_e32 v9, 1, v13
	v_cndmask_b32_e32 v6, v9, v6, vcc_lo
	v_cndmask_b32_e32 v5, v5, v13, vcc_lo
	s_delay_alu instid0(VALU_DEP_1) | instskip(SKIP_1) | instid1(SALU_CYCLE_1)
	v_cmp_ge_u32_e32 vcc_lo, v6, v5
	s_or_b32 s1, vcc_lo, s1
	s_and_not1_b32 exec_lo, exec_lo, s1
	s_cbranch_execnz .LBB105_7
; %bb.8:
	s_or_b32 exec_lo, exec_lo, s1
.LBB105_9:
	s_delay_alu instid0(SALU_CYCLE_1) | instskip(SKIP_3) | instid1(VALU_DEP_3)
	s_or_b32 exec_lo, exec_lo, s0
	v_sub_nc_u32_e32 v4, v4, v6
	v_cmp_ge_u32_e32 vcc_lo, s18, v6
	v_mov_b32_e32 v9, 0
	v_add_nc_u32_e32 v7, s18, v4
	s_delay_alu instid0(VALU_DEP_1) | instskip(NEXT) | instid1(VALU_DEP_1)
	v_cmp_ge_u32_e64 s0, s20, v7
	s_or_b32 s0, vcc_lo, s0
	s_delay_alu instid0(SALU_CYCLE_1)
	s_and_saveexec_b32 s21, s0
	s_cbranch_execz .LBB105_15
; %bb.10:
	v_cmp_gt_u32_e32 vcc_lo, s18, v6
                                        ; implicit-def: $vgpr2_vgpr3
	s_and_saveexec_b32 s0, vcc_lo
	s_cbranch_execz .LBB105_12
; %bb.11:
	v_lshlrev_b32_e32 v2, 3, v6
	ds_load_b64 v[2:3], v2
.LBB105_12:
	s_or_b32 exec_lo, exec_lo, s0
	v_cmp_le_u32_e64 s0, s20, v7
	v_cmp_gt_u32_e64 s1, s20, v7
                                        ; implicit-def: $vgpr4_vgpr5
	s_delay_alu instid0(VALU_DEP_1)
	s_and_saveexec_b32 s20, s1
	s_cbranch_execz .LBB105_14
; %bb.13:
	v_lshlrev_b32_e32 v4, 3, v7
	ds_load_b64 v[4:5], v4
.LBB105_14:
	s_or_b32 exec_lo, exec_lo, s20
	s_waitcnt lgkmcnt(0)
	v_and_b32_e32 v10, s13, v5
	v_and_b32_e32 v9, s12, v4
	;; [unrolled: 1-line block ×4, first 2 shown]
	s_delay_alu instid0(VALU_DEP_1) | instskip(NEXT) | instid1(VALU_DEP_1)
	v_cmp_le_i64_e64 s1, v[9:10], v[11:12]
	s_and_b32 s1, vcc_lo, s1
	s_delay_alu instid0(SALU_CYCLE_1)
	s_or_b32 vcc_lo, s0, s1
	v_cndmask_b32_e32 v2, v4, v2, vcc_lo
	v_cndmask_b32_e32 v9, v7, v6, vcc_lo
	;; [unrolled: 1-line block ×3, first 2 shown]
.LBB105_15:
	s_or_b32 exec_lo, exec_lo, s21
	s_lshl_b64 s[12:13], s[14:15], 3
	v_cmp_le_u32_e64 s0, s18, v0
	s_add_u32 s1, s4, s12
	s_addc_u32 s12, s5, s13
	s_lshl_b64 s[14:15], s[16:17], 3
	s_delay_alu instid0(SALU_CYCLE_1)
	s_add_u32 s13, s4, s14
	s_addc_u32 s5, s5, s15
	s_and_b32 vcc_lo, exec_lo, s11
	s_barrier
	buffer_gl0_inv
	s_cbranch_vccz .LBB105_21
; %bb.16:
                                        ; implicit-def: $vgpr4_vgpr5
	s_and_saveexec_b32 s4, s0
	s_delay_alu instid0(SALU_CYCLE_1)
	s_xor_b32 s4, exec_lo, s4
; %bb.17:
	v_subrev_nc_u32_e32 v4, s18, v0
	v_mov_b32_e32 v5, 0
	s_delay_alu instid0(VALU_DEP_1) | instskip(NEXT) | instid1(VALU_DEP_1)
	v_lshlrev_b64 v[4:5], 3, v[4:5]
	v_add_co_u32 v4, vcc_lo, s13, v4
	s_delay_alu instid0(VALU_DEP_2)
	v_add_co_ci_u32_e32 v5, vcc_lo, s5, v5, vcc_lo
; %bb.18:
	s_and_not1_saveexec_b32 s4, s4
; %bb.19:
	v_lshlrev_b64 v[4:5], 3, v[0:1]
	s_delay_alu instid0(VALU_DEP_1) | instskip(NEXT) | instid1(VALU_DEP_2)
	v_add_co_u32 v4, vcc_lo, s1, v4
	v_add_co_ci_u32_e32 v5, vcc_lo, s12, v5, vcc_lo
; %bb.20:
	s_or_b32 exec_lo, exec_lo, s4
	s_mov_b32 s4, -1
	s_cbranch_execz .LBB105_22
	s_branch .LBB105_29
.LBB105_21:
	s_mov_b32 s4, 0
                                        ; implicit-def: $vgpr4_vgpr5
.LBB105_22:
                                        ; implicit-def: $vgpr4_vgpr5
	s_and_saveexec_b32 s14, s0
	s_delay_alu instid0(SALU_CYCLE_1)
	s_xor_b32 s0, exec_lo, s14
	s_cbranch_execz .LBB105_26
; %bb.23:
	v_subrev_nc_u32_e32 v6, s18, v0
	s_mov_b32 s15, s4
	s_mov_b32 s14, exec_lo
                                        ; implicit-def: $vgpr4_vgpr5
	s_delay_alu instid0(VALU_DEP_1)
	v_cmpx_gt_u32_e64 s19, v6
	s_xor_b32 s14, exec_lo, s14
; %bb.24:
	v_mov_b32_e32 v7, 0
	s_or_b32 s15, s4, exec_lo
	s_delay_alu instid0(VALU_DEP_1) | instskip(NEXT) | instid1(VALU_DEP_1)
	v_lshlrev_b64 v[4:5], 3, v[6:7]
	v_add_co_u32 v4, vcc_lo, s13, v4
	s_delay_alu instid0(VALU_DEP_2)
	v_add_co_ci_u32_e32 v5, vcc_lo, s5, v5, vcc_lo
; %bb.25:
	s_or_b32 exec_lo, exec_lo, s14
	s_delay_alu instid0(SALU_CYCLE_1) | instskip(SKIP_1) | instid1(SALU_CYCLE_1)
	s_and_not1_b32 s4, s4, exec_lo
	s_and_b32 s5, s15, exec_lo
	s_or_b32 s4, s4, s5
.LBB105_26:
	s_and_not1_saveexec_b32 s0, s0
; %bb.27:
	v_lshlrev_b64 v[4:5], 3, v[0:1]
	s_or_b32 s4, s4, exec_lo
	s_delay_alu instid0(VALU_DEP_1) | instskip(NEXT) | instid1(VALU_DEP_2)
	v_add_co_u32 v4, vcc_lo, s1, v4
	v_add_co_ci_u32_e32 v5, vcc_lo, s12, v5, vcc_lo
; %bb.28:
	s_or_b32 exec_lo, exec_lo, s0
.LBB105_29:
	s_and_saveexec_b32 s0, s4
	s_cbranch_execz .LBB105_31
; %bb.30:
	global_load_b64 v[4:5], v[4:5], off
	s_waitcnt vmcnt(0)
	ds_store_b64 v8, v[4:5]
.LBB105_31:
	s_or_b32 exec_lo, exec_lo, s0
	s_waitcnt lgkmcnt(0)
	s_barrier
	buffer_gl0_inv
	s_and_saveexec_b32 s0, s9
	s_cbranch_execz .LBB105_33
; %bb.32:
	v_dual_mov_b32 v7, 0 :: v_dual_lshlrev_b32 v4, 3, v9
	v_or_b32_e32 v6, s10, v0
	ds_load_b64 v[4:5], v4
	v_lshlrev_b64 v[6:7], 3, v[6:7]
	s_delay_alu instid0(VALU_DEP_1) | instskip(NEXT) | instid1(VALU_DEP_2)
	v_add_co_u32 v6, vcc_lo, s6, v6
	v_add_co_ci_u32_e32 v7, vcc_lo, s7, v7, vcc_lo
	s_waitcnt lgkmcnt(0)
	global_store_b64 v[6:7], v[4:5], off
.LBB105_33:
	s_or_b32 exec_lo, exec_lo, s0
	s_delay_alu instid0(SALU_CYCLE_1)
	s_and_b32 vcc_lo, exec_lo, s11
	s_mov_b32 s11, -1
	s_waitcnt_vscnt null, 0x0
	s_barrier
	buffer_gl0_inv
	s_barrier
	buffer_gl0_inv
	s_cbranch_vccz .LBB105_35
; %bb.34:
	ds_store_b64 v8, v[2:3]
	s_waitcnt lgkmcnt(0)
	s_barrier
	buffer_gl0_inv
	ds_load_b64 v[4:5], v8
	s_mov_b32 s11, 0
	v_lshlrev_b64 v[6:7], 3, v[0:1]
	s_lshl_b64 s[0:1], s[10:11], 3
	s_delay_alu instid0(SALU_CYCLE_1) | instskip(SKIP_1) | instid1(VALU_DEP_1)
	s_add_u32 s0, s2, s0
	s_addc_u32 s1, s3, s1
	v_add_co_u32 v6, vcc_lo, s0, v6
	s_delay_alu instid0(VALU_DEP_2)
	v_add_co_ci_u32_e32 v7, vcc_lo, s1, v7, vcc_lo
	s_waitcnt lgkmcnt(0)
	global_store_b64 v[6:7], v[4:5], off
.LBB105_35:
	s_and_not1_b32 vcc_lo, exec_lo, s11
	s_cbranch_vccnz .LBB105_38
; %bb.36:
	s_sub_i32 s0, s8, s10
	ds_store_b64 v8, v[2:3]
	v_cmp_gt_u32_e32 vcc_lo, s0, v0
	s_waitcnt lgkmcnt(0)
	s_waitcnt_vscnt null, 0x0
	s_barrier
	buffer_gl0_inv
	s_and_saveexec_b32 s0, vcc_lo
	s_cbranch_execz .LBB105_38
; %bb.37:
	ds_load_b64 v[2:3], v8
	s_mov_b32 s11, 0
	v_lshlrev_b64 v[0:1], 3, v[0:1]
	s_lshl_b64 s[0:1], s[10:11], 3
	s_delay_alu instid0(SALU_CYCLE_1) | instskip(SKIP_1) | instid1(VALU_DEP_1)
	s_add_u32 s0, s2, s0
	s_addc_u32 s1, s3, s1
	v_add_co_u32 v0, vcc_lo, s0, v0
	s_delay_alu instid0(VALU_DEP_2)
	v_add_co_ci_u32_e32 v1, vcc_lo, s1, v1, vcc_lo
	s_waitcnt lgkmcnt(0)
	global_store_b64 v[0:1], v[2:3], off
.LBB105_38:
	s_nop 0
	s_sendmsg sendmsg(MSG_DEALLOC_VGPRS)
	s_endpgm
	.section	.rodata,"a",@progbits
	.p2align	6, 0x0
	.amdhsa_kernel _ZN7rocprim17ROCPRIM_304000_NS6detail35device_block_merge_mergepath_kernelINS1_37wrapped_merge_sort_block_merge_configINS0_14default_configElN2at4cuda3cub6detail10OpaqueTypeILi8EEEEEPlSC_PSA_SD_jNS1_19radix_merge_compareILb1ELb1ElNS0_19identity_decomposerEEEEEvT0_T1_T2_T3_T4_SL_jT5_PKSL_NS1_7vsmem_tE
		.amdhsa_group_segment_fixed_size 8208
		.amdhsa_private_segment_fixed_size 0
		.amdhsa_kernarg_size 328
		.amdhsa_user_sgpr_count 13
		.amdhsa_user_sgpr_dispatch_ptr 0
		.amdhsa_user_sgpr_queue_ptr 0
		.amdhsa_user_sgpr_kernarg_segment_ptr 1
		.amdhsa_user_sgpr_dispatch_id 0
		.amdhsa_user_sgpr_private_segment_size 0
		.amdhsa_wavefront_size32 1
		.amdhsa_uses_dynamic_stack 0
		.amdhsa_enable_private_segment 0
		.amdhsa_system_sgpr_workgroup_id_x 1
		.amdhsa_system_sgpr_workgroup_id_y 1
		.amdhsa_system_sgpr_workgroup_id_z 1
		.amdhsa_system_sgpr_workgroup_info 0
		.amdhsa_system_vgpr_workitem_id 0
		.amdhsa_next_free_vgpr 14
		.amdhsa_next_free_sgpr 26
		.amdhsa_reserve_vcc 1
		.amdhsa_float_round_mode_32 0
		.amdhsa_float_round_mode_16_64 0
		.amdhsa_float_denorm_mode_32 3
		.amdhsa_float_denorm_mode_16_64 3
		.amdhsa_dx10_clamp 1
		.amdhsa_ieee_mode 1
		.amdhsa_fp16_overflow 0
		.amdhsa_workgroup_processor_mode 1
		.amdhsa_memory_ordered 1
		.amdhsa_forward_progress 0
		.amdhsa_shared_vgpr_count 0
		.amdhsa_exception_fp_ieee_invalid_op 0
		.amdhsa_exception_fp_denorm_src 0
		.amdhsa_exception_fp_ieee_div_zero 0
		.amdhsa_exception_fp_ieee_overflow 0
		.amdhsa_exception_fp_ieee_underflow 0
		.amdhsa_exception_fp_ieee_inexact 0
		.amdhsa_exception_int_div_zero 0
	.end_amdhsa_kernel
	.section	.text._ZN7rocprim17ROCPRIM_304000_NS6detail35device_block_merge_mergepath_kernelINS1_37wrapped_merge_sort_block_merge_configINS0_14default_configElN2at4cuda3cub6detail10OpaqueTypeILi8EEEEEPlSC_PSA_SD_jNS1_19radix_merge_compareILb1ELb1ElNS0_19identity_decomposerEEEEEvT0_T1_T2_T3_T4_SL_jT5_PKSL_NS1_7vsmem_tE,"axG",@progbits,_ZN7rocprim17ROCPRIM_304000_NS6detail35device_block_merge_mergepath_kernelINS1_37wrapped_merge_sort_block_merge_configINS0_14default_configElN2at4cuda3cub6detail10OpaqueTypeILi8EEEEEPlSC_PSA_SD_jNS1_19radix_merge_compareILb1ELb1ElNS0_19identity_decomposerEEEEEvT0_T1_T2_T3_T4_SL_jT5_PKSL_NS1_7vsmem_tE,comdat
.Lfunc_end105:
	.size	_ZN7rocprim17ROCPRIM_304000_NS6detail35device_block_merge_mergepath_kernelINS1_37wrapped_merge_sort_block_merge_configINS0_14default_configElN2at4cuda3cub6detail10OpaqueTypeILi8EEEEEPlSC_PSA_SD_jNS1_19radix_merge_compareILb1ELb1ElNS0_19identity_decomposerEEEEEvT0_T1_T2_T3_T4_SL_jT5_PKSL_NS1_7vsmem_tE, .Lfunc_end105-_ZN7rocprim17ROCPRIM_304000_NS6detail35device_block_merge_mergepath_kernelINS1_37wrapped_merge_sort_block_merge_configINS0_14default_configElN2at4cuda3cub6detail10OpaqueTypeILi8EEEEEPlSC_PSA_SD_jNS1_19radix_merge_compareILb1ELb1ElNS0_19identity_decomposerEEEEEvT0_T1_T2_T3_T4_SL_jT5_PKSL_NS1_7vsmem_tE
                                        ; -- End function
	.section	.AMDGPU.csdata,"",@progbits
; Kernel info:
; codeLenInByte = 1424
; NumSgprs: 28
; NumVgprs: 14
; ScratchSize: 0
; MemoryBound: 1
; FloatMode: 240
; IeeeMode: 1
; LDSByteSize: 8208 bytes/workgroup (compile time only)
; SGPRBlocks: 3
; VGPRBlocks: 1
; NumSGPRsForWavesPerEU: 28
; NumVGPRsForWavesPerEU: 14
; Occupancy: 16
; WaveLimiterHint : 1
; COMPUTE_PGM_RSRC2:SCRATCH_EN: 0
; COMPUTE_PGM_RSRC2:USER_SGPR: 13
; COMPUTE_PGM_RSRC2:TRAP_HANDLER: 0
; COMPUTE_PGM_RSRC2:TGID_X_EN: 1
; COMPUTE_PGM_RSRC2:TGID_Y_EN: 1
; COMPUTE_PGM_RSRC2:TGID_Z_EN: 1
; COMPUTE_PGM_RSRC2:TIDIG_COMP_CNT: 0
	.section	.text._ZN7rocprim17ROCPRIM_304000_NS6detail33device_block_merge_oddeven_kernelINS1_37wrapped_merge_sort_block_merge_configINS0_14default_configElN2at4cuda3cub6detail10OpaqueTypeILi8EEEEEPlSC_PSA_SD_jNS1_19radix_merge_compareILb1ELb1ElNS0_19identity_decomposerEEEEEvT0_T1_T2_T3_T4_SL_T5_,"axG",@progbits,_ZN7rocprim17ROCPRIM_304000_NS6detail33device_block_merge_oddeven_kernelINS1_37wrapped_merge_sort_block_merge_configINS0_14default_configElN2at4cuda3cub6detail10OpaqueTypeILi8EEEEEPlSC_PSA_SD_jNS1_19radix_merge_compareILb1ELb1ElNS0_19identity_decomposerEEEEEvT0_T1_T2_T3_T4_SL_T5_,comdat
	.protected	_ZN7rocprim17ROCPRIM_304000_NS6detail33device_block_merge_oddeven_kernelINS1_37wrapped_merge_sort_block_merge_configINS0_14default_configElN2at4cuda3cub6detail10OpaqueTypeILi8EEEEEPlSC_PSA_SD_jNS1_19radix_merge_compareILb1ELb1ElNS0_19identity_decomposerEEEEEvT0_T1_T2_T3_T4_SL_T5_ ; -- Begin function _ZN7rocprim17ROCPRIM_304000_NS6detail33device_block_merge_oddeven_kernelINS1_37wrapped_merge_sort_block_merge_configINS0_14default_configElN2at4cuda3cub6detail10OpaqueTypeILi8EEEEEPlSC_PSA_SD_jNS1_19radix_merge_compareILb1ELb1ElNS0_19identity_decomposerEEEEEvT0_T1_T2_T3_T4_SL_T5_
	.globl	_ZN7rocprim17ROCPRIM_304000_NS6detail33device_block_merge_oddeven_kernelINS1_37wrapped_merge_sort_block_merge_configINS0_14default_configElN2at4cuda3cub6detail10OpaqueTypeILi8EEEEEPlSC_PSA_SD_jNS1_19radix_merge_compareILb1ELb1ElNS0_19identity_decomposerEEEEEvT0_T1_T2_T3_T4_SL_T5_
	.p2align	8
	.type	_ZN7rocprim17ROCPRIM_304000_NS6detail33device_block_merge_oddeven_kernelINS1_37wrapped_merge_sort_block_merge_configINS0_14default_configElN2at4cuda3cub6detail10OpaqueTypeILi8EEEEEPlSC_PSA_SD_jNS1_19radix_merge_compareILb1ELb1ElNS0_19identity_decomposerEEEEEvT0_T1_T2_T3_T4_SL_T5_,@function
_ZN7rocprim17ROCPRIM_304000_NS6detail33device_block_merge_oddeven_kernelINS1_37wrapped_merge_sort_block_merge_configINS0_14default_configElN2at4cuda3cub6detail10OpaqueTypeILi8EEEEEPlSC_PSA_SD_jNS1_19radix_merge_compareILb1ELb1ElNS0_19identity_decomposerEEEEEvT0_T1_T2_T3_T4_SL_T5_: ; @_ZN7rocprim17ROCPRIM_304000_NS6detail33device_block_merge_oddeven_kernelINS1_37wrapped_merge_sort_block_merge_configINS0_14default_configElN2at4cuda3cub6detail10OpaqueTypeILi8EEEEEPlSC_PSA_SD_jNS1_19radix_merge_compareILb1ELb1ElNS0_19identity_decomposerEEEEEvT0_T1_T2_T3_T4_SL_T5_
; %bb.0:
	s_load_b64 s[16:17], s[0:1], 0x20
	s_waitcnt lgkmcnt(0)
	s_lshr_b32 s2, s16, 8
	s_delay_alu instid0(SALU_CYCLE_1) | instskip(SKIP_4) | instid1(SALU_CYCLE_1)
	s_cmp_lg_u32 s15, s2
	s_cselect_b32 s4, -1, 0
	s_cmp_eq_u32 s15, s2
	s_cselect_b32 s14, -1, 0
	s_lshl_b32 s12, s15, 8
	s_sub_i32 s2, s16, s12
	s_delay_alu instid0(SALU_CYCLE_1) | instskip(NEXT) | instid1(VALU_DEP_1)
	v_cmp_gt_u32_e64 s3, s2, v0
	s_or_b32 s2, s4, s3
	s_delay_alu instid0(SALU_CYCLE_1)
	s_and_saveexec_b32 s4, s2
	s_cbranch_execz .LBB106_26
; %bb.1:
	s_load_b256 s[4:11], s[0:1], 0x0
	s_mov_b32 s13, 0
	v_lshlrev_b32_e32 v3, 3, v0
	s_lshl_b64 s[18:19], s[12:13], 3
	v_add_nc_u32_e32 v7, s12, v0
	s_waitcnt lgkmcnt(0)
	s_add_u32 s20, s4, s18
	s_addc_u32 s21, s5, s19
	s_add_u32 s8, s8, s18
	s_addc_u32 s9, s9, s19
	s_lshr_b32 s2, s17, 8
	s_clause 0x1
	global_load_b64 v[1:2], v3, s[8:9]
	global_load_b64 v[3:4], v3, s[20:21]
	s_sub_i32 s8, 0, s2
	s_delay_alu instid0(SALU_CYCLE_1) | instskip(NEXT) | instid1(SALU_CYCLE_1)
	s_and_b32 s8, s15, s8
	s_and_b32 s2, s8, s2
	s_lshl_b32 s15, s8, 8
	s_sub_i32 s8, 0, s17
	s_cmp_eq_u32 s2, 0
	s_cselect_b32 s2, -1, 0
	s_delay_alu instid0(SALU_CYCLE_1) | instskip(SKIP_1) | instid1(SALU_CYCLE_1)
	s_and_b32 s9, s2, exec_lo
	s_cselect_b32 s8, s17, s8
	s_add_i32 s8, s8, s15
	s_delay_alu instid0(SALU_CYCLE_1)
	s_cmp_lt_u32 s8, s16
	s_cbranch_scc1 .LBB106_6
; %bb.2:
	s_and_b32 vcc_lo, exec_lo, s14
	s_cbranch_vccz .LBB106_7
; %bb.3:
	s_mov_b32 s9, 0
	s_mov_b32 s12, exec_lo
                                        ; implicit-def: $vgpr5_vgpr6
	v_cmpx_gt_u32_e64 s16, v7
	s_cbranch_execz .LBB106_5
; %bb.4:
	v_mov_b32_e32 v8, 0
	s_mov_b32 s13, exec_lo
	s_delay_alu instid0(VALU_DEP_1) | instskip(NEXT) | instid1(VALU_DEP_1)
	v_lshlrev_b64 v[5:6], 3, v[7:8]
	v_add_co_u32 v8, vcc_lo, s6, v5
	s_delay_alu instid0(VALU_DEP_2)
	v_add_co_ci_u32_e32 v9, vcc_lo, s7, v6, vcc_lo
	v_add_co_u32 v5, vcc_lo, s10, v5
	v_add_co_ci_u32_e32 v6, vcc_lo, s11, v6, vcc_lo
	s_waitcnt vmcnt(0)
	global_store_b64 v[8:9], v[3:4], off
.LBB106_5:
	s_or_b32 exec_lo, exec_lo, s12
	s_delay_alu instid0(SALU_CYCLE_1)
	s_and_b32 vcc_lo, exec_lo, s9
	s_cbranch_vccnz .LBB106_8
	s_branch .LBB106_9
.LBB106_6:
                                        ; implicit-def: $vgpr5_vgpr6
	s_cbranch_execnz .LBB106_10
	s_branch .LBB106_24
.LBB106_7:
                                        ; implicit-def: $vgpr5_vgpr6
	s_cbranch_execz .LBB106_9
.LBB106_8:
	v_mov_b32_e32 v8, 0
	s_or_b32 s13, s13, exec_lo
	s_delay_alu instid0(VALU_DEP_1) | instskip(NEXT) | instid1(VALU_DEP_1)
	v_lshlrev_b64 v[5:6], 3, v[7:8]
	v_add_co_u32 v8, vcc_lo, s6, v5
	s_delay_alu instid0(VALU_DEP_2)
	v_add_co_ci_u32_e32 v9, vcc_lo, s7, v6, vcc_lo
	v_add_co_u32 v5, vcc_lo, s10, v5
	v_add_co_ci_u32_e32 v6, vcc_lo, s11, v6, vcc_lo
	s_waitcnt vmcnt(0)
	global_store_b64 v[8:9], v[3:4], off
.LBB106_9:
	s_branch .LBB106_24
.LBB106_10:
	s_load_b64 s[0:1], s[0:1], 0x28
	s_min_u32 s9, s8, s16
	s_and_b32 vcc_lo, exec_lo, s14
	s_add_i32 s12, s15, s9
	s_delay_alu instid0(SALU_CYCLE_1) | instskip(SKIP_2) | instid1(VALU_DEP_1)
	v_subrev_nc_u32_e32 v0, s12, v7
	s_min_u32 s12, s15, s9
	s_add_i32 s15, s9, s17
	v_add_nc_u32_e32 v0, s12, v0
	s_min_u32 s12, s15, s16
	s_cbranch_vccz .LBB106_18
; %bb.11:
                                        ; implicit-def: $vgpr5_vgpr6
	s_and_saveexec_b32 s14, s3
	s_cbranch_execz .LBB106_17
; %bb.12:
	v_mov_b32_e32 v9, s9
	s_cmp_ge_u32 s8, s12
	s_cbranch_scc1 .LBB106_16
; %bb.13:
	s_waitcnt vmcnt(0) lgkmcnt(0)
	v_dual_mov_b32 v9, s9 :: v_dual_and_b32 v6, s1, v4
	v_dual_mov_b32 v10, s12 :: v_dual_and_b32 v5, s0, v3
	v_mov_b32_e32 v8, 0
	s_mov_b32 s3, 0
	.p2align	6
.LBB106_14:                             ; =>This Inner Loop Header: Depth=1
	s_delay_alu instid0(VALU_DEP_2) | instskip(NEXT) | instid1(VALU_DEP_1)
	v_add_nc_u32_e32 v7, v9, v10
	v_lshrrev_b32_e32 v7, 1, v7
	s_delay_alu instid0(VALU_DEP_1) | instskip(NEXT) | instid1(VALU_DEP_1)
	v_lshlrev_b64 v[11:12], 3, v[7:8]
	v_add_co_u32 v11, vcc_lo, s4, v11
	s_delay_alu instid0(VALU_DEP_2) | instskip(SKIP_4) | instid1(VALU_DEP_1)
	v_add_co_ci_u32_e32 v12, vcc_lo, s5, v12, vcc_lo
	global_load_b64 v[11:12], v[11:12], off
	s_waitcnt vmcnt(0)
	v_and_b32_e32 v12, s1, v12
	v_and_b32_e32 v11, s0, v11
	v_cmp_gt_i64_e32 vcc_lo, v[11:12], v[5:6]
	v_cndmask_b32_e64 v13, 0, 1, vcc_lo
	v_cmp_le_i64_e32 vcc_lo, v[5:6], v[11:12]
	v_add_nc_u32_e32 v12, 1, v7
	v_cndmask_b32_e64 v11, 0, 1, vcc_lo
	s_delay_alu instid0(VALU_DEP_1) | instskip(NEXT) | instid1(VALU_DEP_1)
	v_cndmask_b32_e64 v11, v11, v13, s2
	v_and_b32_e32 v11, 1, v11
	s_delay_alu instid0(VALU_DEP_1) | instskip(SKIP_1) | instid1(VALU_DEP_1)
	v_cmp_eq_u32_e32 vcc_lo, 1, v11
	v_dual_cndmask_b32 v10, v7, v10 :: v_dual_cndmask_b32 v9, v9, v12
	v_cmp_ge_u32_e32 vcc_lo, v9, v10
	s_or_b32 s3, vcc_lo, s3
	s_delay_alu instid0(SALU_CYCLE_1)
	s_and_not1_b32 exec_lo, exec_lo, s3
	s_cbranch_execnz .LBB106_14
; %bb.15:
	s_or_b32 exec_lo, exec_lo, s3
.LBB106_16:
	s_delay_alu instid0(VALU_DEP_1) | instskip(SKIP_1) | instid1(VALU_DEP_1)
	v_dual_mov_b32 v6, 0 :: v_dual_add_nc_u32 v5, v9, v0
	s_or_b32 s13, s13, exec_lo
	v_lshlrev_b64 v[5:6], 3, v[5:6]
	s_delay_alu instid0(VALU_DEP_1) | instskip(NEXT) | instid1(VALU_DEP_2)
	v_add_co_u32 v7, vcc_lo, s6, v5
	v_add_co_ci_u32_e32 v8, vcc_lo, s7, v6, vcc_lo
	v_add_co_u32 v5, vcc_lo, s10, v5
	v_add_co_ci_u32_e32 v6, vcc_lo, s11, v6, vcc_lo
	s_waitcnt vmcnt(0)
	global_store_b64 v[7:8], v[3:4], off
.LBB106_17:
	s_or_b32 exec_lo, exec_lo, s14
	s_branch .LBB106_24
.LBB106_18:
                                        ; implicit-def: $vgpr5_vgpr6
	s_cbranch_execz .LBB106_24
; %bb.19:
	v_mov_b32_e32 v9, s9
	s_cmp_ge_u32 s8, s12
	s_cbranch_scc1 .LBB106_23
; %bb.20:
	s_waitcnt vmcnt(0) lgkmcnt(0)
	v_dual_mov_b32 v9, s9 :: v_dual_and_b32 v6, s1, v4
	v_dual_mov_b32 v10, s12 :: v_dual_and_b32 v5, s0, v3
	v_mov_b32_e32 v8, 0
	s_mov_b32 s3, 0
	.p2align	6
.LBB106_21:                             ; =>This Inner Loop Header: Depth=1
	s_delay_alu instid0(VALU_DEP_2) | instskip(NEXT) | instid1(VALU_DEP_1)
	v_add_nc_u32_e32 v7, v9, v10
	v_lshrrev_b32_e32 v7, 1, v7
	s_delay_alu instid0(VALU_DEP_1) | instskip(NEXT) | instid1(VALU_DEP_1)
	v_lshlrev_b64 v[11:12], 3, v[7:8]
	v_add_co_u32 v11, vcc_lo, s4, v11
	s_delay_alu instid0(VALU_DEP_2) | instskip(SKIP_4) | instid1(VALU_DEP_1)
	v_add_co_ci_u32_e32 v12, vcc_lo, s5, v12, vcc_lo
	global_load_b64 v[11:12], v[11:12], off
	s_waitcnt vmcnt(0)
	v_and_b32_e32 v12, s1, v12
	v_and_b32_e32 v11, s0, v11
	v_cmp_gt_i64_e32 vcc_lo, v[11:12], v[5:6]
	v_cndmask_b32_e64 v13, 0, 1, vcc_lo
	v_cmp_le_i64_e32 vcc_lo, v[5:6], v[11:12]
	v_add_nc_u32_e32 v12, 1, v7
	v_cndmask_b32_e64 v11, 0, 1, vcc_lo
	s_delay_alu instid0(VALU_DEP_1) | instskip(NEXT) | instid1(VALU_DEP_1)
	v_cndmask_b32_e64 v11, v11, v13, s2
	v_and_b32_e32 v11, 1, v11
	s_delay_alu instid0(VALU_DEP_1) | instskip(SKIP_1) | instid1(VALU_DEP_1)
	v_cmp_eq_u32_e32 vcc_lo, 1, v11
	v_dual_cndmask_b32 v10, v7, v10 :: v_dual_cndmask_b32 v9, v9, v12
	v_cmp_ge_u32_e32 vcc_lo, v9, v10
	s_or_b32 s3, vcc_lo, s3
	s_delay_alu instid0(SALU_CYCLE_1)
	s_and_not1_b32 exec_lo, exec_lo, s3
	s_cbranch_execnz .LBB106_21
; %bb.22:
	s_or_b32 exec_lo, exec_lo, s3
.LBB106_23:
	s_delay_alu instid0(VALU_DEP_1) | instskip(SKIP_1) | instid1(VALU_DEP_1)
	v_dual_mov_b32 v6, 0 :: v_dual_add_nc_u32 v5, v9, v0
	s_mov_b32 s13, -1
	v_lshlrev_b64 v[5:6], 3, v[5:6]
	s_delay_alu instid0(VALU_DEP_1) | instskip(NEXT) | instid1(VALU_DEP_2)
	v_add_co_u32 v7, vcc_lo, s6, v5
	v_add_co_ci_u32_e32 v8, vcc_lo, s7, v6, vcc_lo
	v_add_co_u32 v5, vcc_lo, s10, v5
	v_add_co_ci_u32_e32 v6, vcc_lo, s11, v6, vcc_lo
	s_waitcnt vmcnt(0)
	global_store_b64 v[7:8], v[3:4], off
.LBB106_24:
	s_and_b32 exec_lo, exec_lo, s13
	s_cbranch_execz .LBB106_26
; %bb.25:
	s_waitcnt vmcnt(1)
	global_store_b64 v[5:6], v[1:2], off
.LBB106_26:
	s_nop 0
	s_sendmsg sendmsg(MSG_DEALLOC_VGPRS)
	s_endpgm
	.section	.rodata,"a",@progbits
	.p2align	6, 0x0
	.amdhsa_kernel _ZN7rocprim17ROCPRIM_304000_NS6detail33device_block_merge_oddeven_kernelINS1_37wrapped_merge_sort_block_merge_configINS0_14default_configElN2at4cuda3cub6detail10OpaqueTypeILi8EEEEEPlSC_PSA_SD_jNS1_19radix_merge_compareILb1ELb1ElNS0_19identity_decomposerEEEEEvT0_T1_T2_T3_T4_SL_T5_
		.amdhsa_group_segment_fixed_size 0
		.amdhsa_private_segment_fixed_size 0
		.amdhsa_kernarg_size 48
		.amdhsa_user_sgpr_count 15
		.amdhsa_user_sgpr_dispatch_ptr 0
		.amdhsa_user_sgpr_queue_ptr 0
		.amdhsa_user_sgpr_kernarg_segment_ptr 1
		.amdhsa_user_sgpr_dispatch_id 0
		.amdhsa_user_sgpr_private_segment_size 0
		.amdhsa_wavefront_size32 1
		.amdhsa_uses_dynamic_stack 0
		.amdhsa_enable_private_segment 0
		.amdhsa_system_sgpr_workgroup_id_x 1
		.amdhsa_system_sgpr_workgroup_id_y 0
		.amdhsa_system_sgpr_workgroup_id_z 0
		.amdhsa_system_sgpr_workgroup_info 0
		.amdhsa_system_vgpr_workitem_id 0
		.amdhsa_next_free_vgpr 14
		.amdhsa_next_free_sgpr 22
		.amdhsa_reserve_vcc 1
		.amdhsa_float_round_mode_32 0
		.amdhsa_float_round_mode_16_64 0
		.amdhsa_float_denorm_mode_32 3
		.amdhsa_float_denorm_mode_16_64 3
		.amdhsa_dx10_clamp 1
		.amdhsa_ieee_mode 1
		.amdhsa_fp16_overflow 0
		.amdhsa_workgroup_processor_mode 1
		.amdhsa_memory_ordered 1
		.amdhsa_forward_progress 0
		.amdhsa_shared_vgpr_count 0
		.amdhsa_exception_fp_ieee_invalid_op 0
		.amdhsa_exception_fp_denorm_src 0
		.amdhsa_exception_fp_ieee_div_zero 0
		.amdhsa_exception_fp_ieee_overflow 0
		.amdhsa_exception_fp_ieee_underflow 0
		.amdhsa_exception_fp_ieee_inexact 0
		.amdhsa_exception_int_div_zero 0
	.end_amdhsa_kernel
	.section	.text._ZN7rocprim17ROCPRIM_304000_NS6detail33device_block_merge_oddeven_kernelINS1_37wrapped_merge_sort_block_merge_configINS0_14default_configElN2at4cuda3cub6detail10OpaqueTypeILi8EEEEEPlSC_PSA_SD_jNS1_19radix_merge_compareILb1ELb1ElNS0_19identity_decomposerEEEEEvT0_T1_T2_T3_T4_SL_T5_,"axG",@progbits,_ZN7rocprim17ROCPRIM_304000_NS6detail33device_block_merge_oddeven_kernelINS1_37wrapped_merge_sort_block_merge_configINS0_14default_configElN2at4cuda3cub6detail10OpaqueTypeILi8EEEEEPlSC_PSA_SD_jNS1_19radix_merge_compareILb1ELb1ElNS0_19identity_decomposerEEEEEvT0_T1_T2_T3_T4_SL_T5_,comdat
.Lfunc_end106:
	.size	_ZN7rocprim17ROCPRIM_304000_NS6detail33device_block_merge_oddeven_kernelINS1_37wrapped_merge_sort_block_merge_configINS0_14default_configElN2at4cuda3cub6detail10OpaqueTypeILi8EEEEEPlSC_PSA_SD_jNS1_19radix_merge_compareILb1ELb1ElNS0_19identity_decomposerEEEEEvT0_T1_T2_T3_T4_SL_T5_, .Lfunc_end106-_ZN7rocprim17ROCPRIM_304000_NS6detail33device_block_merge_oddeven_kernelINS1_37wrapped_merge_sort_block_merge_configINS0_14default_configElN2at4cuda3cub6detail10OpaqueTypeILi8EEEEEPlSC_PSA_SD_jNS1_19radix_merge_compareILb1ELb1ElNS0_19identity_decomposerEEEEEvT0_T1_T2_T3_T4_SL_T5_
                                        ; -- End function
	.section	.AMDGPU.csdata,"",@progbits
; Kernel info:
; codeLenInByte = 980
; NumSgprs: 24
; NumVgprs: 14
; ScratchSize: 0
; MemoryBound: 0
; FloatMode: 240
; IeeeMode: 1
; LDSByteSize: 0 bytes/workgroup (compile time only)
; SGPRBlocks: 2
; VGPRBlocks: 1
; NumSGPRsForWavesPerEU: 24
; NumVGPRsForWavesPerEU: 14
; Occupancy: 16
; WaveLimiterHint : 0
; COMPUTE_PGM_RSRC2:SCRATCH_EN: 0
; COMPUTE_PGM_RSRC2:USER_SGPR: 15
; COMPUTE_PGM_RSRC2:TRAP_HANDLER: 0
; COMPUTE_PGM_RSRC2:TGID_X_EN: 1
; COMPUTE_PGM_RSRC2:TGID_Y_EN: 0
; COMPUTE_PGM_RSRC2:TGID_Z_EN: 0
; COMPUTE_PGM_RSRC2:TIDIG_COMP_CNT: 0
	.section	.text._ZN7rocprim17ROCPRIM_304000_NS6detail26onesweep_histograms_kernelINS1_34wrapped_radix_sort_onesweep_configINS0_14default_configElN2at4cuda3cub6detail10OpaqueTypeILi8EEEEELb1EPKlmNS0_19identity_decomposerEEEvT1_PT2_SG_SG_T3_jj,"axG",@progbits,_ZN7rocprim17ROCPRIM_304000_NS6detail26onesweep_histograms_kernelINS1_34wrapped_radix_sort_onesweep_configINS0_14default_configElN2at4cuda3cub6detail10OpaqueTypeILi8EEEEELb1EPKlmNS0_19identity_decomposerEEEvT1_PT2_SG_SG_T3_jj,comdat
	.protected	_ZN7rocprim17ROCPRIM_304000_NS6detail26onesweep_histograms_kernelINS1_34wrapped_radix_sort_onesweep_configINS0_14default_configElN2at4cuda3cub6detail10OpaqueTypeILi8EEEEELb1EPKlmNS0_19identity_decomposerEEEvT1_PT2_SG_SG_T3_jj ; -- Begin function _ZN7rocprim17ROCPRIM_304000_NS6detail26onesweep_histograms_kernelINS1_34wrapped_radix_sort_onesweep_configINS0_14default_configElN2at4cuda3cub6detail10OpaqueTypeILi8EEEEELb1EPKlmNS0_19identity_decomposerEEEvT1_PT2_SG_SG_T3_jj
	.globl	_ZN7rocprim17ROCPRIM_304000_NS6detail26onesweep_histograms_kernelINS1_34wrapped_radix_sort_onesweep_configINS0_14default_configElN2at4cuda3cub6detail10OpaqueTypeILi8EEEEELb1EPKlmNS0_19identity_decomposerEEEvT1_PT2_SG_SG_T3_jj
	.p2align	8
	.type	_ZN7rocprim17ROCPRIM_304000_NS6detail26onesweep_histograms_kernelINS1_34wrapped_radix_sort_onesweep_configINS0_14default_configElN2at4cuda3cub6detail10OpaqueTypeILi8EEEEELb1EPKlmNS0_19identity_decomposerEEEvT1_PT2_SG_SG_T3_jj,@function
_ZN7rocprim17ROCPRIM_304000_NS6detail26onesweep_histograms_kernelINS1_34wrapped_radix_sort_onesweep_configINS0_14default_configElN2at4cuda3cub6detail10OpaqueTypeILi8EEEEELb1EPKlmNS0_19identity_decomposerEEEvT1_PT2_SG_SG_T3_jj: ; @_ZN7rocprim17ROCPRIM_304000_NS6detail26onesweep_histograms_kernelINS1_34wrapped_radix_sort_onesweep_configINS0_14default_configElN2at4cuda3cub6detail10OpaqueTypeILi8EEEEELb1EPKlmNS0_19identity_decomposerEEEvT1_PT2_SG_SG_T3_jj
; %bb.0:
	s_clause 0x1
	s_load_b256 s[4:11], s[0:1], 0x0
	s_load_b64 s[12:13], s[0:1], 0x24
	s_mov_b32 s2, s15
	s_mov_b32 s3, 0
	v_lshlrev_b32_e32 v12, 3, v0
	s_lshl_b64 s[0:1], s[2:3], 15
	s_waitcnt lgkmcnt(0)
	v_cmp_ge_u64_e64 s9, s[2:3], s[10:11]
	s_add_u32 s4, s4, s0
	s_addc_u32 s5, s5, s1
	s_mov_b32 s0, -1
	s_delay_alu instid0(VALU_DEP_1)
	s_and_b32 vcc_lo, exec_lo, s9
	s_cbranch_vccz .LBB107_32
; %bb.1:
	s_lshl_b32 s0, s10, 12
                                        ; implicit-def: $vgpr1_vgpr2_vgpr3_vgpr4_vgpr5_vgpr6_vgpr7_vgpr8
	s_delay_alu instid0(SALU_CYCLE_1) | instskip(SKIP_1) | instid1(VALU_DEP_1)
	s_sub_i32 s3, s8, s0
	v_add_co_u32 v9, s0, s4, v12
	v_add_co_ci_u32_e64 v10, null, s5, 0, s0
	v_cmp_gt_u32_e64 s2, s3, v0
	s_delay_alu instid0(VALU_DEP_1)
	s_and_saveexec_b32 s0, s2
	s_cbranch_execz .LBB107_3
; %bb.2:
	global_load_b64 v[1:2], v[9:10], off
.LBB107_3:
	s_or_b32 exec_lo, exec_lo, s0
	v_or_b32_e32 v11, 0x400, v0
	s_delay_alu instid0(VALU_DEP_1) | instskip(NEXT) | instid1(VALU_DEP_1)
	v_cmp_gt_u32_e64 s1, s3, v11
	s_and_saveexec_b32 s0, s1
	s_cbranch_execz .LBB107_5
; %bb.4:
	v_add_co_u32 v3, vcc_lo, 0x2000, v9
	v_add_co_ci_u32_e32 v4, vcc_lo, 0, v10, vcc_lo
	global_load_b64 v[3:4], v[3:4], off
.LBB107_5:
	s_or_b32 exec_lo, exec_lo, s0
	v_or_b32_e32 v11, 0x800, v0
	s_delay_alu instid0(VALU_DEP_1) | instskip(NEXT) | instid1(VALU_DEP_1)
	v_cmp_gt_u32_e64 s0, s3, v11
	s_and_saveexec_b32 s8, s0
	s_cbranch_execz .LBB107_7
; %bb.6:
	v_add_co_u32 v5, vcc_lo, 0x4000, v9
	v_add_co_ci_u32_e32 v6, vcc_lo, 0, v10, vcc_lo
	global_load_b64 v[5:6], v[5:6], off
.LBB107_7:
	s_or_b32 exec_lo, exec_lo, s8
	v_or_b32_e32 v11, 0xc00, v0
	s_delay_alu instid0(VALU_DEP_1)
	v_cmp_gt_u32_e32 vcc_lo, s3, v11
	s_and_saveexec_b32 s8, vcc_lo
	s_cbranch_execz .LBB107_9
; %bb.8:
	v_add_co_u32 v7, s3, 0x6000, v9
	s_delay_alu instid0(VALU_DEP_1)
	v_add_co_ci_u32_e64 v8, s3, 0, v10, s3
	global_load_b64 v[7:8], v[7:8], off
.LBB107_9:
	s_or_b32 exec_lo, exec_lo, s8
	v_dual_mov_b32 v10, 0 :: v_dual_lshlrev_b32 v9, 2, v0
	s_cmp_gt_u32 s13, s12
	ds_store_2addr_stride64_b32 v9, v10, v10 offset1:16
	ds_store_2addr_stride64_b32 v9, v10, v10 offset0:32 offset1:48
	ds_store_2addr_stride64_b32 v9, v10, v10 offset0:64 offset1:80
	;; [unrolled: 1-line block ×3, first 2 shown]
	s_cselect_b32 s3, -1, 0
	s_cmp_le_u32 s13, s12
	s_waitcnt vmcnt(0) lgkmcnt(0)
	s_barrier
	buffer_gl0_inv
	s_cbranch_scc1 .LBB107_26
; %bb.10:
	v_dual_mov_b32 v10, 1 :: v_dual_and_b32 v9, 3, v0
	v_xor_b32_e32 v2, 0x7fffffff, v2
	v_not_b32_e32 v1, v1
	s_sub_i32 s8, s13, s12
	s_delay_alu instid0(VALU_DEP_3) | instskip(SKIP_2) | instid1(VALU_DEP_1)
	v_lshlrev_b32_e32 v9, 2, v9
	s_mov_b32 s9, s8
	s_mov_b32 s10, s12
	v_mov_b32_e32 v11, v9
	s_branch .LBB107_12
	.p2align	6
.LBB107_11:                             ;   in Loop: Header=BB107_12 Depth=1
	s_or_b32 exec_lo, exec_lo, s11
	v_add_nc_u32_e32 v11, 0x1000, v11
	s_add_i32 s10, s10, 8
	s_add_i32 s9, s9, -8
	s_cmp_lt_u32 s10, s13
	s_cbranch_scc0 .LBB107_14
.LBB107_12:                             ; =>This Inner Loop Header: Depth=1
	s_and_saveexec_b32 s11, s2
	s_cbranch_execz .LBB107_11
; %bb.13:                               ;   in Loop: Header=BB107_12 Depth=1
	v_lshrrev_b64 v[13:14], s10, v[1:2]
	s_min_u32 s14, s9, 8
	s_delay_alu instid0(VALU_DEP_1) | instid1(SALU_CYCLE_1)
	v_bfe_u32 v13, v13, 0, s14
	s_delay_alu instid0(VALU_DEP_1)
	v_lshl_add_u32 v13, v13, 4, v11
	ds_add_u32 v13, v10
	s_branch .LBB107_11
.LBB107_14:
	v_xor_b32_e32 v2, 0x7fffffff, v4
	v_not_b32_e32 v1, v3
	v_dual_mov_b32 v3, 1 :: v_dual_mov_b32 v4, v9
	s_mov_b32 s2, s8
	s_mov_b32 s9, s12
	s_branch .LBB107_16
	.p2align	6
.LBB107_15:                             ;   in Loop: Header=BB107_16 Depth=1
	s_or_b32 exec_lo, exec_lo, s10
	v_add_nc_u32_e32 v4, 0x1000, v4
	s_add_i32 s9, s9, 8
	s_add_i32 s2, s2, -8
	s_cmp_lt_u32 s9, s13
	s_cbranch_scc0 .LBB107_18
.LBB107_16:                             ; =>This Inner Loop Header: Depth=1
	s_and_saveexec_b32 s10, s1
	s_cbranch_execz .LBB107_15
; %bb.17:                               ;   in Loop: Header=BB107_16 Depth=1
	v_lshrrev_b64 v[10:11], s9, v[1:2]
	s_min_u32 s11, s2, 8
	s_delay_alu instid0(VALU_DEP_1) | instid1(SALU_CYCLE_1)
	v_bfe_u32 v10, v10, 0, s11
	s_delay_alu instid0(VALU_DEP_1)
	v_lshl_add_u32 v10, v10, 4, v4
	ds_add_u32 v10, v3
	s_branch .LBB107_15
.LBB107_18:
	v_xor_b32_e32 v2, 0x7fffffff, v6
	v_not_b32_e32 v1, v5
	v_dual_mov_b32 v3, 1 :: v_dual_mov_b32 v4, v9
	s_mov_b32 s1, s8
	s_mov_b32 s2, s12
	s_branch .LBB107_20
	.p2align	6
.LBB107_19:                             ;   in Loop: Header=BB107_20 Depth=1
	s_or_b32 exec_lo, exec_lo, s9
	v_add_nc_u32_e32 v4, 0x1000, v4
	s_add_i32 s2, s2, 8
	s_add_i32 s1, s1, -8
	s_cmp_lt_u32 s2, s13
	s_cbranch_scc0 .LBB107_22
.LBB107_20:                             ; =>This Inner Loop Header: Depth=1
	s_and_saveexec_b32 s9, s0
	s_cbranch_execz .LBB107_19
; %bb.21:                               ;   in Loop: Header=BB107_20 Depth=1
	v_lshrrev_b64 v[5:6], s2, v[1:2]
	s_min_u32 s10, s1, 8
	s_delay_alu instid0(VALU_DEP_1) | instid1(SALU_CYCLE_1)
	v_bfe_u32 v5, v5, 0, s10
	s_delay_alu instid0(VALU_DEP_1)
	v_lshl_add_u32 v5, v5, 4, v4
	ds_add_u32 v5, v3
	s_branch .LBB107_19
.LBB107_22:
	v_xor_b32_e32 v2, 0x7fffffff, v8
	v_not_b32_e32 v1, v7
	v_mov_b32_e32 v3, 1
	s_mov_b32 s0, s12
	s_branch .LBB107_24
	.p2align	6
.LBB107_23:                             ;   in Loop: Header=BB107_24 Depth=1
	s_or_b32 exec_lo, exec_lo, s1
	v_add_nc_u32_e32 v9, 0x1000, v9
	s_add_i32 s0, s0, 8
	s_add_i32 s8, s8, -8
	s_cmp_lt_u32 s0, s13
	s_cbranch_scc0 .LBB107_26
.LBB107_24:                             ; =>This Inner Loop Header: Depth=1
	s_and_saveexec_b32 s1, vcc_lo
	s_cbranch_execz .LBB107_23
; %bb.25:                               ;   in Loop: Header=BB107_24 Depth=1
	v_lshrrev_b64 v[4:5], s0, v[1:2]
	s_min_u32 s2, s8, 8
	s_delay_alu instid0(VALU_DEP_1) | instid1(SALU_CYCLE_1)
	v_bfe_u32 v4, v4, 0, s2
	s_delay_alu instid0(VALU_DEP_1)
	v_lshl_add_u32 v4, v4, 4, v9
	ds_add_u32 v4, v3
	s_branch .LBB107_23
.LBB107_26:
	s_and_b32 vcc_lo, exec_lo, s3
	s_waitcnt lgkmcnt(0)
	s_barrier
	buffer_gl0_inv
	s_cbranch_vccz .LBB107_31
; %bb.27:
	v_cmp_gt_u32_e32 vcc_lo, 0x100, v0
	v_dual_mov_b32 v2, 0 :: v_dual_lshlrev_b32 v3, 4, v0
	v_mov_b32_e32 v1, v0
	s_mov_b32 s1, s12
	s_set_inst_prefetch_distance 0x1
	s_branch .LBB107_29
	.p2align	6
.LBB107_28:                             ;   in Loop: Header=BB107_29 Depth=1
	s_or_b32 exec_lo, exec_lo, s2
	v_add_nc_u32_e32 v1, 0x100, v1
	v_add_nc_u32_e32 v3, 0x1000, v3
	s_add_i32 s1, s1, 8
	s_delay_alu instid0(SALU_CYCLE_1)
	s_cmp_lt_u32 s1, s13
	s_cbranch_scc0 .LBB107_31
.LBB107_29:                             ; =>This Inner Loop Header: Depth=1
	s_and_saveexec_b32 s2, vcc_lo
	s_cbranch_execz .LBB107_28
; %bb.30:                               ;   in Loop: Header=BB107_29 Depth=1
	ds_load_2addr_b32 v[4:5], v3 offset1:1
	ds_load_2addr_b32 v[6:7], v3 offset0:2 offset1:3
	v_lshlrev_b64 v[8:9], 3, v[1:2]
	s_waitcnt lgkmcnt(1)
	v_add_nc_u32_e32 v10, v5, v4
	s_delay_alu instid0(VALU_DEP_2) | instskip(NEXT) | instid1(VALU_DEP_1)
	v_add_co_u32 v4, s0, s6, v8
	v_add_co_ci_u32_e64 v5, s0, s7, v9, s0
	s_waitcnt lgkmcnt(0)
	s_delay_alu instid0(VALU_DEP_3)
	v_add3_u32 v6, v10, v6, v7
	v_mov_b32_e32 v7, v2
	global_atomic_add_u64 v[4:5], v[6:7], off
	s_branch .LBB107_28
.LBB107_31:
	s_set_inst_prefetch_distance 0x2
	s_mov_b32 s0, 0
.LBB107_32:
	s_delay_alu instid0(SALU_CYCLE_1)
	s_and_b32 vcc_lo, exec_lo, s0
	s_cbranch_vccz .LBB107_52
; %bb.33:
	v_add_co_u32 v5, s0, s4, v12
	s_delay_alu instid0(VALU_DEP_1) | instskip(SKIP_1) | instid1(VALU_DEP_2)
	v_add_co_ci_u32_e64 v6, null, s5, 0, s0
	s_cmp_lg_u32 s12, 0
	v_add_co_u32 v1, vcc_lo, 0x2000, v5
	s_delay_alu instid0(VALU_DEP_2)
	v_add_co_ci_u32_e32 v2, vcc_lo, 0, v6, vcc_lo
	v_add_co_u32 v3, vcc_lo, 0x4000, v5
	v_add_co_ci_u32_e32 v4, vcc_lo, 0, v6, vcc_lo
	v_add_co_u32 v10, vcc_lo, 0x6000, v5
	v_add_co_ci_u32_e32 v11, vcc_lo, 0, v6, vcc_lo
	s_clause 0x3
	global_load_b64 v[6:7], v[1:2], off
	global_load_b64 v[2:3], v[3:4], off
	global_load_b64 v[8:9], v12, s[4:5]
	global_load_b64 v[4:5], v[10:11], off
	s_cselect_b32 s0, -1, 0
	s_cmp_lg_u32 s13, 64
	v_lshlrev_b32_e32 v13, 2, v0
	s_cselect_b32 s1, -1, 0
	s_delay_alu instid0(SALU_CYCLE_1) | instskip(NEXT) | instid1(SALU_CYCLE_1)
	s_or_b32 s0, s0, s1
	s_and_b32 vcc_lo, exec_lo, s0
	s_mov_b32 s0, -1
	s_cbranch_vccz .LBB107_49
; %bb.34:
	v_mov_b32_e32 v1, 0
	s_cmp_gt_u32 s13, s12
	ds_store_2addr_stride64_b32 v13, v1, v1 offset1:16
	ds_store_2addr_stride64_b32 v13, v1, v1 offset0:32 offset1:48
	ds_store_2addr_stride64_b32 v13, v1, v1 offset0:64 offset1:80
	;; [unrolled: 1-line block ×3, first 2 shown]
	s_cselect_b32 s0, -1, 0
	s_cmp_le_u32 s13, s12
	s_waitcnt vmcnt(0) lgkmcnt(0)
	s_waitcnt_vscnt null, 0x0
	s_barrier
	buffer_gl0_inv
	s_cbranch_scc1 .LBB107_43
; %bb.35:
	v_dual_mov_b32 v14, 1 :: v_dual_and_b32 v1, 3, v0
	v_xor_b32_e32 v11, 0x7fffffff, v9
	v_not_b32_e32 v10, v8
	s_sub_i32 s1, s13, s12
	s_delay_alu instid0(VALU_DEP_3) | instskip(SKIP_2) | instid1(VALU_DEP_1)
	v_lshlrev_b32_e32 v1, 2, v1
	s_mov_b32 s2, s1
	s_mov_b32 s3, s12
	v_mov_b32_e32 v15, v1
.LBB107_36:                             ; =>This Inner Loop Header: Depth=1
	v_lshrrev_b64 v[16:17], s3, v[10:11]
	s_min_u32 s4, s2, 8
	s_add_i32 s3, s3, 8
	s_add_i32 s2, s2, -8
	s_cmp_lt_u32 s3, s13
	s_delay_alu instid0(VALU_DEP_1) | instskip(NEXT) | instid1(VALU_DEP_1)
	v_bfe_u32 v16, v16, 0, s4
	v_lshl_add_u32 v16, v16, 4, v15
	v_add_nc_u32_e32 v15, 0x1000, v15
	ds_add_u32 v16, v14
	s_cbranch_scc1 .LBB107_36
; %bb.37:
	v_xor_b32_e32 v11, 0x7fffffff, v7
	v_not_b32_e32 v10, v6
	v_dual_mov_b32 v14, 1 :: v_dual_mov_b32 v15, v1
	s_mov_b32 s2, s1
	s_mov_b32 s3, s12
.LBB107_38:                             ; =>This Inner Loop Header: Depth=1
	s_delay_alu instid0(VALU_DEP_2) | instid1(SALU_CYCLE_1)
	v_lshrrev_b64 v[16:17], s3, v[10:11]
	s_min_u32 s4, s2, 8
	s_add_i32 s3, s3, 8
	s_add_i32 s2, s2, -8
	s_cmp_lt_u32 s3, s13
	s_delay_alu instid0(VALU_DEP_1) | instskip(NEXT) | instid1(VALU_DEP_1)
	v_bfe_u32 v16, v16, 0, s4
	v_lshl_add_u32 v16, v16, 4, v15
	v_add_nc_u32_e32 v15, 0x1000, v15
	ds_add_u32 v16, v14
	s_cbranch_scc1 .LBB107_38
; %bb.39:
	v_xor_b32_e32 v11, 0x7fffffff, v3
	v_not_b32_e32 v10, v2
	v_dual_mov_b32 v14, 1 :: v_dual_mov_b32 v15, v1
	s_mov_b32 s2, s1
	s_mov_b32 s3, s12
.LBB107_40:                             ; =>This Inner Loop Header: Depth=1
	s_delay_alu instid0(VALU_DEP_2) | instid1(SALU_CYCLE_1)
	v_lshrrev_b64 v[16:17], s3, v[10:11]
	s_min_u32 s4, s2, 8
	s_add_i32 s3, s3, 8
	s_add_i32 s2, s2, -8
	s_cmp_lt_u32 s3, s13
	s_delay_alu instid0(VALU_DEP_1) | instskip(NEXT) | instid1(VALU_DEP_1)
	v_bfe_u32 v16, v16, 0, s4
	v_lshl_add_u32 v16, v16, 4, v15
	v_add_nc_u32_e32 v15, 0x1000, v15
	ds_add_u32 v16, v14
	s_cbranch_scc1 .LBB107_40
; %bb.41:
	v_xor_b32_e32 v11, 0x7fffffff, v5
	v_not_b32_e32 v10, v4
	v_mov_b32_e32 v14, 1
	s_mov_b32 s2, s12
.LBB107_42:                             ; =>This Inner Loop Header: Depth=1
	s_delay_alu instid0(VALU_DEP_2) | instid1(SALU_CYCLE_1)
	v_lshrrev_b64 v[15:16], s2, v[10:11]
	s_min_u32 s3, s1, 8
	s_add_i32 s2, s2, 8
	s_add_i32 s1, s1, -8
	s_cmp_lt_u32 s2, s13
	s_delay_alu instid0(VALU_DEP_1) | instskip(NEXT) | instid1(VALU_DEP_1)
	v_bfe_u32 v15, v15, 0, s3
	v_lshl_add_u32 v15, v15, 4, v1
	v_add_nc_u32_e32 v1, 0x1000, v1
	ds_add_u32 v15, v14
	s_cbranch_scc1 .LBB107_42
.LBB107_43:
	s_and_b32 vcc_lo, exec_lo, s0
	s_waitcnt lgkmcnt(0)
	s_barrier
	buffer_gl0_inv
	s_cbranch_vccz .LBB107_48
; %bb.44:
	v_cmp_gt_u32_e32 vcc_lo, 0x100, v0
	v_dual_mov_b32 v10, v0 :: v_dual_lshlrev_b32 v1, 4, v0
	v_mov_b32_e32 v11, 0
	s_set_inst_prefetch_distance 0x1
	s_branch .LBB107_46
	.p2align	6
.LBB107_45:                             ;   in Loop: Header=BB107_46 Depth=1
	s_or_b32 exec_lo, exec_lo, s1
	v_add_nc_u32_e32 v10, 0x100, v10
	v_add_nc_u32_e32 v1, 0x1000, v1
	s_add_i32 s12, s12, 8
	s_delay_alu instid0(SALU_CYCLE_1)
	s_cmp_ge_u32 s12, s13
	s_cbranch_scc1 .LBB107_48
.LBB107_46:                             ; =>This Inner Loop Header: Depth=1
	s_and_saveexec_b32 s1, vcc_lo
	s_cbranch_execz .LBB107_45
; %bb.47:                               ;   in Loop: Header=BB107_46 Depth=1
	ds_load_2addr_b32 v[14:15], v1 offset1:1
	ds_load_2addr_b32 v[16:17], v1 offset0:2 offset1:3
	v_lshlrev_b64 v[18:19], 3, v[10:11]
	s_waitcnt lgkmcnt(1)
	v_add_nc_u32_e32 v20, v15, v14
	s_delay_alu instid0(VALU_DEP_2) | instskip(NEXT) | instid1(VALU_DEP_1)
	v_add_co_u32 v14, s0, s6, v18
	v_add_co_ci_u32_e64 v15, s0, s7, v19, s0
	s_waitcnt lgkmcnt(0)
	s_delay_alu instid0(VALU_DEP_3)
	v_add3_u32 v16, v20, v16, v17
	v_mov_b32_e32 v17, v11
	global_atomic_add_u64 v[14:15], v[16:17], off
	s_branch .LBB107_45
.LBB107_48:
	s_set_inst_prefetch_distance 0x2
	s_mov_b32 s0, 0
.LBB107_49:
	s_delay_alu instid0(SALU_CYCLE_1)
	s_and_b32 vcc_lo, exec_lo, s0
	s_cbranch_vccz .LBB107_52
; %bb.50:
	s_waitcnt vmcnt(1)
	v_xor_b32_e32 v8, -1, v8
	v_dual_mov_b32 v1, 0 :: v_dual_and_b32 v10, 3, v0
	v_xor_b32_e32 v9, 0x7fffffff, v9
	v_xor_b32_e32 v6, -1, v6
	s_delay_alu instid0(VALU_DEP_4)
	v_dual_mov_b32 v14, 1 :: v_dual_lshlrev_b32 v11, 2, v8
	ds_store_2addr_stride64_b32 v13, v1, v1 offset1:16
	ds_store_2addr_stride64_b32 v13, v1, v1 offset0:32 offset1:48
	ds_store_2addr_stride64_b32 v13, v1, v1 offset0:64 offset1:80
	;; [unrolled: 1-line block ×3, first 2 shown]
	v_lshrrev_b32_e32 v13, 6, v8
	s_waitcnt vmcnt(0) lgkmcnt(0)
	s_waitcnt_vscnt null, 0x0
	v_and_or_b32 v11, 0x3fc, v11, v10
	s_barrier
	buffer_gl0_inv
	v_and_or_b32 v13, 0x3fc, v13, v10
	v_lshrrev_b32_e32 v15, 6, v9
	v_lshlrev_b32_e32 v11, 2, v11
	v_lshrrev_b32_e32 v16, 14, v9
	v_xor_b32_e32 v7, 0x7fffffff, v7
	v_lshlrev_b32_e32 v13, 2, v13
	v_and_or_b32 v15, 0x3fc, v15, v10
	ds_add_u32 v11, v14
	ds_add_u32 v13, v14 offset:4096
	v_lshrrev_b32_e32 v11, 14, v8
	v_lshrrev_b32_e32 v13, 22, v8
	v_alignbit_b32 v8, v9, v8, 30
	v_and_or_b32 v16, 0x3fc, v16, v10
	v_lshlrev_b32_e32 v15, 2, v15
	v_and_or_b32 v11, 0x3fc, v11, v10
	v_and_or_b32 v13, 0x3fc, v13, v10
	;; [unrolled: 1-line block ×3, first 2 shown]
	v_lshlrev_b32_e32 v16, 2, v16
	v_xor_b32_e32 v2, -1, v2
	v_lshlrev_b32_e32 v11, 2, v11
	v_lshlrev_b32_e32 v13, 2, v13
	;; [unrolled: 1-line block ×3, first 2 shown]
	ds_add_u32 v11, v14 offset:8192
	ds_add_u32 v13, v14 offset:12288
	;; [unrolled: 1-line block ×5, first 2 shown]
	v_lshrrev_b32_e32 v8, 22, v9
	v_lshlrev_b32_e32 v9, 2, v6
	v_lshrrev_b32_e32 v11, 6, v6
	v_lshrrev_b32_e32 v13, 14, v6
	;; [unrolled: 1-line block ×3, first 2 shown]
	v_and_or_b32 v8, 0x3fc, v8, v10
	v_and_or_b32 v9, 0x3fc, v9, v10
	;; [unrolled: 1-line block ×5, first 2 shown]
	v_lshlrev_b32_e32 v8, 2, v8
	v_lshlrev_b32_e32 v9, 2, v9
	;; [unrolled: 1-line block ×5, first 2 shown]
	v_alignbit_b32 v6, v7, v6, 30
	ds_add_u32 v8, v14 offset:28672
	ds_add_u32 v9, v14
	ds_add_u32 v11, v14 offset:4096
	ds_add_u32 v13, v14 offset:8192
	;; [unrolled: 1-line block ×3, first 2 shown]
	v_lshrrev_b32_e32 v8, 6, v7
	v_lshrrev_b32_e32 v9, 14, v7
	;; [unrolled: 1-line block ×3, first 2 shown]
	v_lshlrev_b32_e32 v11, 2, v2
	v_and_or_b32 v6, 0x3fc, v6, v10
	v_and_or_b32 v8, 0x3fc, v8, v10
	;; [unrolled: 1-line block ×5, first 2 shown]
	v_lshlrev_b32_e32 v6, 2, v6
	v_lshlrev_b32_e32 v8, 2, v8
	;; [unrolled: 1-line block ×3, first 2 shown]
	v_xor_b32_e32 v3, 0x7fffffff, v3
	v_lshlrev_b32_e32 v7, 2, v7
	v_lshlrev_b32_e32 v11, 2, v11
	ds_add_u32 v6, v14 offset:16384
	ds_add_u32 v8, v14 offset:20480
	;; [unrolled: 1-line block ×4, first 2 shown]
	ds_add_u32 v11, v14
	v_lshrrev_b32_e32 v6, 6, v2
	v_lshrrev_b32_e32 v7, 14, v2
	;; [unrolled: 1-line block ×3, first 2 shown]
	v_alignbit_b32 v2, v3, v2, 30
	v_lshrrev_b32_e32 v9, 6, v3
	v_and_or_b32 v6, 0x3fc, v6, v10
	v_and_or_b32 v7, 0x3fc, v7, v10
	v_and_or_b32 v8, 0x3fc, v8, v10
	v_and_or_b32 v2, 0x3fc, v2, v10
	v_and_or_b32 v9, 0x3fc, v9, v10
	v_lshlrev_b32_e32 v6, 2, v6
	v_lshlrev_b32_e32 v7, 2, v7
	v_xor_b32_e32 v4, -1, v4
	v_lshlrev_b32_e32 v8, 2, v8
	v_lshlrev_b32_e32 v2, 2, v2
	;; [unrolled: 1-line block ×3, first 2 shown]
	ds_add_u32 v6, v14 offset:4096
	ds_add_u32 v7, v14 offset:8192
	;; [unrolled: 1-line block ×5, first 2 shown]
	v_lshrrev_b32_e32 v2, 14, v3
	v_lshrrev_b32_e32 v3, 22, v3
	v_lshlrev_b32_e32 v6, 2, v4
	v_lshrrev_b32_e32 v7, 6, v4
	v_lshrrev_b32_e32 v8, 14, v4
	v_and_or_b32 v2, 0x3fc, v2, v10
	v_and_or_b32 v3, 0x3fc, v3, v10
	;; [unrolled: 1-line block ×5, first 2 shown]
	v_lshlrev_b32_e32 v2, 2, v2
	v_xor_b32_e32 v5, 0x7fffffff, v5
	v_lshlrev_b32_e32 v3, 2, v3
	v_lshlrev_b32_e32 v6, 2, v6
	;; [unrolled: 1-line block ×4, first 2 shown]
	ds_add_u32 v2, v14 offset:24576
	ds_add_u32 v3, v14 offset:28672
	ds_add_u32 v6, v14
	ds_add_u32 v7, v14 offset:4096
	ds_add_u32 v8, v14 offset:8192
	v_lshrrev_b32_e32 v2, 22, v4
	v_alignbit_b32 v3, v5, v4, 30
	v_lshrrev_b32_e32 v4, 6, v5
	v_lshrrev_b32_e32 v6, 14, v5
	;; [unrolled: 1-line block ×3, first 2 shown]
	v_and_or_b32 v2, 0x3fc, v2, v10
	v_and_or_b32 v3, 0x3fc, v3, v10
	;; [unrolled: 1-line block ×5, first 2 shown]
	v_lshlrev_b32_e32 v2, 2, v2
	v_lshlrev_b32_e32 v3, 2, v3
	;; [unrolled: 1-line block ×5, first 2 shown]
	ds_add_u32 v2, v14 offset:12288
	ds_add_u32 v3, v14 offset:16384
	;; [unrolled: 1-line block ×5, first 2 shown]
	s_waitcnt lgkmcnt(0)
	s_barrier
	buffer_gl0_inv
	s_mov_b32 s0, exec_lo
	v_cmpx_gt_u32_e32 0x100, v0
	s_cbranch_execz .LBB107_52
; %bb.51:
	v_lshlrev_b32_e32 v6, 4, v0
	ds_load_2addr_b32 v[2:3], v6 offset1:1
	ds_load_2addr_b32 v[4:5], v6 offset0:2 offset1:3
	s_waitcnt lgkmcnt(1)
	v_add_nc_u32_e32 v0, v3, v2
	v_add_nc_u32_e32 v2, 0x1000, v6
	s_waitcnt lgkmcnt(0)
	s_delay_alu instid0(VALU_DEP_2)
	v_add3_u32 v0, v0, v4, v5
	v_add_nc_u32_e32 v4, 0x1008, v6
	global_atomic_add_u64 v12, v[0:1], s[6:7]
	ds_load_2addr_b32 v[2:3], v2 offset1:1
	ds_load_2addr_b32 v[4:5], v4 offset1:1
	s_waitcnt lgkmcnt(1)
	v_add_nc_u32_e32 v0, v3, v2
	v_add_nc_u32_e32 v2, 0x2000, v6
	s_waitcnt lgkmcnt(0)
	s_delay_alu instid0(VALU_DEP_2)
	v_add3_u32 v0, v0, v4, v5
	v_add_nc_u32_e32 v4, 0x2008, v6
	global_atomic_add_u64 v12, v[0:1], s[6:7] offset:2048
	ds_load_2addr_b32 v[2:3], v2 offset1:1
	ds_load_2addr_b32 v[4:5], v4 offset1:1
	s_waitcnt lgkmcnt(1)
	v_add_nc_u32_e32 v0, v3, v2
	v_or_b32_e32 v2, 0x1000, v12
	v_add_nc_u32_e32 v3, 0x3000, v6
	s_waitcnt lgkmcnt(0)
	s_delay_alu instid0(VALU_DEP_3)
	v_add3_u32 v0, v0, v4, v5
	v_add_nc_u32_e32 v4, 0x3008, v6
	global_atomic_add_u64 v2, v[0:1], s[6:7]
	ds_load_2addr_b32 v[2:3], v3 offset1:1
	ds_load_2addr_b32 v[4:5], v4 offset1:1
	s_waitcnt lgkmcnt(1)
	v_add_nc_u32_e32 v0, v3, v2
	v_or_b32_e32 v2, 0x1800, v12
	v_or_b32_e32 v3, 0x4000, v6
	s_waitcnt lgkmcnt(0)
	s_delay_alu instid0(VALU_DEP_3)
	v_add3_u32 v0, v0, v4, v5
	v_or_b32_e32 v4, 0x4008, v6
	global_atomic_add_u64 v2, v[0:1], s[6:7]
	ds_load_2addr_b32 v[2:3], v3 offset1:1
	ds_load_2addr_b32 v[4:5], v4 offset1:1
	s_waitcnt lgkmcnt(1)
	v_add_nc_u32_e32 v0, v3, v2
	v_or_b32_e32 v2, 0x2000, v12
	v_add_nc_u32_e32 v3, 0x5000, v6
	s_waitcnt lgkmcnt(0)
	s_delay_alu instid0(VALU_DEP_3)
	v_add3_u32 v0, v0, v4, v5
	v_add_nc_u32_e32 v4, 0x5008, v6
	global_atomic_add_u64 v2, v[0:1], s[6:7]
	ds_load_2addr_b32 v[2:3], v3 offset1:1
	ds_load_2addr_b32 v[4:5], v4 offset1:1
	s_waitcnt lgkmcnt(1)
	v_add_nc_u32_e32 v0, v3, v2
	v_or_b32_e32 v2, 0x2800, v12
	v_add_nc_u32_e32 v3, 0x6000, v6
	s_waitcnt lgkmcnt(0)
	s_delay_alu instid0(VALU_DEP_3)
	v_add3_u32 v0, v0, v4, v5
	v_add_nc_u32_e32 v4, 0x6008, v6
	global_atomic_add_u64 v2, v[0:1], s[6:7]
	ds_load_2addr_b32 v[2:3], v3 offset1:1
	ds_load_2addr_b32 v[4:5], v4 offset1:1
	s_waitcnt lgkmcnt(1)
	v_add_nc_u32_e32 v0, v3, v2
	v_or_b32_e32 v2, 0x3000, v12
	v_add_nc_u32_e32 v3, 0x7000, v6
	s_waitcnt lgkmcnt(0)
	s_delay_alu instid0(VALU_DEP_3)
	v_add3_u32 v0, v0, v4, v5
	v_add_nc_u32_e32 v4, 0x7008, v6
	global_atomic_add_u64 v2, v[0:1], s[6:7]
	ds_load_2addr_b32 v[2:3], v3 offset1:1
	ds_load_2addr_b32 v[4:5], v4 offset1:1
	s_waitcnt lgkmcnt(1)
	v_add_nc_u32_e32 v0, v3, v2
	v_or_b32_e32 v2, 0x3800, v12
	s_waitcnt lgkmcnt(0)
	s_delay_alu instid0(VALU_DEP_2)
	v_add3_u32 v0, v0, v4, v5
	global_atomic_add_u64 v2, v[0:1], s[6:7]
.LBB107_52:
	s_nop 0
	s_sendmsg sendmsg(MSG_DEALLOC_VGPRS)
	s_endpgm
	.section	.rodata,"a",@progbits
	.p2align	6, 0x0
	.amdhsa_kernel _ZN7rocprim17ROCPRIM_304000_NS6detail26onesweep_histograms_kernelINS1_34wrapped_radix_sort_onesweep_configINS0_14default_configElN2at4cuda3cub6detail10OpaqueTypeILi8EEEEELb1EPKlmNS0_19identity_decomposerEEEvT1_PT2_SG_SG_T3_jj
		.amdhsa_group_segment_fixed_size 32768
		.amdhsa_private_segment_fixed_size 0
		.amdhsa_kernarg_size 44
		.amdhsa_user_sgpr_count 15
		.amdhsa_user_sgpr_dispatch_ptr 0
		.amdhsa_user_sgpr_queue_ptr 0
		.amdhsa_user_sgpr_kernarg_segment_ptr 1
		.amdhsa_user_sgpr_dispatch_id 0
		.amdhsa_user_sgpr_private_segment_size 0
		.amdhsa_wavefront_size32 1
		.amdhsa_uses_dynamic_stack 0
		.amdhsa_enable_private_segment 0
		.amdhsa_system_sgpr_workgroup_id_x 1
		.amdhsa_system_sgpr_workgroup_id_y 0
		.amdhsa_system_sgpr_workgroup_id_z 0
		.amdhsa_system_sgpr_workgroup_info 0
		.amdhsa_system_vgpr_workitem_id 0
		.amdhsa_next_free_vgpr 21
		.amdhsa_next_free_sgpr 16
		.amdhsa_reserve_vcc 1
		.amdhsa_float_round_mode_32 0
		.amdhsa_float_round_mode_16_64 0
		.amdhsa_float_denorm_mode_32 3
		.amdhsa_float_denorm_mode_16_64 3
		.amdhsa_dx10_clamp 1
		.amdhsa_ieee_mode 1
		.amdhsa_fp16_overflow 0
		.amdhsa_workgroup_processor_mode 1
		.amdhsa_memory_ordered 1
		.amdhsa_forward_progress 0
		.amdhsa_shared_vgpr_count 0
		.amdhsa_exception_fp_ieee_invalid_op 0
		.amdhsa_exception_fp_denorm_src 0
		.amdhsa_exception_fp_ieee_div_zero 0
		.amdhsa_exception_fp_ieee_overflow 0
		.amdhsa_exception_fp_ieee_underflow 0
		.amdhsa_exception_fp_ieee_inexact 0
		.amdhsa_exception_int_div_zero 0
	.end_amdhsa_kernel
	.section	.text._ZN7rocprim17ROCPRIM_304000_NS6detail26onesweep_histograms_kernelINS1_34wrapped_radix_sort_onesweep_configINS0_14default_configElN2at4cuda3cub6detail10OpaqueTypeILi8EEEEELb1EPKlmNS0_19identity_decomposerEEEvT1_PT2_SG_SG_T3_jj,"axG",@progbits,_ZN7rocprim17ROCPRIM_304000_NS6detail26onesweep_histograms_kernelINS1_34wrapped_radix_sort_onesweep_configINS0_14default_configElN2at4cuda3cub6detail10OpaqueTypeILi8EEEEELb1EPKlmNS0_19identity_decomposerEEEvT1_PT2_SG_SG_T3_jj,comdat
.Lfunc_end107:
	.size	_ZN7rocprim17ROCPRIM_304000_NS6detail26onesweep_histograms_kernelINS1_34wrapped_radix_sort_onesweep_configINS0_14default_configElN2at4cuda3cub6detail10OpaqueTypeILi8EEEEELb1EPKlmNS0_19identity_decomposerEEEvT1_PT2_SG_SG_T3_jj, .Lfunc_end107-_ZN7rocprim17ROCPRIM_304000_NS6detail26onesweep_histograms_kernelINS1_34wrapped_radix_sort_onesweep_configINS0_14default_configElN2at4cuda3cub6detail10OpaqueTypeILi8EEEEELb1EPKlmNS0_19identity_decomposerEEEvT1_PT2_SG_SG_T3_jj
                                        ; -- End function
	.section	.AMDGPU.csdata,"",@progbits
; Kernel info:
; codeLenInByte = 3484
; NumSgprs: 18
; NumVgprs: 21
; ScratchSize: 0
; MemoryBound: 1
; FloatMode: 240
; IeeeMode: 1
; LDSByteSize: 32768 bytes/workgroup (compile time only)
; SGPRBlocks: 2
; VGPRBlocks: 2
; NumSGPRsForWavesPerEU: 18
; NumVGPRsForWavesPerEU: 21
; Occupancy: 16
; WaveLimiterHint : 1
; COMPUTE_PGM_RSRC2:SCRATCH_EN: 0
; COMPUTE_PGM_RSRC2:USER_SGPR: 15
; COMPUTE_PGM_RSRC2:TRAP_HANDLER: 0
; COMPUTE_PGM_RSRC2:TGID_X_EN: 1
; COMPUTE_PGM_RSRC2:TGID_Y_EN: 0
; COMPUTE_PGM_RSRC2:TGID_Z_EN: 0
; COMPUTE_PGM_RSRC2:TIDIG_COMP_CNT: 0
	.section	.text._ZN7rocprim17ROCPRIM_304000_NS6detail31onesweep_scan_histograms_kernelINS1_34wrapped_radix_sort_onesweep_configINS0_14default_configElN2at4cuda3cub6detail10OpaqueTypeILi8EEEEEmEEvPT0_,"axG",@progbits,_ZN7rocprim17ROCPRIM_304000_NS6detail31onesweep_scan_histograms_kernelINS1_34wrapped_radix_sort_onesweep_configINS0_14default_configElN2at4cuda3cub6detail10OpaqueTypeILi8EEEEEmEEvPT0_,comdat
	.protected	_ZN7rocprim17ROCPRIM_304000_NS6detail31onesweep_scan_histograms_kernelINS1_34wrapped_radix_sort_onesweep_configINS0_14default_configElN2at4cuda3cub6detail10OpaqueTypeILi8EEEEEmEEvPT0_ ; -- Begin function _ZN7rocprim17ROCPRIM_304000_NS6detail31onesweep_scan_histograms_kernelINS1_34wrapped_radix_sort_onesweep_configINS0_14default_configElN2at4cuda3cub6detail10OpaqueTypeILi8EEEEEmEEvPT0_
	.globl	_ZN7rocprim17ROCPRIM_304000_NS6detail31onesweep_scan_histograms_kernelINS1_34wrapped_radix_sort_onesweep_configINS0_14default_configElN2at4cuda3cub6detail10OpaqueTypeILi8EEEEEmEEvPT0_
	.p2align	8
	.type	_ZN7rocprim17ROCPRIM_304000_NS6detail31onesweep_scan_histograms_kernelINS1_34wrapped_radix_sort_onesweep_configINS0_14default_configElN2at4cuda3cub6detail10OpaqueTypeILi8EEEEEmEEvPT0_,@function
_ZN7rocprim17ROCPRIM_304000_NS6detail31onesweep_scan_histograms_kernelINS1_34wrapped_radix_sort_onesweep_configINS0_14default_configElN2at4cuda3cub6detail10OpaqueTypeILi8EEEEEmEEvPT0_: ; @_ZN7rocprim17ROCPRIM_304000_NS6detail31onesweep_scan_histograms_kernelINS1_34wrapped_radix_sort_onesweep_configINS0_14default_configElN2at4cuda3cub6detail10OpaqueTypeILi8EEEEEmEEvPT0_
; %bb.0:
	s_load_b64 s[0:1], s[0:1], 0x0
	s_lshl_b32 s2, s15, 8
	s_mov_b32 s3, 0
	v_cmp_gt_u32_e32 vcc_lo, 0x100, v0
	s_lshl_b64 s[2:3], s[2:3], 3
	v_lshlrev_b32_e32 v5, 3, v0
                                        ; implicit-def: $vgpr1_vgpr2
	s_waitcnt lgkmcnt(0)
	s_add_u32 s8, s0, s2
	s_addc_u32 s9, s1, s3
	s_and_saveexec_b32 s0, vcc_lo
	s_cbranch_execz .LBB108_2
; %bb.1:
	global_load_b64 v[1:2], v5, s[8:9]
.LBB108_2:
	s_or_b32 exec_lo, exec_lo, s0
	v_mbcnt_lo_u32_b32 v6, -1, 0
	s_waitcnt vmcnt(0)
	v_mov_b32_dpp v8, v1 row_shr:1 row_mask:0xf bank_mask:0xf
	v_mov_b32_dpp v7, v2 row_shr:1 row_mask:0xf bank_mask:0xf
	s_delay_alu instid0(VALU_DEP_3) | instskip(NEXT) | instid1(VALU_DEP_1)
	v_dual_mov_b32 v3, v1 :: v_dual_and_b32 v4, 15, v6
	v_cmp_ne_u32_e64 s0, 0, v4
	s_delay_alu instid0(VALU_DEP_1)
	s_and_saveexec_b32 s2, s0
; %bb.3:
	v_add_co_u32 v3, s1, v1, v8
	s_delay_alu instid0(VALU_DEP_1) | instskip(NEXT) | instid1(VALU_DEP_2)
	v_add_co_ci_u32_e64 v2, s1, 0, v2, s1
	v_add_co_u32 v1, s1, 0, v3
	s_delay_alu instid0(VALU_DEP_1)
	v_add_co_ci_u32_e64 v2, s1, v7, v2, s1
; %bb.4:
	s_or_b32 exec_lo, exec_lo, s2
	v_mov_b32_dpp v8, v3 row_shr:2 row_mask:0xf bank_mask:0xf
	s_delay_alu instid0(VALU_DEP_2) | instskip(SKIP_1) | instid1(VALU_DEP_1)
	v_mov_b32_dpp v7, v2 row_shr:2 row_mask:0xf bank_mask:0xf
	v_cmp_lt_u32_e64 s1, 1, v4
	s_and_saveexec_b32 s3, s1
; %bb.5:
	s_delay_alu instid0(VALU_DEP_3) | instskip(NEXT) | instid1(VALU_DEP_1)
	v_add_co_u32 v3, s2, v1, v8
	v_add_co_ci_u32_e64 v2, s2, 0, v2, s2
	s_delay_alu instid0(VALU_DEP_2) | instskip(NEXT) | instid1(VALU_DEP_1)
	v_add_co_u32 v1, s2, 0, v3
	v_add_co_ci_u32_e64 v2, s2, v7, v2, s2
; %bb.6:
	s_or_b32 exec_lo, exec_lo, s3
	v_mov_b32_dpp v8, v3 row_shr:4 row_mask:0xf bank_mask:0xf
	s_delay_alu instid0(VALU_DEP_2) | instskip(SKIP_1) | instid1(VALU_DEP_1)
	v_mov_b32_dpp v7, v2 row_shr:4 row_mask:0xf bank_mask:0xf
	v_cmp_lt_u32_e64 s2, 3, v4
	s_and_saveexec_b32 s4, s2
; %bb.7:
	s_delay_alu instid0(VALU_DEP_3) | instskip(NEXT) | instid1(VALU_DEP_1)
	v_add_co_u32 v3, s3, v1, v8
	v_add_co_ci_u32_e64 v2, s3, 0, v2, s3
	s_delay_alu instid0(VALU_DEP_2) | instskip(NEXT) | instid1(VALU_DEP_1)
	v_add_co_u32 v1, s3, 0, v3
	;; [unrolled: 14-line block ×3, first 2 shown]
	v_add_co_ci_u32_e64 v2, s4, v7, v2, s4
; %bb.10:
	s_or_b32 exec_lo, exec_lo, s5
	ds_swizzle_b32 v4, v3 offset:swizzle(BROADCAST,32,15)
	ds_swizzle_b32 v3, v2 offset:swizzle(BROADCAST,32,15)
	v_and_b32_e32 v7, 16, v6
	s_delay_alu instid0(VALU_DEP_1) | instskip(NEXT) | instid1(VALU_DEP_1)
	v_cmp_ne_u32_e64 s4, 0, v7
	s_and_saveexec_b32 s6, s4
	s_cbranch_execz .LBB108_12
; %bb.11:
	s_waitcnt lgkmcnt(1)
	v_add_co_u32 v1, s5, v1, v4
	s_delay_alu instid0(VALU_DEP_1) | instskip(NEXT) | instid1(VALU_DEP_2)
	v_add_co_ci_u32_e64 v2, s5, 0, v2, s5
	v_add_co_u32 v1, s5, v1, 0
	s_waitcnt lgkmcnt(0)
	s_delay_alu instid0(VALU_DEP_2)
	v_add_co_ci_u32_e64 v2, s5, v2, v3, s5
.LBB108_12:
	s_or_b32 exec_lo, exec_lo, s6
	s_waitcnt lgkmcnt(0)
	v_and_b32_e32 v3, 31, v0
	v_lshrrev_b32_e32 v7, 5, v0
	s_mov_b32 s6, exec_lo
	s_delay_alu instid0(VALU_DEP_2)
	v_cmpx_eq_u32_e32 31, v3
	s_cbranch_execz .LBB108_14
; %bb.13:
	s_delay_alu instid0(VALU_DEP_2)
	v_lshlrev_b32_e32 v3, 3, v7
	ds_store_b64 v3, v[1:2]
.LBB108_14:
	s_or_b32 exec_lo, exec_lo, s6
	v_cmp_lt_u32_e64 s5, 31, v0
	s_mov_b32 s7, exec_lo
	s_waitcnt lgkmcnt(0)
	s_barrier
	buffer_gl0_inv
	v_cmpx_gt_u32_e32 32, v0
	s_cbranch_execz .LBB108_26
; %bb.15:
	ds_load_b64 v[3:4], v5
	s_waitcnt lgkmcnt(0)
	v_mov_b32_dpp v9, v3 row_shr:1 row_mask:0xf bank_mask:0xf
	v_mov_b32_dpp v8, v4 row_shr:1 row_mask:0xf bank_mask:0xf
	v_mov_b32_e32 v0, v3
	s_and_saveexec_b32 s6, s0
; %bb.16:
	s_delay_alu instid0(VALU_DEP_3) | instskip(NEXT) | instid1(VALU_DEP_1)
	v_add_co_u32 v0, s0, v3, v9
	v_add_co_ci_u32_e64 v4, s0, 0, v4, s0
	s_delay_alu instid0(VALU_DEP_2) | instskip(NEXT) | instid1(VALU_DEP_1)
	v_add_co_u32 v3, s0, 0, v0
	v_add_co_ci_u32_e64 v4, s0, v8, v4, s0
; %bb.17:
	s_or_b32 exec_lo, exec_lo, s6
	v_mov_b32_dpp v9, v0 row_shr:2 row_mask:0xf bank_mask:0xf
	s_delay_alu instid0(VALU_DEP_2)
	v_mov_b32_dpp v8, v4 row_shr:2 row_mask:0xf bank_mask:0xf
	s_and_saveexec_b32 s6, s1
; %bb.18:
	s_delay_alu instid0(VALU_DEP_2) | instskip(NEXT) | instid1(VALU_DEP_1)
	v_add_co_u32 v0, s0, v3, v9
	v_add_co_ci_u32_e64 v4, s0, 0, v4, s0
	s_delay_alu instid0(VALU_DEP_2) | instskip(NEXT) | instid1(VALU_DEP_1)
	v_add_co_u32 v3, s0, 0, v0
	v_add_co_ci_u32_e64 v4, s0, v8, v4, s0
; %bb.19:
	s_or_b32 exec_lo, exec_lo, s6
	v_mov_b32_dpp v9, v0 row_shr:4 row_mask:0xf bank_mask:0xf
	s_delay_alu instid0(VALU_DEP_2)
	v_mov_b32_dpp v8, v4 row_shr:4 row_mask:0xf bank_mask:0xf
	s_and_saveexec_b32 s1, s2
; %bb.20:
	s_delay_alu instid0(VALU_DEP_2) | instskip(NEXT) | instid1(VALU_DEP_1)
	;; [unrolled: 13-line block ×3, first 2 shown]
	v_add_co_u32 v0, s0, v3, v9
	v_add_co_ci_u32_e64 v4, s0, 0, v4, s0
	s_delay_alu instid0(VALU_DEP_2) | instskip(NEXT) | instid1(VALU_DEP_1)
	v_add_co_u32 v3, s0, 0, v0
	v_add_co_ci_u32_e64 v4, s0, v8, v4, s0
; %bb.23:
	s_or_b32 exec_lo, exec_lo, s1
	ds_swizzle_b32 v8, v0 offset:swizzle(BROADCAST,32,15)
	ds_swizzle_b32 v0, v4 offset:swizzle(BROADCAST,32,15)
	s_and_saveexec_b32 s1, s4
	s_cbranch_execz .LBB108_25
; %bb.24:
	s_waitcnt lgkmcnt(1)
	v_add_co_u32 v3, s0, v3, v8
	s_delay_alu instid0(VALU_DEP_1) | instskip(NEXT) | instid1(VALU_DEP_2)
	v_add_co_ci_u32_e64 v4, s0, 0, v4, s0
	v_add_co_u32 v3, s0, v3, 0
	s_waitcnt lgkmcnt(0)
	s_delay_alu instid0(VALU_DEP_2)
	v_add_co_ci_u32_e64 v4, s0, v4, v0, s0
.LBB108_25:
	s_or_b32 exec_lo, exec_lo, s1
	ds_store_b64 v5, v[3:4]
.LBB108_26:
	s_or_b32 exec_lo, exec_lo, s7
	v_mov_b32_e32 v3, 0
	v_mov_b32_e32 v4, 0
	s_waitcnt lgkmcnt(0)
	s_barrier
	buffer_gl0_inv
	s_and_saveexec_b32 s0, s5
	s_cbranch_execz .LBB108_28
; %bb.27:
	v_lshl_add_u32 v0, v7, 3, -8
	ds_load_b64 v[3:4], v0
.LBB108_28:
	s_or_b32 exec_lo, exec_lo, s0
	v_add_nc_u32_e32 v0, -1, v6
	s_delay_alu instid0(VALU_DEP_1) | instskip(NEXT) | instid1(VALU_DEP_1)
	v_cmp_gt_i32_e64 s0, 0, v0
	v_cndmask_b32_e64 v0, v0, v6, s0
	s_delay_alu instid0(VALU_DEP_1) | instskip(SKIP_2) | instid1(VALU_DEP_1)
	v_lshlrev_b32_e32 v7, 2, v0
	s_waitcnt lgkmcnt(0)
	v_add_co_u32 v0, s0, v3, v1
	v_add_co_ci_u32_e64 v1, s0, v4, v2, s0
	ds_bpermute_b32 v0, v7, v0
	ds_bpermute_b32 v1, v7, v1
	s_and_saveexec_b32 s0, vcc_lo
	s_cbranch_execz .LBB108_30
; %bb.29:
	v_cmp_eq_u32_e32 vcc_lo, 0, v6
	s_waitcnt lgkmcnt(0)
	v_dual_cndmask_b32 v1, v1, v4 :: v_dual_cndmask_b32 v0, v0, v3
	global_store_b64 v5, v[0:1], s[8:9]
.LBB108_30:
	s_nop 0
	s_sendmsg sendmsg(MSG_DEALLOC_VGPRS)
	s_endpgm
	.section	.rodata,"a",@progbits
	.p2align	6, 0x0
	.amdhsa_kernel _ZN7rocprim17ROCPRIM_304000_NS6detail31onesweep_scan_histograms_kernelINS1_34wrapped_radix_sort_onesweep_configINS0_14default_configElN2at4cuda3cub6detail10OpaqueTypeILi8EEEEEmEEvPT0_
		.amdhsa_group_segment_fixed_size 256
		.amdhsa_private_segment_fixed_size 0
		.amdhsa_kernarg_size 8
		.amdhsa_user_sgpr_count 15
		.amdhsa_user_sgpr_dispatch_ptr 0
		.amdhsa_user_sgpr_queue_ptr 0
		.amdhsa_user_sgpr_kernarg_segment_ptr 1
		.amdhsa_user_sgpr_dispatch_id 0
		.amdhsa_user_sgpr_private_segment_size 0
		.amdhsa_wavefront_size32 1
		.amdhsa_uses_dynamic_stack 0
		.amdhsa_enable_private_segment 0
		.amdhsa_system_sgpr_workgroup_id_x 1
		.amdhsa_system_sgpr_workgroup_id_y 0
		.amdhsa_system_sgpr_workgroup_id_z 0
		.amdhsa_system_sgpr_workgroup_info 0
		.amdhsa_system_vgpr_workitem_id 0
		.amdhsa_next_free_vgpr 10
		.amdhsa_next_free_sgpr 16
		.amdhsa_reserve_vcc 1
		.amdhsa_float_round_mode_32 0
		.amdhsa_float_round_mode_16_64 0
		.amdhsa_float_denorm_mode_32 3
		.amdhsa_float_denorm_mode_16_64 3
		.amdhsa_dx10_clamp 1
		.amdhsa_ieee_mode 1
		.amdhsa_fp16_overflow 0
		.amdhsa_workgroup_processor_mode 1
		.amdhsa_memory_ordered 1
		.amdhsa_forward_progress 0
		.amdhsa_shared_vgpr_count 0
		.amdhsa_exception_fp_ieee_invalid_op 0
		.amdhsa_exception_fp_denorm_src 0
		.amdhsa_exception_fp_ieee_div_zero 0
		.amdhsa_exception_fp_ieee_overflow 0
		.amdhsa_exception_fp_ieee_underflow 0
		.amdhsa_exception_fp_ieee_inexact 0
		.amdhsa_exception_int_div_zero 0
	.end_amdhsa_kernel
	.section	.text._ZN7rocprim17ROCPRIM_304000_NS6detail31onesweep_scan_histograms_kernelINS1_34wrapped_radix_sort_onesweep_configINS0_14default_configElN2at4cuda3cub6detail10OpaqueTypeILi8EEEEEmEEvPT0_,"axG",@progbits,_ZN7rocprim17ROCPRIM_304000_NS6detail31onesweep_scan_histograms_kernelINS1_34wrapped_radix_sort_onesweep_configINS0_14default_configElN2at4cuda3cub6detail10OpaqueTypeILi8EEEEEmEEvPT0_,comdat
.Lfunc_end108:
	.size	_ZN7rocprim17ROCPRIM_304000_NS6detail31onesweep_scan_histograms_kernelINS1_34wrapped_radix_sort_onesweep_configINS0_14default_configElN2at4cuda3cub6detail10OpaqueTypeILi8EEEEEmEEvPT0_, .Lfunc_end108-_ZN7rocprim17ROCPRIM_304000_NS6detail31onesweep_scan_histograms_kernelINS1_34wrapped_radix_sort_onesweep_configINS0_14default_configElN2at4cuda3cub6detail10OpaqueTypeILi8EEEEEmEEvPT0_
                                        ; -- End function
	.section	.AMDGPU.csdata,"",@progbits
; Kernel info:
; codeLenInByte = 1104
; NumSgprs: 18
; NumVgprs: 10
; ScratchSize: 0
; MemoryBound: 0
; FloatMode: 240
; IeeeMode: 1
; LDSByteSize: 256 bytes/workgroup (compile time only)
; SGPRBlocks: 2
; VGPRBlocks: 1
; NumSGPRsForWavesPerEU: 18
; NumVGPRsForWavesPerEU: 10
; Occupancy: 16
; WaveLimiterHint : 0
; COMPUTE_PGM_RSRC2:SCRATCH_EN: 0
; COMPUTE_PGM_RSRC2:USER_SGPR: 15
; COMPUTE_PGM_RSRC2:TRAP_HANDLER: 0
; COMPUTE_PGM_RSRC2:TGID_X_EN: 1
; COMPUTE_PGM_RSRC2:TGID_Y_EN: 0
; COMPUTE_PGM_RSRC2:TGID_Z_EN: 0
; COMPUTE_PGM_RSRC2:TIDIG_COMP_CNT: 0
	.section	.text._ZN7rocprim17ROCPRIM_304000_NS6detail16transform_kernelINS1_24wrapped_transform_configINS0_14default_configElEElPKlPlNS0_8identityIlEEEEvT1_mT2_T3_,"axG",@progbits,_ZN7rocprim17ROCPRIM_304000_NS6detail16transform_kernelINS1_24wrapped_transform_configINS0_14default_configElEElPKlPlNS0_8identityIlEEEEvT1_mT2_T3_,comdat
	.protected	_ZN7rocprim17ROCPRIM_304000_NS6detail16transform_kernelINS1_24wrapped_transform_configINS0_14default_configElEElPKlPlNS0_8identityIlEEEEvT1_mT2_T3_ ; -- Begin function _ZN7rocprim17ROCPRIM_304000_NS6detail16transform_kernelINS1_24wrapped_transform_configINS0_14default_configElEElPKlPlNS0_8identityIlEEEEvT1_mT2_T3_
	.globl	_ZN7rocprim17ROCPRIM_304000_NS6detail16transform_kernelINS1_24wrapped_transform_configINS0_14default_configElEElPKlPlNS0_8identityIlEEEEvT1_mT2_T3_
	.p2align	8
	.type	_ZN7rocprim17ROCPRIM_304000_NS6detail16transform_kernelINS1_24wrapped_transform_configINS0_14default_configElEElPKlPlNS0_8identityIlEEEEvT1_mT2_T3_,@function
_ZN7rocprim17ROCPRIM_304000_NS6detail16transform_kernelINS1_24wrapped_transform_configINS0_14default_configElEElPKlPlNS0_8identityIlEEEEvT1_mT2_T3_: ; @_ZN7rocprim17ROCPRIM_304000_NS6detail16transform_kernelINS1_24wrapped_transform_configINS0_14default_configElEElPKlPlNS0_8identityIlEEEEvT1_mT2_T3_
; %bb.0:
	s_clause 0x2
	s_load_b32 s3, s[0:1], 0x20
	s_load_b128 s[4:7], s[0:1], 0x0
	s_load_b64 s[0:1], s[0:1], 0x10
	v_lshlrev_b32_e32 v2, 3, v0
	s_lshl_b32 s2, s15, 9
	s_waitcnt lgkmcnt(0)
	s_add_i32 s7, s3, -1
	s_mov_b32 s3, 0
	s_cmp_lg_u32 s15, s7
	s_mov_b32 s7, -1
	s_cbranch_scc0 .LBB109_2
; %bb.1:
	s_lshl_b64 s[8:9], s[2:3], 3
	s_mov_b32 s7, s3
	s_add_u32 s10, s4, s8
	s_addc_u32 s11, s5, s9
	s_add_u32 s8, s0, s8
	global_load_b64 v[3:4], v2, s[10:11]
	s_addc_u32 s9, s1, s9
	s_waitcnt vmcnt(0)
	global_store_b64 v2, v[3:4], s[8:9]
.LBB109_2:
	s_and_not1_b32 vcc_lo, exec_lo, s7
	s_cbranch_vccnz .LBB109_7
; %bb.3:
	s_sub_i32 s6, s6, s2
	s_delay_alu instid0(SALU_CYCLE_1)
	v_cmp_gt_u32_e32 vcc_lo, s6, v0
                                        ; implicit-def: $vgpr0_vgpr1
	s_and_saveexec_b32 s6, vcc_lo
	s_cbranch_execz .LBB109_5
; %bb.4:
	s_lshl_b64 s[8:9], s[2:3], 3
	s_delay_alu instid0(SALU_CYCLE_1)
	s_add_u32 s4, s4, s8
	s_addc_u32 s5, s5, s9
	global_load_b64 v[0:1], v2, s[4:5]
.LBB109_5:
	s_or_b32 exec_lo, exec_lo, s6
	s_and_saveexec_b32 s4, vcc_lo
	s_cbranch_execz .LBB109_7
; %bb.6:
	s_lshl_b64 s[2:3], s[2:3], 3
	s_delay_alu instid0(SALU_CYCLE_1)
	s_add_u32 s0, s0, s2
	s_addc_u32 s1, s1, s3
	s_waitcnt vmcnt(0)
	global_store_b64 v2, v[0:1], s[0:1]
.LBB109_7:
	s_nop 0
	s_sendmsg sendmsg(MSG_DEALLOC_VGPRS)
	s_endpgm
	.section	.rodata,"a",@progbits
	.p2align	6, 0x0
	.amdhsa_kernel _ZN7rocprim17ROCPRIM_304000_NS6detail16transform_kernelINS1_24wrapped_transform_configINS0_14default_configElEElPKlPlNS0_8identityIlEEEEvT1_mT2_T3_
		.amdhsa_group_segment_fixed_size 0
		.amdhsa_private_segment_fixed_size 0
		.amdhsa_kernarg_size 288
		.amdhsa_user_sgpr_count 15
		.amdhsa_user_sgpr_dispatch_ptr 0
		.amdhsa_user_sgpr_queue_ptr 0
		.amdhsa_user_sgpr_kernarg_segment_ptr 1
		.amdhsa_user_sgpr_dispatch_id 0
		.amdhsa_user_sgpr_private_segment_size 0
		.amdhsa_wavefront_size32 1
		.amdhsa_uses_dynamic_stack 0
		.amdhsa_enable_private_segment 0
		.amdhsa_system_sgpr_workgroup_id_x 1
		.amdhsa_system_sgpr_workgroup_id_y 0
		.amdhsa_system_sgpr_workgroup_id_z 0
		.amdhsa_system_sgpr_workgroup_info 0
		.amdhsa_system_vgpr_workitem_id 0
		.amdhsa_next_free_vgpr 5
		.amdhsa_next_free_sgpr 16
		.amdhsa_reserve_vcc 1
		.amdhsa_float_round_mode_32 0
		.amdhsa_float_round_mode_16_64 0
		.amdhsa_float_denorm_mode_32 3
		.amdhsa_float_denorm_mode_16_64 3
		.amdhsa_dx10_clamp 1
		.amdhsa_ieee_mode 1
		.amdhsa_fp16_overflow 0
		.amdhsa_workgroup_processor_mode 1
		.amdhsa_memory_ordered 1
		.amdhsa_forward_progress 0
		.amdhsa_shared_vgpr_count 0
		.amdhsa_exception_fp_ieee_invalid_op 0
		.amdhsa_exception_fp_denorm_src 0
		.amdhsa_exception_fp_ieee_div_zero 0
		.amdhsa_exception_fp_ieee_overflow 0
		.amdhsa_exception_fp_ieee_underflow 0
		.amdhsa_exception_fp_ieee_inexact 0
		.amdhsa_exception_int_div_zero 0
	.end_amdhsa_kernel
	.section	.text._ZN7rocprim17ROCPRIM_304000_NS6detail16transform_kernelINS1_24wrapped_transform_configINS0_14default_configElEElPKlPlNS0_8identityIlEEEEvT1_mT2_T3_,"axG",@progbits,_ZN7rocprim17ROCPRIM_304000_NS6detail16transform_kernelINS1_24wrapped_transform_configINS0_14default_configElEElPKlPlNS0_8identityIlEEEEvT1_mT2_T3_,comdat
.Lfunc_end109:
	.size	_ZN7rocprim17ROCPRIM_304000_NS6detail16transform_kernelINS1_24wrapped_transform_configINS0_14default_configElEElPKlPlNS0_8identityIlEEEEvT1_mT2_T3_, .Lfunc_end109-_ZN7rocprim17ROCPRIM_304000_NS6detail16transform_kernelINS1_24wrapped_transform_configINS0_14default_configElEElPKlPlNS0_8identityIlEEEEvT1_mT2_T3_
                                        ; -- End function
	.section	.AMDGPU.csdata,"",@progbits
; Kernel info:
; codeLenInByte = 208
; NumSgprs: 18
; NumVgprs: 5
; ScratchSize: 0
; MemoryBound: 0
; FloatMode: 240
; IeeeMode: 1
; LDSByteSize: 0 bytes/workgroup (compile time only)
; SGPRBlocks: 2
; VGPRBlocks: 0
; NumSGPRsForWavesPerEU: 18
; NumVGPRsForWavesPerEU: 5
; Occupancy: 16
; WaveLimiterHint : 0
; COMPUTE_PGM_RSRC2:SCRATCH_EN: 0
; COMPUTE_PGM_RSRC2:USER_SGPR: 15
; COMPUTE_PGM_RSRC2:TRAP_HANDLER: 0
; COMPUTE_PGM_RSRC2:TGID_X_EN: 1
; COMPUTE_PGM_RSRC2:TGID_Y_EN: 0
; COMPUTE_PGM_RSRC2:TGID_Z_EN: 0
; COMPUTE_PGM_RSRC2:TIDIG_COMP_CNT: 0
	.section	.text._ZN7rocprim17ROCPRIM_304000_NS6detail25onesweep_iteration_kernelINS1_34wrapped_radix_sort_onesweep_configINS0_14default_configElN2at4cuda3cub6detail10OpaqueTypeILi8EEEEELb1EPKlPlPKSA_PSA_mNS0_19identity_decomposerEEEvT1_T2_T3_T4_jPT5_SO_PNS1_23onesweep_lookback_stateET6_jjj,"axG",@progbits,_ZN7rocprim17ROCPRIM_304000_NS6detail25onesweep_iteration_kernelINS1_34wrapped_radix_sort_onesweep_configINS0_14default_configElN2at4cuda3cub6detail10OpaqueTypeILi8EEEEELb1EPKlPlPKSA_PSA_mNS0_19identity_decomposerEEEvT1_T2_T3_T4_jPT5_SO_PNS1_23onesweep_lookback_stateET6_jjj,comdat
	.protected	_ZN7rocprim17ROCPRIM_304000_NS6detail25onesweep_iteration_kernelINS1_34wrapped_radix_sort_onesweep_configINS0_14default_configElN2at4cuda3cub6detail10OpaqueTypeILi8EEEEELb1EPKlPlPKSA_PSA_mNS0_19identity_decomposerEEEvT1_T2_T3_T4_jPT5_SO_PNS1_23onesweep_lookback_stateET6_jjj ; -- Begin function _ZN7rocprim17ROCPRIM_304000_NS6detail25onesweep_iteration_kernelINS1_34wrapped_radix_sort_onesweep_configINS0_14default_configElN2at4cuda3cub6detail10OpaqueTypeILi8EEEEELb1EPKlPlPKSA_PSA_mNS0_19identity_decomposerEEEvT1_T2_T3_T4_jPT5_SO_PNS1_23onesweep_lookback_stateET6_jjj
	.globl	_ZN7rocprim17ROCPRIM_304000_NS6detail25onesweep_iteration_kernelINS1_34wrapped_radix_sort_onesweep_configINS0_14default_configElN2at4cuda3cub6detail10OpaqueTypeILi8EEEEELb1EPKlPlPKSA_PSA_mNS0_19identity_decomposerEEEvT1_T2_T3_T4_jPT5_SO_PNS1_23onesweep_lookback_stateET6_jjj
	.p2align	8
	.type	_ZN7rocprim17ROCPRIM_304000_NS6detail25onesweep_iteration_kernelINS1_34wrapped_radix_sort_onesweep_configINS0_14default_configElN2at4cuda3cub6detail10OpaqueTypeILi8EEEEELb1EPKlPlPKSA_PSA_mNS0_19identity_decomposerEEEvT1_T2_T3_T4_jPT5_SO_PNS1_23onesweep_lookback_stateET6_jjj,@function
_ZN7rocprim17ROCPRIM_304000_NS6detail25onesweep_iteration_kernelINS1_34wrapped_radix_sort_onesweep_configINS0_14default_configElN2at4cuda3cub6detail10OpaqueTypeILi8EEEEELb1EPKlPlPKSA_PSA_mNS0_19identity_decomposerEEEvT1_T2_T3_T4_jPT5_SO_PNS1_23onesweep_lookback_stateET6_jjj: ; @_ZN7rocprim17ROCPRIM_304000_NS6detail25onesweep_iteration_kernelINS1_34wrapped_radix_sort_onesweep_configINS0_14default_configElN2at4cuda3cub6detail10OpaqueTypeILi8EEEEELb1EPKlPlPKSA_PSA_mNS0_19identity_decomposerEEEvT1_T2_T3_T4_jPT5_SO_PNS1_23onesweep_lookback_stateET6_jjj
; %bb.0:
	s_clause 0x3
	s_load_b128 s[28:31], s[0:1], 0x44
	s_load_b256 s[16:23], s[0:1], 0x0
	s_load_b128 s[24:27], s[0:1], 0x28
	s_load_b64 s[12:13], s[0:1], 0x38
	v_and_b32_e32 v9, 0x3ff, v0
	v_mbcnt_lo_u32_b32 v18, -1, 0
	s_waitcnt lgkmcnt(0)
	s_cmp_ge_u32 s15, s30
	s_cbranch_scc0 .LBB110_66
; %bb.1:
	s_load_b32 s14, s[0:1], 0x20
	s_mov_b32 s3, 0
	s_brev_b32 s5, 1
	s_mov_b32 s4, s3
	s_mov_b32 s6, s3
	;; [unrolled: 1-line block ×7, first 2 shown]
	v_lshlrev_b32_e32 v21, 2, v9
	s_lshl_b32 s2, s15, 12
	s_lshl_b32 s33, s30, 12
	v_lshlrev_b32_e32 v19, 3, v18
	s_lshl_b64 s[30:31], s[2:3], 3
	v_and_b32_e32 v1, 0xf80, v21
	s_delay_alu instid0(VALU_DEP_1)
	v_lshlrev_b32_e32 v20, 3, v1
	s_waitcnt lgkmcnt(0)
	s_sub_i32 s33, s14, s33
	s_add_u32 s2, s16, s30
	v_or_b32_e32 v12, v18, v1
	s_addc_u32 s3, s17, s31
	v_add_co_u32 v1, s2, s2, v19
	s_delay_alu instid0(VALU_DEP_1) | instskip(NEXT) | instid1(VALU_DEP_3)
	v_add_co_ci_u32_e64 v2, null, s3, 0, s2
	v_cmp_gt_u32_e32 vcc_lo, s33, v12
	s_delay_alu instid0(VALU_DEP_3) | instskip(NEXT) | instid1(VALU_DEP_1)
	v_add_co_u32 v10, s2, v1, v20
	v_add_co_ci_u32_e64 v11, s2, 0, v2, s2
	v_dual_mov_b32 v1, s4 :: v_dual_mov_b32 v2, s5
	v_dual_mov_b32 v3, s6 :: v_dual_mov_b32 v8, s11
	;; [unrolled: 1-line block ×4, first 2 shown]
	s_and_saveexec_b32 s2, vcc_lo
	s_cbranch_execz .LBB110_3
; %bb.2:
	global_load_b64 v[1:2], v[10:11], off
	v_bfrev_b32_e32 v4, 1
	s_delay_alu instid0(VALU_DEP_1) | instskip(NEXT) | instid1(VALU_DEP_1)
	v_dual_mov_b32 v3, 0 :: v_dual_mov_b32 v6, v4
	v_dual_mov_b32 v5, v3 :: v_dual_mov_b32 v8, v4
	v_mov_b32_e32 v7, v3
.LBB110_3:
	s_or_b32 exec_lo, exec_lo, s2
	v_add_nc_u32_e32 v13, 32, v12
	s_delay_alu instid0(VALU_DEP_1) | instskip(NEXT) | instid1(VALU_DEP_1)
	v_cmp_gt_u32_e64 s2, s33, v13
	s_and_saveexec_b32 s3, s2
	s_cbranch_execz .LBB110_5
; %bb.4:
	global_load_b64 v[3:4], v[10:11], off offset:256
.LBB110_5:
	s_or_b32 exec_lo, exec_lo, s3
	v_add_nc_u32_e32 v13, 64, v12
	s_delay_alu instid0(VALU_DEP_1) | instskip(NEXT) | instid1(VALU_DEP_1)
	v_cmp_gt_u32_e64 s3, s33, v13
	s_and_saveexec_b32 s4, s3
	s_cbranch_execz .LBB110_7
; %bb.6:
	global_load_b64 v[5:6], v[10:11], off offset:512
.LBB110_7:
	;; [unrolled: 9-line block ×3, first 2 shown]
	s_or_b32 exec_lo, exec_lo, s5
	s_clause 0x1
	s_load_b32 s5, s[0:1], 0x5c
	s_load_b32 s14, s[0:1], 0x50
	s_add_u32 s6, s0, 0x50
	s_waitcnt vmcnt(0)
	v_xor_b32_e32 v2, 0x7fffffff, v2
	v_not_b32_e32 v1, v1
	s_addc_u32 s7, s1, 0
	s_delay_alu instid0(VALU_DEP_1) | instskip(SKIP_4) | instid1(SALU_CYCLE_1)
	v_lshrrev_b64 v[10:11], s28, v[1:2]
	s_waitcnt lgkmcnt(0)
	s_lshr_b32 s8, s5, 16
	s_cmp_lt_u32 s15, s14
	s_cselect_b32 s5, 12, 18
	s_add_u32 s6, s6, s5
	s_addc_u32 s7, s7, 0
	s_lshl_b32 s5, -1, s29
	s_delay_alu instid0(SALU_CYCLE_1) | instskip(NEXT) | instid1(SALU_CYCLE_1)
	s_not_b32 s34, s5
	v_and_b32_e32 v14, s34, v10
	v_mov_b32_e32 v12, 0
	v_bfe_u32 v10, v0, 10, 10
	s_delay_alu instid0(VALU_DEP_3)
	v_and_b32_e32 v11, 1, v14
	global_load_u16 v13, v12, s[6:7]
	v_lshlrev_b32_e32 v15, 30, v14
	v_lshlrev_b32_e32 v16, 29, v14
	;; [unrolled: 1-line block ×3, first 2 shown]
	v_add_co_u32 v11, s5, v11, -1
	s_delay_alu instid0(VALU_DEP_1)
	v_cndmask_b32_e64 v22, 0, 1, s5
	v_not_b32_e32 v26, v15
	v_cmp_gt_i32_e64 s6, 0, v15
	v_not_b32_e32 v15, v16
	v_lshlrev_b32_e32 v23, 27, v14
	v_cmp_ne_u32_e64 s5, 0, v22
	v_ashrrev_i32_e32 v26, 31, v26
	v_lshlrev_b32_e32 v24, 26, v14
	v_ashrrev_i32_e32 v15, 31, v15
	v_lshlrev_b32_e32 v25, 25, v14
	v_xor_b32_e32 v11, s5, v11
	v_cmp_gt_i32_e64 s5, 0, v16
	v_not_b32_e32 v16, v17
	v_xor_b32_e32 v26, s6, v26
	v_cmp_gt_i32_e64 s6, 0, v17
	v_and_b32_e32 v11, exec_lo, v11
	v_not_b32_e32 v17, v23
	v_ashrrev_i32_e32 v16, 31, v16
	v_xor_b32_e32 v15, s5, v15
	v_cmp_gt_i32_e64 s5, 0, v23
	v_and_b32_e32 v11, v11, v26
	v_not_b32_e32 v23, v24
	v_ashrrev_i32_e32 v17, 31, v17
	v_xor_b32_e32 v16, s6, v16
	v_lshlrev_b32_e32 v22, 24, v14
	v_and_b32_e32 v11, v11, v15
	v_cmp_gt_i32_e64 s6, 0, v24
	v_not_b32_e32 v15, v25
	v_ashrrev_i32_e32 v23, 31, v23
	v_xor_b32_e32 v17, s5, v17
	v_and_b32_e32 v11, v11, v16
	v_cmp_gt_i32_e64 s5, 0, v25
	v_not_b32_e32 v16, v22
	v_ashrrev_i32_e32 v15, 31, v15
	v_xor_b32_e32 v23, s6, v23
	v_and_b32_e32 v11, v11, v17
	v_bfe_u32 v17, v0, 20, 10
	v_cmp_gt_i32_e64 s6, 0, v22
	v_ashrrev_i32_e32 v16, 31, v16
	v_xor_b32_e32 v15, s5, v15
	v_and_b32_e32 v11, v11, v23
	v_mad_u32_u24 v17, v17, s8, v10
	v_mul_u32_u24_e32 v22, 9, v9
	v_xor_b32_e32 v16, s6, v16
	s_delay_alu instid0(VALU_DEP_4) | instskip(NEXT) | instid1(VALU_DEP_3)
	v_and_b32_e32 v15, v11, v15
	v_lshlrev_b32_e32 v23, 2, v22
	ds_store_2addr_b32 v23, v12, v12 offset0:32 offset1:33
	ds_store_2addr_b32 v23, v12, v12 offset0:34 offset1:35
	;; [unrolled: 1-line block ×4, first 2 shown]
	ds_store_b32 v23, v12 offset:160
	v_lshl_add_u32 v12, v14, 5, v14
	s_waitcnt vmcnt(0) lgkmcnt(0)
	s_barrier
	buffer_gl0_inv
	; wave barrier
	v_mad_u64_u32 v[10:11], null, v17, v13, v[9:10]
	v_and_b32_e32 v11, v15, v16
	s_delay_alu instid0(VALU_DEP_1) | instskip(NEXT) | instid1(VALU_DEP_3)
	v_mbcnt_lo_u32_b32 v22, v11, 0
	v_lshrrev_b32_e32 v10, 5, v10
	v_cmp_ne_u32_e64 s6, 0, v11
	s_delay_alu instid0(VALU_DEP_3) | instskip(NEXT) | instid1(VALU_DEP_3)
	v_cmp_eq_u32_e64 s5, 0, v22
	v_add_lshl_u32 v24, v10, v12, 2
	s_delay_alu instid0(VALU_DEP_2) | instskip(NEXT) | instid1(SALU_CYCLE_1)
	s_and_b32 s6, s6, s5
	s_and_saveexec_b32 s5, s6
	s_cbranch_execz .LBB110_11
; %bb.10:
	v_bcnt_u32_b32 v11, v11, 0
	ds_store_b32 v24, v11 offset:128
.LBB110_11:
	s_or_b32 exec_lo, exec_lo, s5
	v_xor_b32_e32 v4, 0x7fffffff, v4
	v_not_b32_e32 v3, v3
	; wave barrier
	s_delay_alu instid0(VALU_DEP_1) | instskip(NEXT) | instid1(VALU_DEP_1)
	v_lshrrev_b64 v[11:12], s28, v[3:4]
	v_and_b32_e32 v11, s34, v11
	s_delay_alu instid0(VALU_DEP_1)
	v_and_b32_e32 v12, 1, v11
	v_lshlrev_b32_e32 v13, 30, v11
	v_lshlrev_b32_e32 v14, 29, v11
	;; [unrolled: 1-line block ×4, first 2 shown]
	v_add_co_u32 v12, s5, v12, -1
	s_delay_alu instid0(VALU_DEP_1)
	v_cndmask_b32_e64 v16, 0, 1, s5
	v_not_b32_e32 v27, v13
	v_cmp_gt_i32_e64 s6, 0, v13
	v_not_b32_e32 v13, v14
	v_lshlrev_b32_e32 v25, 26, v11
	v_cmp_ne_u32_e64 s5, 0, v16
	v_ashrrev_i32_e32 v27, 31, v27
	v_lshlrev_b32_e32 v26, 25, v11
	v_ashrrev_i32_e32 v13, 31, v13
	v_lshlrev_b32_e32 v16, 24, v11
	v_xor_b32_e32 v12, s5, v12
	v_cmp_gt_i32_e64 s5, 0, v14
	v_not_b32_e32 v14, v15
	v_xor_b32_e32 v27, s6, v27
	v_cmp_gt_i32_e64 s6, 0, v15
	v_and_b32_e32 v12, exec_lo, v12
	v_not_b32_e32 v15, v17
	v_ashrrev_i32_e32 v14, 31, v14
	v_xor_b32_e32 v13, s5, v13
	v_cmp_gt_i32_e64 s5, 0, v17
	v_and_b32_e32 v12, v12, v27
	v_not_b32_e32 v17, v25
	v_ashrrev_i32_e32 v15, 31, v15
	v_xor_b32_e32 v14, s6, v14
	v_cmp_gt_i32_e64 s6, 0, v25
	v_and_b32_e32 v12, v12, v13
	;; [unrolled: 5-line block ×3, first 2 shown]
	v_not_b32_e32 v14, v16
	v_ashrrev_i32_e32 v13, 31, v13
	v_xor_b32_e32 v17, s6, v17
	v_lshl_add_u32 v11, v11, 5, v11
	v_and_b32_e32 v12, v12, v15
	v_cmp_gt_i32_e64 s6, 0, v16
	v_ashrrev_i32_e32 v14, 31, v14
	v_xor_b32_e32 v13, s5, v13
	v_add_lshl_u32 v27, v10, v11, 2
	v_and_b32_e32 v12, v12, v17
	s_delay_alu instid0(VALU_DEP_4) | instskip(SKIP_2) | instid1(VALU_DEP_1)
	v_xor_b32_e32 v11, s6, v14
	ds_load_b32 v25, v27 offset:128
	v_and_b32_e32 v12, v12, v13
	; wave barrier
	v_and_b32_e32 v11, v12, v11
	s_delay_alu instid0(VALU_DEP_1) | instskip(SKIP_1) | instid1(VALU_DEP_2)
	v_mbcnt_lo_u32_b32 v26, v11, 0
	v_cmp_ne_u32_e64 s6, 0, v11
	v_cmp_eq_u32_e64 s5, 0, v26
	s_delay_alu instid0(VALU_DEP_1) | instskip(NEXT) | instid1(SALU_CYCLE_1)
	s_and_b32 s6, s6, s5
	s_and_saveexec_b32 s5, s6
	s_cbranch_execz .LBB110_13
; %bb.12:
	s_waitcnt lgkmcnt(0)
	v_bcnt_u32_b32 v11, v11, v25
	ds_store_b32 v27, v11 offset:128
.LBB110_13:
	s_or_b32 exec_lo, exec_lo, s5
	v_xor_b32_e32 v6, 0x7fffffff, v6
	v_not_b32_e32 v5, v5
	; wave barrier
	s_delay_alu instid0(VALU_DEP_1) | instskip(NEXT) | instid1(VALU_DEP_1)
	v_lshrrev_b64 v[11:12], s28, v[5:6]
	v_and_b32_e32 v11, s34, v11
	s_delay_alu instid0(VALU_DEP_1)
	v_and_b32_e32 v12, 1, v11
	v_lshlrev_b32_e32 v13, 30, v11
	v_lshlrev_b32_e32 v14, 29, v11
	v_lshlrev_b32_e32 v15, 28, v11
	v_lshlrev_b32_e32 v17, 27, v11
	v_add_co_u32 v12, s5, v12, -1
	s_delay_alu instid0(VALU_DEP_1)
	v_cndmask_b32_e64 v16, 0, 1, s5
	v_not_b32_e32 v30, v13
	v_cmp_gt_i32_e64 s6, 0, v13
	v_not_b32_e32 v13, v14
	v_lshlrev_b32_e32 v28, 26, v11
	v_cmp_ne_u32_e64 s5, 0, v16
	v_ashrrev_i32_e32 v30, 31, v30
	v_lshlrev_b32_e32 v29, 25, v11
	v_ashrrev_i32_e32 v13, 31, v13
	v_lshlrev_b32_e32 v16, 24, v11
	v_xor_b32_e32 v12, s5, v12
	v_cmp_gt_i32_e64 s5, 0, v14
	v_not_b32_e32 v14, v15
	v_xor_b32_e32 v30, s6, v30
	v_cmp_gt_i32_e64 s6, 0, v15
	v_and_b32_e32 v12, exec_lo, v12
	v_not_b32_e32 v15, v17
	v_ashrrev_i32_e32 v14, 31, v14
	v_xor_b32_e32 v13, s5, v13
	v_cmp_gt_i32_e64 s5, 0, v17
	v_and_b32_e32 v12, v12, v30
	v_not_b32_e32 v17, v28
	v_ashrrev_i32_e32 v15, 31, v15
	v_xor_b32_e32 v14, s6, v14
	v_cmp_gt_i32_e64 s6, 0, v28
	v_and_b32_e32 v12, v12, v13
	;; [unrolled: 5-line block ×3, first 2 shown]
	v_not_b32_e32 v14, v16
	v_ashrrev_i32_e32 v13, 31, v13
	v_xor_b32_e32 v17, s6, v17
	v_lshl_add_u32 v11, v11, 5, v11
	v_and_b32_e32 v12, v12, v15
	v_cmp_gt_i32_e64 s6, 0, v16
	v_ashrrev_i32_e32 v14, 31, v14
	v_xor_b32_e32 v13, s5, v13
	v_add_lshl_u32 v30, v10, v11, 2
	v_and_b32_e32 v12, v12, v17
	s_delay_alu instid0(VALU_DEP_4) | instskip(SKIP_2) | instid1(VALU_DEP_1)
	v_xor_b32_e32 v11, s6, v14
	ds_load_b32 v28, v30 offset:128
	v_and_b32_e32 v12, v12, v13
	; wave barrier
	v_and_b32_e32 v11, v12, v11
	s_delay_alu instid0(VALU_DEP_1) | instskip(SKIP_1) | instid1(VALU_DEP_2)
	v_mbcnt_lo_u32_b32 v29, v11, 0
	v_cmp_ne_u32_e64 s6, 0, v11
	v_cmp_eq_u32_e64 s5, 0, v29
	s_delay_alu instid0(VALU_DEP_1) | instskip(NEXT) | instid1(SALU_CYCLE_1)
	s_and_b32 s6, s6, s5
	s_and_saveexec_b32 s5, s6
	s_cbranch_execz .LBB110_15
; %bb.14:
	s_waitcnt lgkmcnt(0)
	v_bcnt_u32_b32 v11, v11, v28
	ds_store_b32 v30, v11 offset:128
.LBB110_15:
	s_or_b32 exec_lo, exec_lo, s5
	v_xor_b32_e32 v8, 0x7fffffff, v8
	v_not_b32_e32 v7, v7
	; wave barrier
	v_add_nc_u32_e32 v34, 0x80, v23
	s_delay_alu instid0(VALU_DEP_2) | instskip(NEXT) | instid1(VALU_DEP_1)
	v_lshrrev_b64 v[11:12], s28, v[7:8]
	v_and_b32_e32 v11, s34, v11
	s_delay_alu instid0(VALU_DEP_1)
	v_and_b32_e32 v12, 1, v11
	v_lshlrev_b32_e32 v13, 30, v11
	v_lshlrev_b32_e32 v14, 29, v11
	;; [unrolled: 1-line block ×4, first 2 shown]
	v_add_co_u32 v12, s5, v12, -1
	s_delay_alu instid0(VALU_DEP_1)
	v_cndmask_b32_e64 v16, 0, 1, s5
	v_not_b32_e32 v33, v13
	v_cmp_gt_i32_e64 s6, 0, v13
	v_not_b32_e32 v13, v14
	v_lshlrev_b32_e32 v31, 26, v11
	v_cmp_ne_u32_e64 s5, 0, v16
	v_ashrrev_i32_e32 v33, 31, v33
	v_lshlrev_b32_e32 v32, 25, v11
	v_ashrrev_i32_e32 v13, 31, v13
	v_lshlrev_b32_e32 v16, 24, v11
	v_xor_b32_e32 v12, s5, v12
	v_cmp_gt_i32_e64 s5, 0, v14
	v_not_b32_e32 v14, v15
	v_xor_b32_e32 v33, s6, v33
	v_cmp_gt_i32_e64 s6, 0, v15
	v_and_b32_e32 v12, exec_lo, v12
	v_not_b32_e32 v15, v17
	v_ashrrev_i32_e32 v14, 31, v14
	v_xor_b32_e32 v13, s5, v13
	v_cmp_gt_i32_e64 s5, 0, v17
	v_and_b32_e32 v12, v12, v33
	v_not_b32_e32 v17, v31
	v_ashrrev_i32_e32 v15, 31, v15
	v_xor_b32_e32 v14, s6, v14
	v_cmp_gt_i32_e64 s6, 0, v31
	v_and_b32_e32 v12, v12, v13
	;; [unrolled: 5-line block ×3, first 2 shown]
	v_not_b32_e32 v14, v16
	v_ashrrev_i32_e32 v13, 31, v13
	v_xor_b32_e32 v17, s6, v17
	v_lshl_add_u32 v11, v11, 5, v11
	v_and_b32_e32 v12, v12, v15
	v_cmp_gt_i32_e64 s6, 0, v16
	v_ashrrev_i32_e32 v14, 31, v14
	v_xor_b32_e32 v13, s5, v13
	v_add_lshl_u32 v33, v10, v11, 2
	v_and_b32_e32 v12, v12, v17
	s_delay_alu instid0(VALU_DEP_4) | instskip(SKIP_2) | instid1(VALU_DEP_1)
	v_xor_b32_e32 v10, s6, v14
	ds_load_b32 v31, v33 offset:128
	v_and_b32_e32 v11, v12, v13
	; wave barrier
	v_and_b32_e32 v10, v11, v10
	s_delay_alu instid0(VALU_DEP_1) | instskip(SKIP_1) | instid1(VALU_DEP_2)
	v_mbcnt_lo_u32_b32 v32, v10, 0
	v_cmp_ne_u32_e64 s6, 0, v10
	v_cmp_eq_u32_e64 s5, 0, v32
	s_delay_alu instid0(VALU_DEP_1) | instskip(NEXT) | instid1(SALU_CYCLE_1)
	s_and_b32 s6, s6, s5
	s_and_saveexec_b32 s5, s6
	s_cbranch_execz .LBB110_17
; %bb.16:
	s_waitcnt lgkmcnt(0)
	v_bcnt_u32_b32 v10, v10, v31
	ds_store_b32 v33, v10 offset:128
.LBB110_17:
	s_or_b32 exec_lo, exec_lo, s5
	; wave barrier
	s_waitcnt lgkmcnt(0)
	s_barrier
	buffer_gl0_inv
	ds_load_2addr_b32 v[16:17], v23 offset0:32 offset1:33
	ds_load_2addr_b32 v[14:15], v34 offset0:2 offset1:3
	;; [unrolled: 1-line block ×4, first 2 shown]
	ds_load_b32 v35, v34 offset:32
	v_and_b32_e32 v38, 16, v18
	v_and_b32_e32 v39, 31, v9
	s_mov_b32 s11, exec_lo
	s_delay_alu instid0(VALU_DEP_2) | instskip(SKIP_3) | instid1(VALU_DEP_1)
	v_cmp_eq_u32_e64 s9, 0, v38
	s_waitcnt lgkmcnt(3)
	v_add3_u32 v36, v17, v16, v14
	s_waitcnt lgkmcnt(2)
	v_add3_u32 v36, v36, v15, v12
	s_waitcnt lgkmcnt(1)
	s_delay_alu instid0(VALU_DEP_1) | instskip(SKIP_1) | instid1(VALU_DEP_1)
	v_add3_u32 v36, v36, v13, v10
	s_waitcnt lgkmcnt(0)
	v_add3_u32 v35, v36, v11, v35
	v_and_b32_e32 v36, 15, v18
	s_delay_alu instid0(VALU_DEP_2) | instskip(NEXT) | instid1(VALU_DEP_2)
	v_mov_b32_dpp v37, v35 row_shr:1 row_mask:0xf bank_mask:0xf
	v_cmp_eq_u32_e64 s5, 0, v36
	v_cmp_lt_u32_e64 s6, 1, v36
	v_cmp_lt_u32_e64 s7, 3, v36
	;; [unrolled: 1-line block ×3, first 2 shown]
	s_delay_alu instid0(VALU_DEP_4) | instskip(NEXT) | instid1(VALU_DEP_1)
	v_cndmask_b32_e64 v37, v37, 0, s5
	v_add_nc_u32_e32 v35, v37, v35
	s_delay_alu instid0(VALU_DEP_1) | instskip(NEXT) | instid1(VALU_DEP_1)
	v_mov_b32_dpp v37, v35 row_shr:2 row_mask:0xf bank_mask:0xf
	v_cndmask_b32_e64 v37, 0, v37, s6
	s_delay_alu instid0(VALU_DEP_1) | instskip(NEXT) | instid1(VALU_DEP_1)
	v_add_nc_u32_e32 v35, v35, v37
	v_mov_b32_dpp v37, v35 row_shr:4 row_mask:0xf bank_mask:0xf
	s_delay_alu instid0(VALU_DEP_1) | instskip(NEXT) | instid1(VALU_DEP_1)
	v_cndmask_b32_e64 v37, 0, v37, s7
	v_add_nc_u32_e32 v35, v35, v37
	s_delay_alu instid0(VALU_DEP_1) | instskip(NEXT) | instid1(VALU_DEP_1)
	v_mov_b32_dpp v37, v35 row_shr:8 row_mask:0xf bank_mask:0xf
	v_cndmask_b32_e64 v36, 0, v37, s8
	v_bfe_i32 v37, v18, 4, 1
	s_delay_alu instid0(VALU_DEP_2) | instskip(SKIP_4) | instid1(VALU_DEP_2)
	v_add_nc_u32_e32 v35, v35, v36
	ds_swizzle_b32 v36, v35 offset:swizzle(BROADCAST,32,15)
	s_waitcnt lgkmcnt(0)
	v_and_b32_e32 v37, v37, v36
	v_lshrrev_b32_e32 v36, 5, v9
	v_add_nc_u32_e32 v35, v35, v37
	v_cmpx_eq_u32_e32 31, v39
	s_cbranch_execz .LBB110_19
; %bb.18:
	s_delay_alu instid0(VALU_DEP_3)
	v_lshlrev_b32_e32 v37, 2, v36
	ds_store_b32 v37, v35
.LBB110_19:
	s_or_b32 exec_lo, exec_lo, s11
	v_cmp_lt_u32_e64 s10, 31, v9
	s_mov_b32 s35, exec_lo
	s_waitcnt lgkmcnt(0)
	s_barrier
	buffer_gl0_inv
	v_cmpx_gt_u32_e32 32, v9
	s_cbranch_execz .LBB110_21
; %bb.20:
	ds_load_b32 v37, v21
	s_waitcnt lgkmcnt(0)
	v_mov_b32_dpp v38, v37 row_shr:1 row_mask:0xf bank_mask:0xf
	s_delay_alu instid0(VALU_DEP_1) | instskip(NEXT) | instid1(VALU_DEP_1)
	v_cndmask_b32_e64 v38, v38, 0, s5
	v_add_nc_u32_e32 v37, v38, v37
	s_delay_alu instid0(VALU_DEP_1) | instskip(NEXT) | instid1(VALU_DEP_1)
	v_mov_b32_dpp v38, v37 row_shr:2 row_mask:0xf bank_mask:0xf
	v_cndmask_b32_e64 v38, 0, v38, s6
	s_delay_alu instid0(VALU_DEP_1) | instskip(NEXT) | instid1(VALU_DEP_1)
	v_add_nc_u32_e32 v37, v37, v38
	v_mov_b32_dpp v38, v37 row_shr:4 row_mask:0xf bank_mask:0xf
	s_delay_alu instid0(VALU_DEP_1) | instskip(NEXT) | instid1(VALU_DEP_1)
	v_cndmask_b32_e64 v38, 0, v38, s7
	v_add_nc_u32_e32 v37, v37, v38
	s_delay_alu instid0(VALU_DEP_1) | instskip(NEXT) | instid1(VALU_DEP_1)
	v_mov_b32_dpp v38, v37 row_shr:8 row_mask:0xf bank_mask:0xf
	v_cndmask_b32_e64 v38, 0, v38, s8
	s_delay_alu instid0(VALU_DEP_1) | instskip(SKIP_3) | instid1(VALU_DEP_1)
	v_add_nc_u32_e32 v37, v37, v38
	ds_swizzle_b32 v38, v37 offset:swizzle(BROADCAST,32,15)
	s_waitcnt lgkmcnt(0)
	v_cndmask_b32_e64 v38, v38, 0, s9
	v_add_nc_u32_e32 v37, v37, v38
	ds_store_b32 v21, v37
.LBB110_21:
	s_or_b32 exec_lo, exec_lo, s35
	v_mov_b32_e32 v21, 0
	s_waitcnt lgkmcnt(0)
	s_barrier
	buffer_gl0_inv
	s_and_saveexec_b32 s5, s10
	s_cbranch_execz .LBB110_23
; %bb.22:
	v_lshl_add_u32 v21, v36, 2, -4
	ds_load_b32 v21, v21
.LBB110_23:
	s_or_b32 exec_lo, exec_lo, s5
	v_add_nc_u32_e32 v36, -1, v18
	s_waitcnt lgkmcnt(0)
	v_add_nc_u32_e32 v35, v21, v35
	s_delay_alu instid0(VALU_DEP_2) | instskip(NEXT) | instid1(VALU_DEP_1)
	v_cmp_gt_i32_e64 s5, 0, v36
	v_cndmask_b32_e64 v36, v36, v18, s5
	v_cmp_eq_u32_e64 s5, 0, v18
	s_delay_alu instid0(VALU_DEP_2) | instskip(SKIP_4) | instid1(VALU_DEP_1)
	v_lshlrev_b32_e32 v36, 2, v36
	ds_bpermute_b32 v35, v36, v35
	s_waitcnt lgkmcnt(0)
	v_cndmask_b32_e64 v21, v35, v21, s5
	v_cmp_ne_u32_e64 s5, 0, v9
	v_cndmask_b32_e64 v21, 0, v21, s5
	v_cmp_gt_u32_e64 s5, 0x100, v9
	s_delay_alu instid0(VALU_DEP_2) | instskip(NEXT) | instid1(VALU_DEP_1)
	v_add_nc_u32_e32 v16, v21, v16
	v_add_nc_u32_e32 v17, v16, v17
	s_delay_alu instid0(VALU_DEP_1) | instskip(NEXT) | instid1(VALU_DEP_1)
	v_add_nc_u32_e32 v14, v17, v14
	v_add_nc_u32_e32 v15, v14, v15
	s_delay_alu instid0(VALU_DEP_1) | instskip(NEXT) | instid1(VALU_DEP_1)
	;; [unrolled: 3-line block ×3, first 2 shown]
	v_add_nc_u32_e32 v10, v13, v10
	v_add_nc_u32_e32 v11, v10, v11
	ds_store_2addr_b32 v23, v21, v16 offset0:32 offset1:33
	ds_store_2addr_b32 v34, v17, v14 offset0:2 offset1:3
	;; [unrolled: 1-line block ×4, first 2 shown]
	ds_store_b32 v34, v11 offset:32
	s_waitcnt lgkmcnt(0)
	s_barrier
	buffer_gl0_inv
	ds_load_b32 v14, v24 offset:128
	ds_load_b32 v15, v27 offset:128
	;; [unrolled: 1-line block ×4, first 2 shown]
                                        ; implicit-def: $vgpr12
                                        ; implicit-def: $vgpr13
	s_and_saveexec_b32 s7, s5
	s_cbranch_execz .LBB110_27
; %bb.24:
	v_mul_u32_u24_e32 v12, 33, v9
	s_mov_b32 s8, exec_lo
	s_delay_alu instid0(VALU_DEP_1)
	v_dual_mov_b32 v13, 0x1000 :: v_dual_lshlrev_b32 v16, 2, v12
	ds_load_b32 v12, v16 offset:128
	v_cmpx_ne_u32_e32 0xff, v9
	s_cbranch_execz .LBB110_26
; %bb.25:
	ds_load_b32 v13, v16 offset:260
.LBB110_26:
	s_or_b32 exec_lo, exec_lo, s8
	s_waitcnt lgkmcnt(0)
	v_sub_nc_u32_e32 v13, v13, v12
.LBB110_27:
	s_or_b32 exec_lo, exec_lo, s7
	v_add_nc_u32_e32 v17, v32, v31
	v_add_nc_u32_e32 v16, v26, v25
	;; [unrolled: 1-line block ×3, first 2 shown]
	s_waitcnt lgkmcnt(3)
	v_add_lshl_u32 v14, v14, v22, 3
	s_waitcnt lgkmcnt(0)
	v_add_lshl_u32 v17, v17, v10, 3
	v_add_lshl_u32 v15, v16, v15, 3
	;; [unrolled: 1-line block ×3, first 2 shown]
	s_barrier
	buffer_gl0_inv
	ds_store_b64 v14, v[1:2] offset:2048
	ds_store_b64 v15, v[3:4] offset:2048
	ds_store_b64 v16, v[5:6] offset:2048
	ds_store_b64 v17, v[7:8] offset:2048
	s_waitcnt lgkmcnt(0)
	s_barrier
	buffer_gl0_inv
	s_and_saveexec_b32 s7, s5
	s_cbranch_execz .LBB110_37
; %bb.28:
	v_lshl_or_b32 v3, s15, 8, v9
	v_dual_mov_b32 v4, 0 :: v_dual_mov_b32 v7, 0
	s_mov_b32 s8, 0
	s_mov_b32 s9, s15
	s_delay_alu instid0(VALU_DEP_1) | instskip(SKIP_1) | instid1(VALU_DEP_2)
	v_lshlrev_b64 v[1:2], 2, v[3:4]
	v_or_b32_e32 v3, 2.0, v13
	v_add_co_u32 v1, s6, s12, v1
	s_delay_alu instid0(VALU_DEP_1)
	v_add_co_ci_u32_e64 v2, s6, s13, v2, s6
                                        ; implicit-def: $sgpr6
	global_store_b32 v[1:2], v3, off
	s_branch .LBB110_30
	.p2align	6
.LBB110_29:                             ;   in Loop: Header=BB110_30 Depth=1
	s_or_b32 exec_lo, exec_lo, s10
	v_and_b32_e32 v5, 0x3fffffff, v8
	v_cmp_eq_u32_e64 s6, 0x80000000, v3
	s_delay_alu instid0(VALU_DEP_2) | instskip(NEXT) | instid1(VALU_DEP_2)
	v_add_nc_u32_e32 v7, v5, v7
	s_and_b32 s10, exec_lo, s6
	s_delay_alu instid0(SALU_CYCLE_1) | instskip(NEXT) | instid1(SALU_CYCLE_1)
	s_or_b32 s8, s10, s8
	s_and_not1_b32 exec_lo, exec_lo, s8
	s_cbranch_execz .LBB110_36
.LBB110_30:                             ; =>This Loop Header: Depth=1
                                        ;     Child Loop BB110_33 Depth 2
	s_or_b32 s6, s6, exec_lo
	s_cmp_eq_u32 s9, 0
	s_cbranch_scc1 .LBB110_35
; %bb.31:                               ;   in Loop: Header=BB110_30 Depth=1
	s_add_i32 s9, s9, -1
	s_mov_b32 s10, exec_lo
	v_lshl_or_b32 v3, s9, 8, v9
	s_delay_alu instid0(VALU_DEP_1) | instskip(NEXT) | instid1(VALU_DEP_1)
	v_lshlrev_b64 v[5:6], 2, v[3:4]
	v_add_co_u32 v5, s6, s12, v5
	s_delay_alu instid0(VALU_DEP_1) | instskip(SKIP_3) | instid1(VALU_DEP_1)
	v_add_co_ci_u32_e64 v6, s6, s13, v6, s6
	global_load_b32 v8, v[5:6], off glc
	s_waitcnt vmcnt(0)
	v_and_b32_e32 v3, -2.0, v8
	v_cmpx_eq_u32_e32 0, v3
	s_cbranch_execz .LBB110_29
; %bb.32:                               ;   in Loop: Header=BB110_30 Depth=1
	s_mov_b32 s11, 0
.LBB110_33:                             ;   Parent Loop BB110_30 Depth=1
                                        ; =>  This Inner Loop Header: Depth=2
	global_load_b32 v8, v[5:6], off glc
	s_waitcnt vmcnt(0)
	v_and_b32_e32 v3, -2.0, v8
	s_delay_alu instid0(VALU_DEP_1) | instskip(NEXT) | instid1(VALU_DEP_1)
	v_cmp_ne_u32_e64 s6, 0, v3
	s_or_b32 s11, s6, s11
	s_delay_alu instid0(SALU_CYCLE_1)
	s_and_not1_b32 exec_lo, exec_lo, s11
	s_cbranch_execnz .LBB110_33
; %bb.34:                               ;   in Loop: Header=BB110_30 Depth=1
	s_or_b32 exec_lo, exec_lo, s11
	s_branch .LBB110_29
.LBB110_35:                             ;   in Loop: Header=BB110_30 Depth=1
                                        ; implicit-def: $sgpr9
	s_and_b32 s10, exec_lo, s6
	s_delay_alu instid0(SALU_CYCLE_1) | instskip(NEXT) | instid1(SALU_CYCLE_1)
	s_or_b32 s8, s10, s8
	s_and_not1_b32 exec_lo, exec_lo, s8
	s_cbranch_execnz .LBB110_30
.LBB110_36:
	s_or_b32 exec_lo, exec_lo, s8
	v_add_nc_u32_e32 v3, v7, v13
	v_lshlrev_b32_e32 v4, 3, v9
	s_delay_alu instid0(VALU_DEP_2) | instskip(SKIP_3) | instid1(VALU_DEP_1)
	v_or_b32_e32 v3, 0x80000000, v3
	global_store_b32 v[1:2], v3, off
	global_load_b64 v[1:2], v4, s[24:25]
	v_sub_co_u32 v3, s6, v7, v12
	v_sub_co_ci_u32_e64 v5, null, 0, 0, s6
	s_waitcnt vmcnt(0)
	s_delay_alu instid0(VALU_DEP_2) | instskip(NEXT) | instid1(VALU_DEP_1)
	v_add_co_u32 v1, s6, v3, v1
	v_add_co_ci_u32_e64 v2, s6, v5, v2, s6
	ds_store_b64 v4, v[1:2]
.LBB110_37:
	s_or_b32 exec_lo, exec_lo, s7
	v_cmp_gt_u32_e64 s6, s33, v9
	v_lshlrev_b32_e32 v21, 3, v9
	s_waitcnt lgkmcnt(0)
	s_waitcnt_vscnt null, 0x0
	s_barrier
	buffer_gl0_inv
	s_and_saveexec_b32 s8, s6
	s_cbranch_execz .LBB110_39
; %bb.38:
	ds_load_b64 v[1:2], v21 offset:2048
	s_waitcnt lgkmcnt(0)
	v_lshrrev_b64 v[3:4], s28, v[1:2]
	v_xor_b32_e32 v2, 0x7fffffff, v2
	v_not_b32_e32 v1, v1
	s_delay_alu instid0(VALU_DEP_3) | instskip(NEXT) | instid1(VALU_DEP_1)
	v_and_b32_e32 v3, s34, v3
	v_lshlrev_b32_e32 v3, 3, v3
	ds_load_b64 v[3:4], v3
	s_waitcnt lgkmcnt(0)
	v_lshlrev_b64 v[3:4], 3, v[3:4]
	s_delay_alu instid0(VALU_DEP_1) | instskip(NEXT) | instid1(VALU_DEP_1)
	v_add_co_u32 v3, s7, s18, v3
	v_add_co_ci_u32_e64 v4, s7, s19, v4, s7
	s_delay_alu instid0(VALU_DEP_2) | instskip(NEXT) | instid1(VALU_DEP_1)
	v_add_co_u32 v3, s7, v3, v21
	v_add_co_ci_u32_e64 v4, s7, 0, v4, s7
	global_store_b64 v[3:4], v[1:2], off
.LBB110_39:
	s_or_b32 exec_lo, exec_lo, s8
	v_or_b32_e32 v1, 0x400, v9
	s_delay_alu instid0(VALU_DEP_1) | instskip(SKIP_1) | instid1(VALU_DEP_2)
	v_cmp_gt_u32_e64 s7, s33, v1
	v_lshlrev_b32_e32 v22, 3, v1
	s_and_saveexec_b32 s9, s7
	s_cbranch_execz .LBB110_41
; %bb.40:
	ds_load_b64 v[1:2], v21 offset:10240
	s_waitcnt lgkmcnt(0)
	v_lshrrev_b64 v[3:4], s28, v[1:2]
	v_xor_b32_e32 v2, 0x7fffffff, v2
	v_not_b32_e32 v1, v1
	s_delay_alu instid0(VALU_DEP_3) | instskip(NEXT) | instid1(VALU_DEP_1)
	v_and_b32_e32 v3, s34, v3
	v_lshlrev_b32_e32 v3, 3, v3
	ds_load_b64 v[3:4], v3
	s_waitcnt lgkmcnt(0)
	v_lshlrev_b64 v[3:4], 3, v[3:4]
	s_delay_alu instid0(VALU_DEP_1) | instskip(NEXT) | instid1(VALU_DEP_1)
	v_add_co_u32 v3, s8, s18, v3
	v_add_co_ci_u32_e64 v4, s8, s19, v4, s8
	s_delay_alu instid0(VALU_DEP_2) | instskip(NEXT) | instid1(VALU_DEP_1)
	v_add_co_u32 v3, s8, v3, v22
	v_add_co_ci_u32_e64 v4, s8, 0, v4, s8
	global_store_b64 v[3:4], v[1:2], off
.LBB110_41:
	s_or_b32 exec_lo, exec_lo, s9
	v_or_b32_e32 v1, 0x800, v9
	s_delay_alu instid0(VALU_DEP_1) | instskip(SKIP_1) | instid1(VALU_DEP_2)
	v_cmp_gt_u32_e64 s8, s33, v1
	v_lshlrev_b32_e32 v23, 3, v1
	;; [unrolled: 27-line block ×3, first 2 shown]
	s_and_saveexec_b32 s11, s9
	s_cbranch_execz .LBB110_45
; %bb.44:
	ds_load_b64 v[1:2], v21 offset:26624
	s_waitcnt lgkmcnt(0)
	v_lshrrev_b64 v[3:4], s28, v[1:2]
	v_xor_b32_e32 v2, 0x7fffffff, v2
	v_not_b32_e32 v1, v1
	s_delay_alu instid0(VALU_DEP_3) | instskip(NEXT) | instid1(VALU_DEP_1)
	v_and_b32_e32 v3, s34, v3
	v_lshlrev_b32_e32 v3, 3, v3
	ds_load_b64 v[3:4], v3
	s_waitcnt lgkmcnt(0)
	v_lshlrev_b64 v[3:4], 3, v[3:4]
	s_delay_alu instid0(VALU_DEP_1) | instskip(NEXT) | instid1(VALU_DEP_1)
	v_add_co_u32 v3, s10, s18, v3
	v_add_co_ci_u32_e64 v4, s10, s19, v4, s10
	s_delay_alu instid0(VALU_DEP_2) | instskip(NEXT) | instid1(VALU_DEP_1)
	v_add_co_u32 v3, s10, v3, v24
	v_add_co_ci_u32_e64 v4, s10, 0, v4, s10
	global_store_b64 v[3:4], v[1:2], off
.LBB110_45:
	s_or_b32 exec_lo, exec_lo, s11
	s_add_u32 s10, s20, s30
	s_addc_u32 s11, s21, s31
	v_add_co_u32 v1, s10, s10, v19
	s_delay_alu instid0(VALU_DEP_1) | instskip(NEXT) | instid1(VALU_DEP_2)
	v_add_co_ci_u32_e64 v2, null, s11, 0, s10
	v_add_co_u32 v10, s10, v1, v20
	s_delay_alu instid0(VALU_DEP_1) | instskip(SKIP_1) | instid1(SALU_CYCLE_1)
	v_add_co_ci_u32_e64 v11, s10, 0, v2, s10
                                        ; implicit-def: $vgpr1_vgpr2
	s_and_saveexec_b32 s10, vcc_lo
	s_xor_b32 s10, exec_lo, s10
	s_cbranch_execnz .LBB110_103
; %bb.46:
	s_or_b32 exec_lo, exec_lo, s10
                                        ; implicit-def: $vgpr3_vgpr4
	s_and_saveexec_b32 s10, s2
	s_cbranch_execnz .LBB110_104
.LBB110_47:
	s_or_b32 exec_lo, exec_lo, s10
                                        ; implicit-def: $vgpr5_vgpr6
	s_and_saveexec_b32 s2, s3
	s_cbranch_execnz .LBB110_105
.LBB110_48:
	s_or_b32 exec_lo, exec_lo, s2
                                        ; implicit-def: $vgpr7_vgpr8
	s_and_saveexec_b32 s2, s4
	s_cbranch_execz .LBB110_50
.LBB110_49:
	global_load_b64 v[7:8], v[10:11], off offset:768
.LBB110_50:
	s_or_b32 exec_lo, exec_lo, s2
	v_dual_mov_b32 v11, 0 :: v_dual_mov_b32 v20, 0
	s_and_saveexec_b32 s2, s6
	s_cbranch_execz .LBB110_52
; %bb.51:
	ds_load_b64 v[19:20], v21 offset:2048
	s_waitcnt lgkmcnt(0)
	v_lshrrev_b64 v[19:20], s28, v[19:20]
	s_delay_alu instid0(VALU_DEP_1)
	v_and_b32_e32 v20, s34, v19
.LBB110_52:
	s_or_b32 exec_lo, exec_lo, s2
	s_and_saveexec_b32 s2, s7
	s_cbranch_execz .LBB110_54
; %bb.53:
	ds_load_b64 v[10:11], v21 offset:10240
	s_waitcnt lgkmcnt(0)
	v_lshrrev_b64 v[10:11], s28, v[10:11]
	s_delay_alu instid0(VALU_DEP_1)
	v_and_b32_e32 v11, s34, v10
.LBB110_54:
	s_or_b32 exec_lo, exec_lo, s2
	v_dual_mov_b32 v10, 0 :: v_dual_mov_b32 v19, 0
	s_and_saveexec_b32 s2, s8
	s_cbranch_execz .LBB110_56
; %bb.55:
	ds_load_b64 v[25:26], v21 offset:18432
	s_waitcnt lgkmcnt(0)
	v_lshrrev_b64 v[25:26], s28, v[25:26]
	s_delay_alu instid0(VALU_DEP_1)
	v_and_b32_e32 v19, s34, v25
.LBB110_56:
	s_or_b32 exec_lo, exec_lo, s2
	s_and_saveexec_b32 s2, s9
	s_cbranch_execz .LBB110_58
; %bb.57:
	ds_load_b64 v[25:26], v21 offset:26624
	s_waitcnt lgkmcnt(0)
	v_lshrrev_b64 v[25:26], s28, v[25:26]
	s_delay_alu instid0(VALU_DEP_1)
	v_and_b32_e32 v10, s34, v25
.LBB110_58:
	s_or_b32 exec_lo, exec_lo, s2
	s_waitcnt vmcnt(0)
	s_waitcnt_vscnt null, 0x0
	s_barrier
	buffer_gl0_inv
	ds_store_b64 v14, v[1:2] offset:2048
	ds_store_b64 v15, v[3:4] offset:2048
	;; [unrolled: 1-line block ×4, first 2 shown]
	s_waitcnt lgkmcnt(0)
	s_barrier
	buffer_gl0_inv
	s_and_saveexec_b32 s2, s6
	s_cbranch_execnz .LBB110_106
; %bb.59:
	s_or_b32 exec_lo, exec_lo, s2
	s_and_saveexec_b32 s2, s7
	s_cbranch_execnz .LBB110_107
.LBB110_60:
	s_or_b32 exec_lo, exec_lo, s2
	s_and_saveexec_b32 s2, s8
	s_cbranch_execnz .LBB110_108
.LBB110_61:
	s_or_b32 exec_lo, exec_lo, s2
	s_and_saveexec_b32 s2, s9
	s_cbranch_execz .LBB110_63
.LBB110_62:
	v_lshlrev_b32_e32 v1, 3, v10
	ds_load_b64 v[1:2], v1
	ds_load_b64 v[3:4], v21 offset:26624
	s_waitcnt lgkmcnt(1)
	v_lshlrev_b64 v[1:2], 3, v[1:2]
	s_delay_alu instid0(VALU_DEP_1) | instskip(NEXT) | instid1(VALU_DEP_2)
	v_add_co_u32 v1, vcc_lo, s22, v1
	v_add_co_ci_u32_e32 v2, vcc_lo, s23, v2, vcc_lo
	s_delay_alu instid0(VALU_DEP_2) | instskip(NEXT) | instid1(VALU_DEP_2)
	v_add_co_u32 v1, vcc_lo, v1, v24
	v_add_co_ci_u32_e32 v2, vcc_lo, 0, v2, vcc_lo
	s_waitcnt lgkmcnt(0)
	global_store_b64 v[1:2], v[3:4], off
.LBB110_63:
	s_or_b32 exec_lo, exec_lo, s2
	s_add_i32 s14, s14, -1
	s_mov_b32 s2, 0
	s_cmp_eq_u32 s15, s14
	s_mov_b32 s8, 0
	s_cselect_b32 s3, -1, 0
                                        ; implicit-def: $vgpr1_vgpr2
	s_delay_alu instid0(SALU_CYCLE_1) | instskip(NEXT) | instid1(SALU_CYCLE_1)
	s_and_b32 s3, s5, s3
	s_and_saveexec_b32 s4, s3
	s_delay_alu instid0(SALU_CYCLE_1)
	s_xor_b32 s3, exec_lo, s4
; %bb.64:
	v_add_co_u32 v1, s4, v12, v13
	v_mov_b32_e32 v10, 0
	v_add_co_ci_u32_e64 v2, null, 0, 0, s4
	s_mov_b32 s8, exec_lo
; %bb.65:
	s_or_b32 exec_lo, exec_lo, s3
	s_delay_alu instid0(SALU_CYCLE_1)
	s_and_b32 vcc_lo, exec_lo, s2
	s_cbranch_vccnz .LBB110_67
	s_branch .LBB110_100
.LBB110_66:
	s_mov_b32 s8, 0
                                        ; implicit-def: $vgpr1_vgpr2
	s_cbranch_execz .LBB110_100
.LBB110_67:
	v_lshlrev_b32_e32 v21, 2, v9
	s_lshl_b32 s2, s15, 12
	s_mov_b32 s3, 0
	v_dual_mov_b32 v13, 0 :: v_dual_lshlrev_b32 v20, 3, v18
	s_delay_alu instid0(VALU_DEP_2) | instskip(SKIP_1) | instid1(SALU_CYCLE_1)
	v_and_b32_e32 v1, 0xf80, v21
	s_lshl_b64 s[6:7], s[2:3], 3
	s_add_u32 s2, s16, s6
	s_addc_u32 s3, s17, s7
	s_delay_alu instid0(VALU_DEP_1) | instskip(SKIP_1) | instid1(VALU_DEP_1)
	v_lshlrev_b32_e32 v19, 3, v1
	v_add_co_u32 v1, s2, s2, v20
	v_add_co_ci_u32_e64 v2, null, s3, 0, s2
	s_delay_alu instid0(VALU_DEP_2) | instskip(NEXT) | instid1(VALU_DEP_2)
	v_add_co_u32 v1, vcc_lo, v1, v19
	v_add_co_ci_u32_e32 v2, vcc_lo, 0, v2, vcc_lo
	global_load_b64 v[10:11], v[1:2], off
	s_clause 0x1
	s_load_b32 s2, s[0:1], 0x5c
	s_load_b32 s9, s[0:1], 0x50
	s_add_u32 s0, s0, 0x50
	s_addc_u32 s1, s1, 0
	s_waitcnt lgkmcnt(0)
	s_lshr_b32 s2, s2, 16
	s_cmp_lt_u32 s15, s9
	s_cselect_b32 s3, 12, 18
	s_delay_alu instid0(SALU_CYCLE_1)
	s_add_u32 s0, s0, s3
	s_addc_u32 s1, s1, 0
	global_load_u16 v14, v13, s[0:1]
	s_clause 0x2
	global_load_b64 v[3:4], v[1:2], off offset:256
	global_load_b64 v[7:8], v[1:2], off offset:512
	;; [unrolled: 1-line block ×3, first 2 shown]
	s_lshl_b32 s0, -1, s29
	s_delay_alu instid0(SALU_CYCLE_1) | instskip(SKIP_3) | instid1(VALU_DEP_1)
	s_not_b32 s10, s0
	s_waitcnt vmcnt(4)
	v_xor_b32_e32 v2, 0x7fffffff, v11
	v_not_b32_e32 v1, v10
	v_lshrrev_b64 v[10:11], s28, v[1:2]
	s_delay_alu instid0(VALU_DEP_1) | instskip(SKIP_2) | instid1(VALU_DEP_3)
	v_and_b32_e32 v15, s10, v10
	v_bfe_u32 v10, v0, 10, 10
	v_bfe_u32 v0, v0, 20, 10
	v_and_b32_e32 v11, 1, v15
	v_lshlrev_b32_e32 v12, 30, v15
	v_lshlrev_b32_e32 v16, 29, v15
	v_lshlrev_b32_e32 v17, 28, v15
	v_lshlrev_b32_e32 v23, 27, v15
	v_add_co_u32 v11, s0, v11, -1
	s_delay_alu instid0(VALU_DEP_1)
	v_cndmask_b32_e64 v22, 0, 1, s0
	v_not_b32_e32 v26, v12
	v_cmp_gt_i32_e64 s0, 0, v12
	v_not_b32_e32 v12, v16
	v_lshlrev_b32_e32 v24, 26, v15
	v_cmp_ne_u32_e32 vcc_lo, 0, v22
	v_ashrrev_i32_e32 v26, 31, v26
	v_lshlrev_b32_e32 v25, 25, v15
	v_ashrrev_i32_e32 v12, 31, v12
	v_lshlrev_b32_e32 v22, 24, v15
	v_xor_b32_e32 v11, vcc_lo, v11
	v_cmp_gt_i32_e32 vcc_lo, 0, v16
	v_not_b32_e32 v16, v17
	v_xor_b32_e32 v26, s0, v26
	v_cmp_gt_i32_e64 s0, 0, v17
	v_and_b32_e32 v11, exec_lo, v11
	v_not_b32_e32 v17, v23
	v_ashrrev_i32_e32 v16, 31, v16
	v_xor_b32_e32 v12, vcc_lo, v12
	v_cmp_gt_i32_e32 vcc_lo, 0, v23
	v_and_b32_e32 v11, v11, v26
	v_not_b32_e32 v23, v24
	v_ashrrev_i32_e32 v17, 31, v17
	v_xor_b32_e32 v16, s0, v16
	v_cmp_gt_i32_e64 s0, 0, v24
	v_and_b32_e32 v11, v11, v12
	v_not_b32_e32 v12, v25
	v_ashrrev_i32_e32 v23, 31, v23
	v_xor_b32_e32 v17, vcc_lo, v17
	v_cmp_gt_i32_e32 vcc_lo, 0, v25
	v_and_b32_e32 v11, v11, v16
	v_not_b32_e32 v16, v22
	v_ashrrev_i32_e32 v12, 31, v12
	v_xor_b32_e32 v23, s0, v23
	v_cmp_gt_i32_e64 s0, 0, v22
	v_and_b32_e32 v11, v11, v17
	v_ashrrev_i32_e32 v16, 31, v16
	v_xor_b32_e32 v12, vcc_lo, v12
	v_mad_u32_u24 v0, v0, s2, v10
	v_mul_u32_u24_e32 v17, 9, v9
	v_and_b32_e32 v11, v11, v23
	v_xor_b32_e32 v10, s0, v16
	s_delay_alu instid0(VALU_DEP_3) | instskip(NEXT) | instid1(VALU_DEP_3)
	v_lshlrev_b32_e32 v22, 2, v17
	v_and_b32_e32 v16, v11, v12
	s_waitcnt vmcnt(3)
	s_delay_alu instid0(VALU_DEP_3)
	v_mad_u64_u32 v[11:12], null, v0, v14, v[9:10]
	ds_store_2addr_b32 v22, v13, v13 offset0:32 offset1:33
	ds_store_2addr_b32 v22, v13, v13 offset0:34 offset1:35
	;; [unrolled: 1-line block ×4, first 2 shown]
	v_and_b32_e32 v10, v16, v10
	ds_store_b32 v22, v13 offset:160
	s_waitcnt vmcnt(0) lgkmcnt(0)
	s_waitcnt_vscnt null, 0x0
	s_barrier
	v_lshrrev_b32_e32 v12, 5, v11
	v_mbcnt_lo_u32_b32 v0, v10, 0
	v_lshl_add_u32 v11, v15, 5, v15
	v_cmp_ne_u32_e64 s0, 0, v10
	buffer_gl0_inv
	v_cmp_eq_u32_e32 vcc_lo, 0, v0
	v_add_lshl_u32 v23, v12, v11, 2
	; wave barrier
	s_and_b32 s1, s0, vcc_lo
	s_delay_alu instid0(SALU_CYCLE_1)
	s_and_saveexec_b32 s0, s1
	s_cbranch_execz .LBB110_69
; %bb.68:
	v_bcnt_u32_b32 v10, v10, 0
	ds_store_b32 v23, v10 offset:128
.LBB110_69:
	s_or_b32 exec_lo, exec_lo, s0
	v_xor_b32_e32 v4, 0x7fffffff, v4
	v_not_b32_e32 v3, v3
	; wave barrier
	s_delay_alu instid0(VALU_DEP_1) | instskip(NEXT) | instid1(VALU_DEP_1)
	v_lshrrev_b64 v[10:11], s28, v[3:4]
	v_and_b32_e32 v10, s10, v10
	s_delay_alu instid0(VALU_DEP_1)
	v_and_b32_e32 v11, 1, v10
	v_lshlrev_b32_e32 v13, 30, v10
	v_lshlrev_b32_e32 v14, 29, v10
	;; [unrolled: 1-line block ×4, first 2 shown]
	v_add_co_u32 v11, s0, v11, -1
	s_delay_alu instid0(VALU_DEP_1)
	v_cndmask_b32_e64 v16, 0, 1, s0
	v_not_b32_e32 v26, v13
	v_cmp_gt_i32_e64 s0, 0, v13
	v_not_b32_e32 v13, v14
	v_lshlrev_b32_e32 v24, 26, v10
	v_cmp_ne_u32_e32 vcc_lo, 0, v16
	v_ashrrev_i32_e32 v26, 31, v26
	v_lshlrev_b32_e32 v25, 25, v10
	v_ashrrev_i32_e32 v13, 31, v13
	v_lshlrev_b32_e32 v16, 24, v10
	v_xor_b32_e32 v11, vcc_lo, v11
	v_cmp_gt_i32_e32 vcc_lo, 0, v14
	v_not_b32_e32 v14, v15
	v_xor_b32_e32 v26, s0, v26
	v_cmp_gt_i32_e64 s0, 0, v15
	v_and_b32_e32 v11, exec_lo, v11
	v_not_b32_e32 v15, v17
	v_ashrrev_i32_e32 v14, 31, v14
	v_xor_b32_e32 v13, vcc_lo, v13
	v_cmp_gt_i32_e32 vcc_lo, 0, v17
	v_and_b32_e32 v11, v11, v26
	v_not_b32_e32 v17, v24
	v_ashrrev_i32_e32 v15, 31, v15
	v_xor_b32_e32 v14, s0, v14
	v_cmp_gt_i32_e64 s0, 0, v24
	v_and_b32_e32 v11, v11, v13
	v_not_b32_e32 v13, v25
	v_ashrrev_i32_e32 v17, 31, v17
	v_xor_b32_e32 v15, vcc_lo, v15
	v_cmp_gt_i32_e32 vcc_lo, 0, v25
	v_and_b32_e32 v11, v11, v14
	v_not_b32_e32 v14, v16
	v_ashrrev_i32_e32 v13, 31, v13
	v_xor_b32_e32 v17, s0, v17
	v_lshl_add_u32 v10, v10, 5, v10
	v_and_b32_e32 v11, v11, v15
	v_cmp_gt_i32_e64 s0, 0, v16
	v_ashrrev_i32_e32 v14, 31, v14
	v_xor_b32_e32 v13, vcc_lo, v13
	v_add_lshl_u32 v26, v12, v10, 2
	v_and_b32_e32 v11, v11, v17
	s_delay_alu instid0(VALU_DEP_4) | instskip(SKIP_2) | instid1(VALU_DEP_1)
	v_xor_b32_e32 v10, s0, v14
	ds_load_b32 v24, v26 offset:128
	v_and_b32_e32 v11, v11, v13
	; wave barrier
	v_and_b32_e32 v10, v11, v10
	s_delay_alu instid0(VALU_DEP_1) | instskip(SKIP_1) | instid1(VALU_DEP_2)
	v_mbcnt_lo_u32_b32 v25, v10, 0
	v_cmp_ne_u32_e64 s0, 0, v10
	v_cmp_eq_u32_e32 vcc_lo, 0, v25
	s_delay_alu instid0(VALU_DEP_2) | instskip(NEXT) | instid1(SALU_CYCLE_1)
	s_and_b32 s1, s0, vcc_lo
	s_and_saveexec_b32 s0, s1
	s_cbranch_execz .LBB110_71
; %bb.70:
	s_waitcnt lgkmcnt(0)
	v_bcnt_u32_b32 v10, v10, v24
	ds_store_b32 v26, v10 offset:128
.LBB110_71:
	s_or_b32 exec_lo, exec_lo, s0
	v_xor_b32_e32 v8, 0x7fffffff, v8
	v_not_b32_e32 v7, v7
	; wave barrier
	s_delay_alu instid0(VALU_DEP_1) | instskip(NEXT) | instid1(VALU_DEP_1)
	v_lshrrev_b64 v[10:11], s28, v[7:8]
	v_and_b32_e32 v10, s10, v10
	s_delay_alu instid0(VALU_DEP_1)
	v_and_b32_e32 v11, 1, v10
	v_lshlrev_b32_e32 v13, 30, v10
	v_lshlrev_b32_e32 v14, 29, v10
	;; [unrolled: 1-line block ×4, first 2 shown]
	v_add_co_u32 v11, s0, v11, -1
	s_delay_alu instid0(VALU_DEP_1)
	v_cndmask_b32_e64 v16, 0, 1, s0
	v_not_b32_e32 v29, v13
	v_cmp_gt_i32_e64 s0, 0, v13
	v_not_b32_e32 v13, v14
	v_lshlrev_b32_e32 v27, 26, v10
	v_cmp_ne_u32_e32 vcc_lo, 0, v16
	v_ashrrev_i32_e32 v29, 31, v29
	v_lshlrev_b32_e32 v28, 25, v10
	v_ashrrev_i32_e32 v13, 31, v13
	v_lshlrev_b32_e32 v16, 24, v10
	v_xor_b32_e32 v11, vcc_lo, v11
	v_cmp_gt_i32_e32 vcc_lo, 0, v14
	v_not_b32_e32 v14, v15
	v_xor_b32_e32 v29, s0, v29
	v_cmp_gt_i32_e64 s0, 0, v15
	v_and_b32_e32 v11, exec_lo, v11
	v_not_b32_e32 v15, v17
	v_ashrrev_i32_e32 v14, 31, v14
	v_xor_b32_e32 v13, vcc_lo, v13
	v_cmp_gt_i32_e32 vcc_lo, 0, v17
	v_and_b32_e32 v11, v11, v29
	v_not_b32_e32 v17, v27
	v_ashrrev_i32_e32 v15, 31, v15
	v_xor_b32_e32 v14, s0, v14
	v_cmp_gt_i32_e64 s0, 0, v27
	v_and_b32_e32 v11, v11, v13
	v_not_b32_e32 v13, v28
	v_ashrrev_i32_e32 v17, 31, v17
	v_xor_b32_e32 v15, vcc_lo, v15
	v_cmp_gt_i32_e32 vcc_lo, 0, v28
	v_and_b32_e32 v11, v11, v14
	v_not_b32_e32 v14, v16
	v_ashrrev_i32_e32 v13, 31, v13
	v_xor_b32_e32 v17, s0, v17
	v_lshl_add_u32 v10, v10, 5, v10
	v_and_b32_e32 v11, v11, v15
	v_cmp_gt_i32_e64 s0, 0, v16
	v_ashrrev_i32_e32 v14, 31, v14
	v_xor_b32_e32 v13, vcc_lo, v13
	v_add_lshl_u32 v29, v12, v10, 2
	v_and_b32_e32 v11, v11, v17
	s_delay_alu instid0(VALU_DEP_4) | instskip(SKIP_2) | instid1(VALU_DEP_1)
	v_xor_b32_e32 v10, s0, v14
	ds_load_b32 v27, v29 offset:128
	v_and_b32_e32 v11, v11, v13
	; wave barrier
	v_and_b32_e32 v10, v11, v10
	s_delay_alu instid0(VALU_DEP_1) | instskip(SKIP_1) | instid1(VALU_DEP_2)
	v_mbcnt_lo_u32_b32 v28, v10, 0
	v_cmp_ne_u32_e64 s0, 0, v10
	v_cmp_eq_u32_e32 vcc_lo, 0, v28
	s_delay_alu instid0(VALU_DEP_2) | instskip(NEXT) | instid1(SALU_CYCLE_1)
	s_and_b32 s1, s0, vcc_lo
	s_and_saveexec_b32 s0, s1
	s_cbranch_execz .LBB110_73
; %bb.72:
	s_waitcnt lgkmcnt(0)
	v_bcnt_u32_b32 v10, v10, v27
	ds_store_b32 v29, v10 offset:128
.LBB110_73:
	s_or_b32 exec_lo, exec_lo, s0
	v_xor_b32_e32 v11, 0x7fffffff, v6
	v_not_b32_e32 v10, v5
	; wave barrier
	v_add_nc_u32_e32 v33, 0x80, v22
	s_delay_alu instid0(VALU_DEP_2) | instskip(NEXT) | instid1(VALU_DEP_1)
	v_lshrrev_b64 v[5:6], s28, v[10:11]
	v_and_b32_e32 v5, s10, v5
	s_delay_alu instid0(VALU_DEP_1)
	v_and_b32_e32 v6, 1, v5
	v_lshlrev_b32_e32 v13, 30, v5
	v_lshlrev_b32_e32 v14, 29, v5
	;; [unrolled: 1-line block ×4, first 2 shown]
	v_add_co_u32 v6, s0, v6, -1
	s_delay_alu instid0(VALU_DEP_1)
	v_cndmask_b32_e64 v16, 0, 1, s0
	v_not_b32_e32 v32, v13
	v_cmp_gt_i32_e64 s0, 0, v13
	v_not_b32_e32 v13, v14
	v_lshlrev_b32_e32 v30, 26, v5
	v_cmp_ne_u32_e32 vcc_lo, 0, v16
	v_ashrrev_i32_e32 v32, 31, v32
	v_lshlrev_b32_e32 v31, 25, v5
	v_ashrrev_i32_e32 v13, 31, v13
	v_lshlrev_b32_e32 v16, 24, v5
	v_xor_b32_e32 v6, vcc_lo, v6
	v_cmp_gt_i32_e32 vcc_lo, 0, v14
	v_not_b32_e32 v14, v15
	v_xor_b32_e32 v32, s0, v32
	v_cmp_gt_i32_e64 s0, 0, v15
	v_and_b32_e32 v6, exec_lo, v6
	v_not_b32_e32 v15, v17
	v_ashrrev_i32_e32 v14, 31, v14
	v_xor_b32_e32 v13, vcc_lo, v13
	v_cmp_gt_i32_e32 vcc_lo, 0, v17
	v_and_b32_e32 v6, v6, v32
	v_not_b32_e32 v17, v30
	v_ashrrev_i32_e32 v15, 31, v15
	v_xor_b32_e32 v14, s0, v14
	v_cmp_gt_i32_e64 s0, 0, v30
	v_and_b32_e32 v6, v6, v13
	v_not_b32_e32 v13, v31
	v_ashrrev_i32_e32 v17, 31, v17
	v_xor_b32_e32 v15, vcc_lo, v15
	v_cmp_gt_i32_e32 vcc_lo, 0, v31
	v_and_b32_e32 v6, v6, v14
	v_not_b32_e32 v14, v16
	v_ashrrev_i32_e32 v13, 31, v13
	v_xor_b32_e32 v17, s0, v17
	v_lshl_add_u32 v5, v5, 5, v5
	v_and_b32_e32 v6, v6, v15
	v_cmp_gt_i32_e64 s0, 0, v16
	v_ashrrev_i32_e32 v14, 31, v14
	v_xor_b32_e32 v13, vcc_lo, v13
	v_add_lshl_u32 v32, v12, v5, 2
	v_and_b32_e32 v6, v6, v17
	s_delay_alu instid0(VALU_DEP_4) | instskip(SKIP_2) | instid1(VALU_DEP_1)
	v_xor_b32_e32 v5, s0, v14
	ds_load_b32 v30, v32 offset:128
	v_and_b32_e32 v6, v6, v13
	; wave barrier
	v_and_b32_e32 v5, v6, v5
	s_delay_alu instid0(VALU_DEP_1) | instskip(SKIP_1) | instid1(VALU_DEP_2)
	v_mbcnt_lo_u32_b32 v31, v5, 0
	v_cmp_ne_u32_e64 s0, 0, v5
	v_cmp_eq_u32_e32 vcc_lo, 0, v31
	s_delay_alu instid0(VALU_DEP_2) | instskip(NEXT) | instid1(SALU_CYCLE_1)
	s_and_b32 s1, s0, vcc_lo
	s_and_saveexec_b32 s0, s1
	s_cbranch_execz .LBB110_75
; %bb.74:
	s_waitcnt lgkmcnt(0)
	v_bcnt_u32_b32 v5, v5, v30
	ds_store_b32 v32, v5 offset:128
.LBB110_75:
	s_or_b32 exec_lo, exec_lo, s0
	; wave barrier
	s_waitcnt lgkmcnt(0)
	s_barrier
	buffer_gl0_inv
	ds_load_2addr_b32 v[16:17], v22 offset0:32 offset1:33
	ds_load_2addr_b32 v[14:15], v33 offset0:2 offset1:3
	;; [unrolled: 1-line block ×4, first 2 shown]
	ds_load_b32 v34, v33 offset:32
	v_and_b32_e32 v37, 16, v18
	v_and_b32_e32 v38, 31, v9
	s_mov_b32 s5, exec_lo
	s_delay_alu instid0(VALU_DEP_2) | instskip(SKIP_3) | instid1(VALU_DEP_1)
	v_cmp_eq_u32_e64 s3, 0, v37
	s_waitcnt lgkmcnt(3)
	v_add3_u32 v35, v17, v16, v14
	s_waitcnt lgkmcnt(2)
	v_add3_u32 v35, v35, v15, v12
	s_waitcnt lgkmcnt(1)
	s_delay_alu instid0(VALU_DEP_1) | instskip(SKIP_1) | instid1(VALU_DEP_1)
	v_add3_u32 v35, v35, v13, v5
	s_waitcnt lgkmcnt(0)
	v_add3_u32 v34, v35, v6, v34
	v_and_b32_e32 v35, 15, v18
	s_delay_alu instid0(VALU_DEP_2) | instskip(NEXT) | instid1(VALU_DEP_2)
	v_mov_b32_dpp v36, v34 row_shr:1 row_mask:0xf bank_mask:0xf
	v_cmp_eq_u32_e32 vcc_lo, 0, v35
	v_cmp_lt_u32_e64 s0, 1, v35
	v_cmp_lt_u32_e64 s1, 3, v35
	;; [unrolled: 1-line block ×3, first 2 shown]
	v_cndmask_b32_e64 v36, v36, 0, vcc_lo
	s_delay_alu instid0(VALU_DEP_1) | instskip(NEXT) | instid1(VALU_DEP_1)
	v_add_nc_u32_e32 v34, v36, v34
	v_mov_b32_dpp v36, v34 row_shr:2 row_mask:0xf bank_mask:0xf
	s_delay_alu instid0(VALU_DEP_1) | instskip(NEXT) | instid1(VALU_DEP_1)
	v_cndmask_b32_e64 v36, 0, v36, s0
	v_add_nc_u32_e32 v34, v34, v36
	s_delay_alu instid0(VALU_DEP_1) | instskip(NEXT) | instid1(VALU_DEP_1)
	v_mov_b32_dpp v36, v34 row_shr:4 row_mask:0xf bank_mask:0xf
	v_cndmask_b32_e64 v36, 0, v36, s1
	s_delay_alu instid0(VALU_DEP_1) | instskip(NEXT) | instid1(VALU_DEP_1)
	v_add_nc_u32_e32 v34, v34, v36
	v_mov_b32_dpp v36, v34 row_shr:8 row_mask:0xf bank_mask:0xf
	s_delay_alu instid0(VALU_DEP_1) | instskip(SKIP_1) | instid1(VALU_DEP_2)
	v_cndmask_b32_e64 v35, 0, v36, s2
	v_bfe_i32 v36, v18, 4, 1
	v_add_nc_u32_e32 v34, v34, v35
	ds_swizzle_b32 v35, v34 offset:swizzle(BROADCAST,32,15)
	s_waitcnt lgkmcnt(0)
	v_and_b32_e32 v36, v36, v35
	v_lshrrev_b32_e32 v35, 5, v9
	s_delay_alu instid0(VALU_DEP_2)
	v_add_nc_u32_e32 v34, v34, v36
	v_cmpx_eq_u32_e32 31, v38
	s_cbranch_execz .LBB110_77
; %bb.76:
	s_delay_alu instid0(VALU_DEP_3)
	v_lshlrev_b32_e32 v36, 2, v35
	ds_store_b32 v36, v34
.LBB110_77:
	s_or_b32 exec_lo, exec_lo, s5
	v_cmp_lt_u32_e64 s4, 31, v9
	s_mov_b32 s11, exec_lo
	s_waitcnt lgkmcnt(0)
	s_barrier
	buffer_gl0_inv
	v_cmpx_gt_u32_e32 32, v9
	s_cbranch_execz .LBB110_79
; %bb.78:
	ds_load_b32 v36, v21
	s_waitcnt lgkmcnt(0)
	v_mov_b32_dpp v37, v36 row_shr:1 row_mask:0xf bank_mask:0xf
	s_delay_alu instid0(VALU_DEP_1) | instskip(NEXT) | instid1(VALU_DEP_1)
	v_cndmask_b32_e64 v37, v37, 0, vcc_lo
	v_add_nc_u32_e32 v36, v37, v36
	s_delay_alu instid0(VALU_DEP_1) | instskip(NEXT) | instid1(VALU_DEP_1)
	v_mov_b32_dpp v37, v36 row_shr:2 row_mask:0xf bank_mask:0xf
	v_cndmask_b32_e64 v37, 0, v37, s0
	s_delay_alu instid0(VALU_DEP_1) | instskip(NEXT) | instid1(VALU_DEP_1)
	v_add_nc_u32_e32 v36, v36, v37
	v_mov_b32_dpp v37, v36 row_shr:4 row_mask:0xf bank_mask:0xf
	s_delay_alu instid0(VALU_DEP_1) | instskip(NEXT) | instid1(VALU_DEP_1)
	v_cndmask_b32_e64 v37, 0, v37, s1
	v_add_nc_u32_e32 v36, v36, v37
	s_delay_alu instid0(VALU_DEP_1) | instskip(NEXT) | instid1(VALU_DEP_1)
	v_mov_b32_dpp v37, v36 row_shr:8 row_mask:0xf bank_mask:0xf
	v_cndmask_b32_e64 v37, 0, v37, s2
	s_delay_alu instid0(VALU_DEP_1) | instskip(SKIP_3) | instid1(VALU_DEP_1)
	v_add_nc_u32_e32 v36, v36, v37
	ds_swizzle_b32 v37, v36 offset:swizzle(BROADCAST,32,15)
	s_waitcnt lgkmcnt(0)
	v_cndmask_b32_e64 v37, v37, 0, s3
	v_add_nc_u32_e32 v36, v36, v37
	ds_store_b32 v21, v36
.LBB110_79:
	s_or_b32 exec_lo, exec_lo, s11
	v_mov_b32_e32 v21, 0
	s_waitcnt lgkmcnt(0)
	s_barrier
	buffer_gl0_inv
	s_and_saveexec_b32 s0, s4
	s_cbranch_execz .LBB110_81
; %bb.80:
	v_lshl_add_u32 v21, v35, 2, -4
	ds_load_b32 v21, v21
.LBB110_81:
	s_or_b32 exec_lo, exec_lo, s0
	v_add_nc_u32_e32 v35, -1, v18
	s_waitcnt lgkmcnt(0)
	v_add_nc_u32_e32 v34, v21, v34
	v_cmp_lt_u32_e64 s0, 0xff, v9
	s_delay_alu instid0(VALU_DEP_3) | instskip(SKIP_2) | instid1(VALU_DEP_2)
	v_cmp_gt_i32_e32 vcc_lo, 0, v35
	v_cndmask_b32_e32 v35, v35, v18, vcc_lo
	v_cmp_eq_u32_e32 vcc_lo, 0, v18
	v_lshlrev_b32_e32 v35, 2, v35
	ds_bpermute_b32 v34, v35, v34
	s_waitcnt lgkmcnt(0)
	v_cndmask_b32_e32 v18, v34, v21, vcc_lo
	v_cmp_ne_u32_e32 vcc_lo, 0, v9
	s_delay_alu instid0(VALU_DEP_2) | instskip(SKIP_1) | instid1(VALU_DEP_2)
	v_cndmask_b32_e32 v18, 0, v18, vcc_lo
	v_cmp_gt_u32_e32 vcc_lo, 0x100, v9
	v_add_nc_u32_e32 v16, v18, v16
	s_delay_alu instid0(VALU_DEP_1) | instskip(NEXT) | instid1(VALU_DEP_1)
	v_add_nc_u32_e32 v17, v16, v17
	v_add_nc_u32_e32 v14, v17, v14
	s_delay_alu instid0(VALU_DEP_1) | instskip(NEXT) | instid1(VALU_DEP_1)
	v_add_nc_u32_e32 v15, v14, v15
	;; [unrolled: 3-line block ×3, first 2 shown]
	v_add_nc_u32_e32 v5, v13, v5
	s_delay_alu instid0(VALU_DEP_1)
	v_add_nc_u32_e32 v6, v5, v6
	ds_store_2addr_b32 v22, v18, v16 offset0:32 offset1:33
	ds_store_2addr_b32 v33, v17, v14 offset0:2 offset1:3
	;; [unrolled: 1-line block ×4, first 2 shown]
	ds_store_b32 v33, v6 offset:32
	s_waitcnt lgkmcnt(0)
	s_barrier
	buffer_gl0_inv
	ds_load_b32 v13, v23 offset:128
	ds_load_b32 v14, v26 offset:128
	;; [unrolled: 1-line block ×4, first 2 shown]
	v_mov_b32_e32 v5, 0
	v_mov_b32_e32 v6, 0
                                        ; implicit-def: $vgpr12
	s_and_saveexec_b32 s2, vcc_lo
	s_cbranch_execz .LBB110_85
; %bb.82:
	v_mul_u32_u24_e32 v5, 33, v9
	v_mov_b32_e32 v6, 0x1000
	s_mov_b32 s3, exec_lo
	s_delay_alu instid0(VALU_DEP_2)
	v_lshlrev_b32_e32 v12, 2, v5
	ds_load_b32 v5, v12 offset:128
	v_cmpx_ne_u32_e32 0xff, v9
	s_cbranch_execz .LBB110_84
; %bb.83:
	ds_load_b32 v6, v12 offset:260
.LBB110_84:
	s_or_b32 exec_lo, exec_lo, s3
	s_waitcnt lgkmcnt(0)
	v_sub_nc_u32_e32 v12, v6, v5
	v_mov_b32_e32 v6, 0
.LBB110_85:
	s_or_b32 exec_lo, exec_lo, s2
	v_add_nc_u32_e32 v17, v31, v30
	v_add_nc_u32_e32 v18, v25, v24
	;; [unrolled: 1-line block ×3, first 2 shown]
	s_waitcnt lgkmcnt(3)
	v_add_lshl_u32 v13, v13, v0, 3
	s_waitcnt lgkmcnt(0)
	v_add_lshl_u32 v16, v17, v16, 3
	v_add_lshl_u32 v14, v18, v14, 3
	;; [unrolled: 1-line block ×3, first 2 shown]
	s_barrier
	buffer_gl0_inv
	ds_store_b64 v13, v[1:2] offset:2048
	ds_store_b64 v14, v[3:4] offset:2048
	;; [unrolled: 1-line block ×4, first 2 shown]
	s_waitcnt lgkmcnt(0)
	s_barrier
	buffer_gl0_inv
	s_and_saveexec_b32 s1, s0
	s_delay_alu instid0(SALU_CYCLE_1)
	s_xor_b32 s0, exec_lo, s1
; %bb.86:
	v_mov_b32_e32 v10, 0
; %bb.87:
	s_and_not1_saveexec_b32 s1, s0
	s_cbranch_execz .LBB110_97
; %bb.88:
	v_lshl_or_b32 v2, s15, 8, v9
	v_dual_mov_b32 v3, 0 :: v_dual_mov_b32 v4, 0
	s_mov_b32 s2, 0
	s_mov_b32 s3, s15
	s_delay_alu instid0(VALU_DEP_1) | instskip(SKIP_1) | instid1(VALU_DEP_2)
	v_lshlrev_b64 v[0:1], 2, v[2:3]
	v_or_b32_e32 v2, 2.0, v12
	v_add_co_u32 v0, s0, s12, v0
	s_delay_alu instid0(VALU_DEP_1)
	v_add_co_ci_u32_e64 v1, s0, s13, v1, s0
                                        ; implicit-def: $sgpr0
	global_store_b32 v[0:1], v2, off
	s_branch .LBB110_91
	.p2align	6
.LBB110_89:                             ;   in Loop: Header=BB110_91 Depth=1
	s_or_b32 exec_lo, exec_lo, s5
.LBB110_90:                             ;   in Loop: Header=BB110_91 Depth=1
	s_delay_alu instid0(SALU_CYCLE_1) | instskip(SKIP_2) | instid1(VALU_DEP_2)
	s_or_b32 exec_lo, exec_lo, s4
	v_and_b32_e32 v7, 0x3fffffff, v10
	v_cmp_eq_u32_e64 s0, 0x80000000, v2
	v_add_nc_u32_e32 v4, v7, v4
	s_delay_alu instid0(VALU_DEP_2) | instskip(NEXT) | instid1(SALU_CYCLE_1)
	s_and_b32 s4, exec_lo, s0
	s_or_b32 s2, s4, s2
	s_delay_alu instid0(SALU_CYCLE_1)
	s_and_not1_b32 exec_lo, exec_lo, s2
	s_cbranch_execz .LBB110_96
.LBB110_91:                             ; =>This Loop Header: Depth=1
                                        ;     Child Loop BB110_94 Depth 2
	s_or_b32 s0, s0, exec_lo
	s_cmp_eq_u32 s3, 0
	s_cbranch_scc1 .LBB110_95
; %bb.92:                               ;   in Loop: Header=BB110_91 Depth=1
	s_add_i32 s3, s3, -1
	s_mov_b32 s4, exec_lo
	v_lshl_or_b32 v2, s3, 8, v9
	s_delay_alu instid0(VALU_DEP_1) | instskip(NEXT) | instid1(VALU_DEP_1)
	v_lshlrev_b64 v[7:8], 2, v[2:3]
	v_add_co_u32 v7, s0, s12, v7
	s_delay_alu instid0(VALU_DEP_1) | instskip(SKIP_3) | instid1(VALU_DEP_1)
	v_add_co_ci_u32_e64 v8, s0, s13, v8, s0
	global_load_b32 v10, v[7:8], off glc
	s_waitcnt vmcnt(0)
	v_and_b32_e32 v2, -2.0, v10
	v_cmpx_eq_u32_e32 0, v2
	s_cbranch_execz .LBB110_90
; %bb.93:                               ;   in Loop: Header=BB110_91 Depth=1
	s_mov_b32 s5, 0
.LBB110_94:                             ;   Parent Loop BB110_91 Depth=1
                                        ; =>  This Inner Loop Header: Depth=2
	global_load_b32 v10, v[7:8], off glc
	s_waitcnt vmcnt(0)
	v_and_b32_e32 v2, -2.0, v10
	s_delay_alu instid0(VALU_DEP_1) | instskip(NEXT) | instid1(VALU_DEP_1)
	v_cmp_ne_u32_e64 s0, 0, v2
	s_or_b32 s5, s0, s5
	s_delay_alu instid0(SALU_CYCLE_1)
	s_and_not1_b32 exec_lo, exec_lo, s5
	s_cbranch_execnz .LBB110_94
	s_branch .LBB110_89
.LBB110_95:                             ;   in Loop: Header=BB110_91 Depth=1
                                        ; implicit-def: $sgpr3
	s_and_b32 s4, exec_lo, s0
	s_delay_alu instid0(SALU_CYCLE_1) | instskip(NEXT) | instid1(SALU_CYCLE_1)
	s_or_b32 s2, s4, s2
	s_and_not1_b32 exec_lo, exec_lo, s2
	s_cbranch_execnz .LBB110_91
.LBB110_96:
	s_or_b32 exec_lo, exec_lo, s2
	v_add_nc_u32_e32 v2, v4, v12
	v_dual_mov_b32 v10, 0 :: v_dual_lshlrev_b32 v3, 3, v9
	s_delay_alu instid0(VALU_DEP_2) | instskip(SKIP_3) | instid1(VALU_DEP_1)
	v_or_b32_e32 v2, 0x80000000, v2
	global_store_b32 v[0:1], v2, off
	global_load_b64 v[0:1], v3, s[24:25]
	v_sub_co_u32 v2, s0, v4, v5
	v_sub_co_ci_u32_e64 v4, s0, 0, v6, s0
	s_waitcnt vmcnt(0)
	s_delay_alu instid0(VALU_DEP_2) | instskip(NEXT) | instid1(VALU_DEP_1)
	v_add_co_u32 v0, s0, v2, v0
	v_add_co_ci_u32_e64 v1, s0, v4, v1, s0
	ds_store_b64 v3, v[0:1]
.LBB110_97:
	s_or_b32 exec_lo, exec_lo, s1
	v_lshlrev_b32_e32 v4, 3, v9
	s_waitcnt lgkmcnt(0)
	s_waitcnt_vscnt null, 0x0
	s_barrier
	buffer_gl0_inv
	v_lshlrev_b32_e32 v11, 3, v9
	ds_load_2addr_stride64_b64 v[0:3], v4 offset0:20 offset1:36
	s_add_u32 s0, s20, s6
	s_addc_u32 s1, s21, s7
	v_add_co_u32 v31, s0, s0, v20
	ds_load_b64 v[7:8], v11 offset:2048
	v_add_co_ci_u32_e64 v32, null, s1, 0, s0
	v_or_b32_e32 v37, 0x4000, v4
	v_lshlrev_b64 v[25:26], 3, v[9:10]
	v_or_b32_e32 v35, 0x2000, v4
	v_or_b32_e32 v38, 0x6000, v4
	s_add_i32 s9, s9, -1
	s_delay_alu instid0(SALU_CYCLE_1) | instskip(SKIP_1) | instid1(SALU_CYCLE_1)
	s_cmp_eq_u32 s15, s9
	s_cselect_b32 s1, -1, 0
	s_and_b32 s1, vcc_lo, s1
	s_waitcnt lgkmcnt(1)
	v_lshrrev_b64 v[17:18], s28, v[2:3]
	v_xor_b32_e32 v3, 0x7fffffff, v3
	v_xor_b32_e32 v2, -1, v2
	s_delay_alu instid0(VALU_DEP_3)
	v_and_b32_e32 v21, s10, v17
	ds_load_b64 v[17:18], v4 offset:26624
	v_lshlrev_b32_e32 v33, 3, v21
	s_waitcnt lgkmcnt(1)
	v_lshrrev_b64 v[21:22], s28, v[7:8]
	v_lshrrev_b64 v[22:23], s28, v[0:1]
	v_xor_b32_e32 v8, 0x7fffffff, v8
	v_xor_b32_e32 v7, -1, v7
	ds_load_b64 v[23:24], v33
	v_xor_b32_e32 v1, 0x7fffffff, v1
	v_and_b32_e32 v21, s10, v21
	v_and_b32_e32 v22, s10, v22
	v_xor_b32_e32 v0, -1, v0
	s_delay_alu instid0(VALU_DEP_3) | instskip(NEXT) | instid1(VALU_DEP_3)
	v_lshlrev_b32_e32 v34, 3, v21
	v_lshlrev_b32_e32 v36, 3, v22
	s_waitcnt lgkmcnt(1)
	v_lshrrev_b64 v[20:21], s28, v[17:18]
	ds_load_b64 v[21:22], v34
	ds_load_b64 v[27:28], v36
	v_xor_b32_e32 v18, 0x7fffffff, v18
	v_xor_b32_e32 v17, -1, v17
	v_and_b32_e32 v20, s10, v20
	s_delay_alu instid0(VALU_DEP_1)
	v_lshlrev_b32_e32 v39, 3, v20
	ds_load_b64 v[29:30], v39
	s_waitcnt lgkmcnt(3)
	v_lshlrev_b64 v[23:24], 3, v[23:24]
	s_waitcnt lgkmcnt(2)
	v_lshlrev_b64 v[20:21], 3, v[21:22]
	;; [unrolled: 2-line block ×3, first 2 shown]
	s_delay_alu instid0(VALU_DEP_3) | instskip(NEXT) | instid1(VALU_DEP_1)
	v_add_co_u32 v23, s0, s18, v23
	v_add_co_ci_u32_e64 v24, s0, s19, v24, s0
	s_delay_alu instid0(VALU_DEP_2) | instskip(NEXT) | instid1(VALU_DEP_1)
	v_add_co_u32 v22, s0, v23, v37
	v_add_co_ci_u32_e64 v23, s0, 0, v24, s0
	v_add_co_u32 v24, s0, s18, v20
	s_delay_alu instid0(VALU_DEP_1)
	v_add_co_ci_u32_e64 v40, s0, s19, v21, s0
	v_add_co_u32 v41, s0, s18, v27
	s_waitcnt lgkmcnt(0)
	v_lshlrev_b64 v[20:21], 3, v[29:30]
	v_add_co_ci_u32_e64 v42, s0, s19, v28, s0
	v_add_co_u32 v27, s0, v24, v25
	s_delay_alu instid0(VALU_DEP_1) | instskip(NEXT) | instid1(VALU_DEP_4)
	v_add_co_ci_u32_e64 v28, s0, v40, v26, s0
	v_add_co_u32 v24, s0, s18, v20
	s_delay_alu instid0(VALU_DEP_1) | instskip(SKIP_1) | instid1(VALU_DEP_1)
	v_add_co_ci_u32_e64 v30, s0, s19, v21, s0
	v_add_co_u32 v20, s0, v41, v35
	v_add_co_ci_u32_e64 v21, s0, 0, v42, s0
	s_delay_alu instid0(VALU_DEP_4) | instskip(NEXT) | instid1(VALU_DEP_1)
	v_add_co_u32 v29, s0, v24, v38
	v_add_co_ci_u32_e64 v30, s0, 0, v30, s0
	v_add_co_u32 v31, s0, v31, v19
	s_delay_alu instid0(VALU_DEP_1)
	v_add_co_ci_u32_e64 v32, s0, 0, v32, s0
	s_clause 0x3
	global_store_b64 v[27:28], v[7:8], off
	global_store_b64 v[20:21], v[0:1], off
	;; [unrolled: 1-line block ×4, first 2 shown]
	s_clause 0x3
	global_load_b64 v[0:1], v[31:32], off
	global_load_b64 v[2:3], v[31:32], off offset:256
	global_load_b64 v[7:8], v[31:32], off offset:512
	global_load_b64 v[17:18], v[31:32], off offset:768
	s_waitcnt vmcnt(0)
	s_waitcnt_vscnt null, 0x0
	s_barrier
	buffer_gl0_inv
	ds_store_b64 v13, v[0:1] offset:2048
	ds_store_b64 v14, v[2:3] offset:2048
	;; [unrolled: 1-line block ×4, first 2 shown]
	s_waitcnt lgkmcnt(0)
	s_barrier
	buffer_gl0_inv
	ds_load_b64 v[0:1], v34
	ds_load_b64 v[7:8], v36
	;; [unrolled: 1-line block ×4, first 2 shown]
	ds_load_b64 v[17:18], v11 offset:2048
	ds_load_b64 v[19:20], v4 offset:26624
	s_waitcnt lgkmcnt(5)
	v_lshlrev_b64 v[21:22], 3, v[0:1]
	s_waitcnt lgkmcnt(4)
	v_lshlrev_b64 v[7:8], 3, v[7:8]
	ds_load_2addr_stride64_b64 v[0:3], v4 offset0:20 offset1:36
	s_waitcnt lgkmcnt(4)
	v_lshlrev_b64 v[13:14], 3, v[13:14]
	s_waitcnt lgkmcnt(3)
	v_lshlrev_b64 v[15:16], 3, v[15:16]
	v_add_co_u32 v4, s0, s22, v21
	s_delay_alu instid0(VALU_DEP_1) | instskip(SKIP_1) | instid1(VALU_DEP_1)
	v_add_co_ci_u32_e64 v11, s0, s23, v22, s0
	v_add_co_u32 v21, s0, s22, v7
	v_add_co_ci_u32_e64 v22, s0, s23, v8, s0
	v_add_co_u32 v23, s0, s22, v13
	s_delay_alu instid0(VALU_DEP_1) | instskip(SKIP_1) | instid1(VALU_DEP_1)
	v_add_co_ci_u32_e64 v24, s0, s23, v14, s0
	v_add_co_u32 v27, s0, s22, v15
	v_add_co_ci_u32_e64 v28, s0, s23, v16, s0
	;; [unrolled: 5-line block ×4, first 2 shown]
	s_waitcnt lgkmcnt(2)
	global_store_b64 v[7:8], v[17:18], off
	s_waitcnt lgkmcnt(0)
	s_clause 0x2
	global_store_b64 v[13:14], v[0:1], off
	global_store_b64 v[15:16], v[2:3], off
	;; [unrolled: 1-line block ×3, first 2 shown]
                                        ; implicit-def: $vgpr1_vgpr2
	s_and_saveexec_b32 s0, s1
; %bb.98:
	v_add_co_u32 v1, vcc_lo, v5, v12
	v_add_co_ci_u32_e32 v2, vcc_lo, 0, v6, vcc_lo
	s_or_b32 s8, s8, exec_lo
; %bb.99:
	s_or_b32 exec_lo, exec_lo, s0
.LBB110_100:
	s_and_saveexec_b32 s0, s8
	s_cbranch_execnz .LBB110_102
; %bb.101:
	s_nop 0
	s_sendmsg sendmsg(MSG_DEALLOC_VGPRS)
	s_endpgm
.LBB110_102:
	v_lshlrev_b32_e32 v0, 3, v9
	v_lshlrev_b64 v[5:6], 3, v[9:10]
	ds_load_b64 v[3:4], v0
	v_add_co_u32 v5, vcc_lo, s26, v5
	v_add_co_ci_u32_e32 v6, vcc_lo, s27, v6, vcc_lo
	s_waitcnt lgkmcnt(0)
	v_add_co_u32 v0, vcc_lo, v3, v1
	v_add_co_ci_u32_e32 v1, vcc_lo, v4, v2, vcc_lo
	global_store_b64 v[5:6], v[0:1], off
	s_nop 0
	s_sendmsg sendmsg(MSG_DEALLOC_VGPRS)
	s_endpgm
.LBB110_103:
	global_load_b64 v[1:2], v[10:11], off
	s_or_b32 exec_lo, exec_lo, s10
                                        ; implicit-def: $vgpr3_vgpr4
	s_and_saveexec_b32 s10, s2
	s_cbranch_execz .LBB110_47
.LBB110_104:
	global_load_b64 v[3:4], v[10:11], off offset:256
	s_or_b32 exec_lo, exec_lo, s10
                                        ; implicit-def: $vgpr5_vgpr6
	s_and_saveexec_b32 s2, s3
	s_cbranch_execz .LBB110_48
.LBB110_105:
	global_load_b64 v[5:6], v[10:11], off offset:512
	s_or_b32 exec_lo, exec_lo, s2
                                        ; implicit-def: $vgpr7_vgpr8
	s_and_saveexec_b32 s2, s4
	s_cbranch_execnz .LBB110_49
	s_branch .LBB110_50
.LBB110_106:
	v_lshlrev_b32_e32 v1, 3, v20
	ds_load_b64 v[1:2], v1
	ds_load_b64 v[3:4], v21 offset:2048
	s_waitcnt lgkmcnt(1)
	v_lshlrev_b64 v[1:2], 3, v[1:2]
	s_delay_alu instid0(VALU_DEP_1) | instskip(NEXT) | instid1(VALU_DEP_2)
	v_add_co_u32 v1, vcc_lo, s22, v1
	v_add_co_ci_u32_e32 v2, vcc_lo, s23, v2, vcc_lo
	s_delay_alu instid0(VALU_DEP_2) | instskip(NEXT) | instid1(VALU_DEP_2)
	v_add_co_u32 v1, vcc_lo, v1, v21
	v_add_co_ci_u32_e32 v2, vcc_lo, 0, v2, vcc_lo
	s_waitcnt lgkmcnt(0)
	global_store_b64 v[1:2], v[3:4], off
	s_or_b32 exec_lo, exec_lo, s2
	s_and_saveexec_b32 s2, s7
	s_cbranch_execz .LBB110_60
.LBB110_107:
	v_lshlrev_b32_e32 v1, 3, v11
	ds_load_b64 v[1:2], v1
	ds_load_b64 v[3:4], v21 offset:10240
	s_waitcnt lgkmcnt(1)
	v_lshlrev_b64 v[1:2], 3, v[1:2]
	s_delay_alu instid0(VALU_DEP_1) | instskip(NEXT) | instid1(VALU_DEP_2)
	v_add_co_u32 v1, vcc_lo, s22, v1
	v_add_co_ci_u32_e32 v2, vcc_lo, s23, v2, vcc_lo
	s_delay_alu instid0(VALU_DEP_2) | instskip(NEXT) | instid1(VALU_DEP_2)
	v_add_co_u32 v1, vcc_lo, v1, v22
	v_add_co_ci_u32_e32 v2, vcc_lo, 0, v2, vcc_lo
	s_waitcnt lgkmcnt(0)
	global_store_b64 v[1:2], v[3:4], off
	s_or_b32 exec_lo, exec_lo, s2
	s_and_saveexec_b32 s2, s8
	s_cbranch_execz .LBB110_61
.LBB110_108:
	v_lshlrev_b32_e32 v1, 3, v19
	ds_load_b64 v[1:2], v1
	ds_load_b64 v[3:4], v21 offset:18432
	s_waitcnt lgkmcnt(1)
	v_lshlrev_b64 v[1:2], 3, v[1:2]
	s_delay_alu instid0(VALU_DEP_1) | instskip(NEXT) | instid1(VALU_DEP_2)
	v_add_co_u32 v1, vcc_lo, s22, v1
	v_add_co_ci_u32_e32 v2, vcc_lo, s23, v2, vcc_lo
	s_delay_alu instid0(VALU_DEP_2) | instskip(NEXT) | instid1(VALU_DEP_2)
	v_add_co_u32 v1, vcc_lo, v1, v23
	v_add_co_ci_u32_e32 v2, vcc_lo, 0, v2, vcc_lo
	s_waitcnt lgkmcnt(0)
	global_store_b64 v[1:2], v[3:4], off
	s_or_b32 exec_lo, exec_lo, s2
	s_and_saveexec_b32 s2, s9
	s_cbranch_execnz .LBB110_62
	s_branch .LBB110_63
	.section	.rodata,"a",@progbits
	.p2align	6, 0x0
	.amdhsa_kernel _ZN7rocprim17ROCPRIM_304000_NS6detail25onesweep_iteration_kernelINS1_34wrapped_radix_sort_onesweep_configINS0_14default_configElN2at4cuda3cub6detail10OpaqueTypeILi8EEEEELb1EPKlPlPKSA_PSA_mNS0_19identity_decomposerEEEvT1_T2_T3_T4_jPT5_SO_PNS1_23onesweep_lookback_stateET6_jjj
		.amdhsa_group_segment_fixed_size 36992
		.amdhsa_private_segment_fixed_size 0
		.amdhsa_kernarg_size 336
		.amdhsa_user_sgpr_count 15
		.amdhsa_user_sgpr_dispatch_ptr 0
		.amdhsa_user_sgpr_queue_ptr 0
		.amdhsa_user_sgpr_kernarg_segment_ptr 1
		.amdhsa_user_sgpr_dispatch_id 0
		.amdhsa_user_sgpr_private_segment_size 0
		.amdhsa_wavefront_size32 1
		.amdhsa_uses_dynamic_stack 0
		.amdhsa_enable_private_segment 0
		.amdhsa_system_sgpr_workgroup_id_x 1
		.amdhsa_system_sgpr_workgroup_id_y 0
		.amdhsa_system_sgpr_workgroup_id_z 0
		.amdhsa_system_sgpr_workgroup_info 0
		.amdhsa_system_vgpr_workitem_id 2
		.amdhsa_next_free_vgpr 43
		.amdhsa_next_free_sgpr 36
		.amdhsa_reserve_vcc 1
		.amdhsa_float_round_mode_32 0
		.amdhsa_float_round_mode_16_64 0
		.amdhsa_float_denorm_mode_32 3
		.amdhsa_float_denorm_mode_16_64 3
		.amdhsa_dx10_clamp 1
		.amdhsa_ieee_mode 1
		.amdhsa_fp16_overflow 0
		.amdhsa_workgroup_processor_mode 1
		.amdhsa_memory_ordered 1
		.amdhsa_forward_progress 0
		.amdhsa_shared_vgpr_count 0
		.amdhsa_exception_fp_ieee_invalid_op 0
		.amdhsa_exception_fp_denorm_src 0
		.amdhsa_exception_fp_ieee_div_zero 0
		.amdhsa_exception_fp_ieee_overflow 0
		.amdhsa_exception_fp_ieee_underflow 0
		.amdhsa_exception_fp_ieee_inexact 0
		.amdhsa_exception_int_div_zero 0
	.end_amdhsa_kernel
	.section	.text._ZN7rocprim17ROCPRIM_304000_NS6detail25onesweep_iteration_kernelINS1_34wrapped_radix_sort_onesweep_configINS0_14default_configElN2at4cuda3cub6detail10OpaqueTypeILi8EEEEELb1EPKlPlPKSA_PSA_mNS0_19identity_decomposerEEEvT1_T2_T3_T4_jPT5_SO_PNS1_23onesweep_lookback_stateET6_jjj,"axG",@progbits,_ZN7rocprim17ROCPRIM_304000_NS6detail25onesweep_iteration_kernelINS1_34wrapped_radix_sort_onesweep_configINS0_14default_configElN2at4cuda3cub6detail10OpaqueTypeILi8EEEEELb1EPKlPlPKSA_PSA_mNS0_19identity_decomposerEEEvT1_T2_T3_T4_jPT5_SO_PNS1_23onesweep_lookback_stateET6_jjj,comdat
.Lfunc_end110:
	.size	_ZN7rocprim17ROCPRIM_304000_NS6detail25onesweep_iteration_kernelINS1_34wrapped_radix_sort_onesweep_configINS0_14default_configElN2at4cuda3cub6detail10OpaqueTypeILi8EEEEELb1EPKlPlPKSA_PSA_mNS0_19identity_decomposerEEEvT1_T2_T3_T4_jPT5_SO_PNS1_23onesweep_lookback_stateET6_jjj, .Lfunc_end110-_ZN7rocprim17ROCPRIM_304000_NS6detail25onesweep_iteration_kernelINS1_34wrapped_radix_sort_onesweep_configINS0_14default_configElN2at4cuda3cub6detail10OpaqueTypeILi8EEEEELb1EPKlPlPKSA_PSA_mNS0_19identity_decomposerEEEvT1_T2_T3_T4_jPT5_SO_PNS1_23onesweep_lookback_stateET6_jjj
                                        ; -- End function
	.section	.AMDGPU.csdata,"",@progbits
; Kernel info:
; codeLenInByte = 9048
; NumSgprs: 38
; NumVgprs: 43
; ScratchSize: 0
; MemoryBound: 1
; FloatMode: 240
; IeeeMode: 1
; LDSByteSize: 36992 bytes/workgroup (compile time only)
; SGPRBlocks: 4
; VGPRBlocks: 5
; NumSGPRsForWavesPerEU: 38
; NumVGPRsForWavesPerEU: 43
; Occupancy: 16
; WaveLimiterHint : 1
; COMPUTE_PGM_RSRC2:SCRATCH_EN: 0
; COMPUTE_PGM_RSRC2:USER_SGPR: 15
; COMPUTE_PGM_RSRC2:TRAP_HANDLER: 0
; COMPUTE_PGM_RSRC2:TGID_X_EN: 1
; COMPUTE_PGM_RSRC2:TGID_Y_EN: 0
; COMPUTE_PGM_RSRC2:TGID_Z_EN: 0
; COMPUTE_PGM_RSRC2:TIDIG_COMP_CNT: 2
	.section	.text._ZN7rocprim17ROCPRIM_304000_NS6detail25onesweep_iteration_kernelINS1_34wrapped_radix_sort_onesweep_configINS0_14default_configElN2at4cuda3cub6detail10OpaqueTypeILi8EEEEELb1EPlSC_PSA_SD_mNS0_19identity_decomposerEEEvT1_T2_T3_T4_jPT5_SK_PNS1_23onesweep_lookback_stateET6_jjj,"axG",@progbits,_ZN7rocprim17ROCPRIM_304000_NS6detail25onesweep_iteration_kernelINS1_34wrapped_radix_sort_onesweep_configINS0_14default_configElN2at4cuda3cub6detail10OpaqueTypeILi8EEEEELb1EPlSC_PSA_SD_mNS0_19identity_decomposerEEEvT1_T2_T3_T4_jPT5_SK_PNS1_23onesweep_lookback_stateET6_jjj,comdat
	.protected	_ZN7rocprim17ROCPRIM_304000_NS6detail25onesweep_iteration_kernelINS1_34wrapped_radix_sort_onesweep_configINS0_14default_configElN2at4cuda3cub6detail10OpaqueTypeILi8EEEEELb1EPlSC_PSA_SD_mNS0_19identity_decomposerEEEvT1_T2_T3_T4_jPT5_SK_PNS1_23onesweep_lookback_stateET6_jjj ; -- Begin function _ZN7rocprim17ROCPRIM_304000_NS6detail25onesweep_iteration_kernelINS1_34wrapped_radix_sort_onesweep_configINS0_14default_configElN2at4cuda3cub6detail10OpaqueTypeILi8EEEEELb1EPlSC_PSA_SD_mNS0_19identity_decomposerEEEvT1_T2_T3_T4_jPT5_SK_PNS1_23onesweep_lookback_stateET6_jjj
	.globl	_ZN7rocprim17ROCPRIM_304000_NS6detail25onesweep_iteration_kernelINS1_34wrapped_radix_sort_onesweep_configINS0_14default_configElN2at4cuda3cub6detail10OpaqueTypeILi8EEEEELb1EPlSC_PSA_SD_mNS0_19identity_decomposerEEEvT1_T2_T3_T4_jPT5_SK_PNS1_23onesweep_lookback_stateET6_jjj
	.p2align	8
	.type	_ZN7rocprim17ROCPRIM_304000_NS6detail25onesweep_iteration_kernelINS1_34wrapped_radix_sort_onesweep_configINS0_14default_configElN2at4cuda3cub6detail10OpaqueTypeILi8EEEEELb1EPlSC_PSA_SD_mNS0_19identity_decomposerEEEvT1_T2_T3_T4_jPT5_SK_PNS1_23onesweep_lookback_stateET6_jjj,@function
_ZN7rocprim17ROCPRIM_304000_NS6detail25onesweep_iteration_kernelINS1_34wrapped_radix_sort_onesweep_configINS0_14default_configElN2at4cuda3cub6detail10OpaqueTypeILi8EEEEELb1EPlSC_PSA_SD_mNS0_19identity_decomposerEEEvT1_T2_T3_T4_jPT5_SK_PNS1_23onesweep_lookback_stateET6_jjj: ; @_ZN7rocprim17ROCPRIM_304000_NS6detail25onesweep_iteration_kernelINS1_34wrapped_radix_sort_onesweep_configINS0_14default_configElN2at4cuda3cub6detail10OpaqueTypeILi8EEEEELb1EPlSC_PSA_SD_mNS0_19identity_decomposerEEEvT1_T2_T3_T4_jPT5_SK_PNS1_23onesweep_lookback_stateET6_jjj
; %bb.0:
	s_clause 0x3
	s_load_b128 s[28:31], s[0:1], 0x44
	s_load_b256 s[16:23], s[0:1], 0x0
	s_load_b128 s[24:27], s[0:1], 0x28
	s_load_b64 s[12:13], s[0:1], 0x38
	v_and_b32_e32 v9, 0x3ff, v0
	v_mbcnt_lo_u32_b32 v18, -1, 0
	s_waitcnt lgkmcnt(0)
	s_cmp_ge_u32 s15, s30
	s_cbranch_scc0 .LBB111_66
; %bb.1:
	s_load_b32 s14, s[0:1], 0x20
	s_mov_b32 s3, 0
	s_brev_b32 s5, 1
	s_mov_b32 s4, s3
	s_mov_b32 s6, s3
	;; [unrolled: 1-line block ×7, first 2 shown]
	v_lshlrev_b32_e32 v21, 2, v9
	s_lshl_b32 s2, s15, 12
	s_lshl_b32 s33, s30, 12
	v_lshlrev_b32_e32 v19, 3, v18
	s_lshl_b64 s[30:31], s[2:3], 3
	v_and_b32_e32 v1, 0xf80, v21
	s_delay_alu instid0(VALU_DEP_1)
	v_lshlrev_b32_e32 v20, 3, v1
	s_waitcnt lgkmcnt(0)
	s_sub_i32 s33, s14, s33
	s_add_u32 s2, s16, s30
	v_or_b32_e32 v12, v18, v1
	s_addc_u32 s3, s17, s31
	v_add_co_u32 v1, s2, s2, v19
	s_delay_alu instid0(VALU_DEP_1) | instskip(NEXT) | instid1(VALU_DEP_3)
	v_add_co_ci_u32_e64 v2, null, s3, 0, s2
	v_cmp_gt_u32_e32 vcc_lo, s33, v12
	s_delay_alu instid0(VALU_DEP_3) | instskip(NEXT) | instid1(VALU_DEP_1)
	v_add_co_u32 v10, s2, v1, v20
	v_add_co_ci_u32_e64 v11, s2, 0, v2, s2
	v_dual_mov_b32 v1, s4 :: v_dual_mov_b32 v2, s5
	v_dual_mov_b32 v3, s6 :: v_dual_mov_b32 v8, s11
	;; [unrolled: 1-line block ×4, first 2 shown]
	s_and_saveexec_b32 s2, vcc_lo
	s_cbranch_execz .LBB111_3
; %bb.2:
	global_load_b64 v[1:2], v[10:11], off
	v_bfrev_b32_e32 v4, 1
	s_delay_alu instid0(VALU_DEP_1) | instskip(NEXT) | instid1(VALU_DEP_1)
	v_dual_mov_b32 v3, 0 :: v_dual_mov_b32 v6, v4
	v_dual_mov_b32 v5, v3 :: v_dual_mov_b32 v8, v4
	v_mov_b32_e32 v7, v3
.LBB111_3:
	s_or_b32 exec_lo, exec_lo, s2
	v_add_nc_u32_e32 v13, 32, v12
	s_delay_alu instid0(VALU_DEP_1) | instskip(NEXT) | instid1(VALU_DEP_1)
	v_cmp_gt_u32_e64 s2, s33, v13
	s_and_saveexec_b32 s3, s2
	s_cbranch_execz .LBB111_5
; %bb.4:
	global_load_b64 v[3:4], v[10:11], off offset:256
.LBB111_5:
	s_or_b32 exec_lo, exec_lo, s3
	v_add_nc_u32_e32 v13, 64, v12
	s_delay_alu instid0(VALU_DEP_1) | instskip(NEXT) | instid1(VALU_DEP_1)
	v_cmp_gt_u32_e64 s3, s33, v13
	s_and_saveexec_b32 s4, s3
	s_cbranch_execz .LBB111_7
; %bb.6:
	global_load_b64 v[5:6], v[10:11], off offset:512
.LBB111_7:
	;; [unrolled: 9-line block ×3, first 2 shown]
	s_or_b32 exec_lo, exec_lo, s5
	s_clause 0x1
	s_load_b32 s5, s[0:1], 0x5c
	s_load_b32 s14, s[0:1], 0x50
	s_add_u32 s6, s0, 0x50
	s_waitcnt vmcnt(0)
	v_xor_b32_e32 v2, 0x7fffffff, v2
	v_not_b32_e32 v1, v1
	s_addc_u32 s7, s1, 0
	s_delay_alu instid0(VALU_DEP_1) | instskip(SKIP_4) | instid1(SALU_CYCLE_1)
	v_lshrrev_b64 v[10:11], s28, v[1:2]
	s_waitcnt lgkmcnt(0)
	s_lshr_b32 s8, s5, 16
	s_cmp_lt_u32 s15, s14
	s_cselect_b32 s5, 12, 18
	s_add_u32 s6, s6, s5
	s_addc_u32 s7, s7, 0
	s_lshl_b32 s5, -1, s29
	s_delay_alu instid0(SALU_CYCLE_1) | instskip(NEXT) | instid1(SALU_CYCLE_1)
	s_not_b32 s34, s5
	v_and_b32_e32 v14, s34, v10
	v_mov_b32_e32 v12, 0
	v_bfe_u32 v10, v0, 10, 10
	s_delay_alu instid0(VALU_DEP_3)
	v_and_b32_e32 v11, 1, v14
	global_load_u16 v13, v12, s[6:7]
	v_lshlrev_b32_e32 v15, 30, v14
	v_lshlrev_b32_e32 v16, 29, v14
	;; [unrolled: 1-line block ×3, first 2 shown]
	v_add_co_u32 v11, s5, v11, -1
	s_delay_alu instid0(VALU_DEP_1)
	v_cndmask_b32_e64 v22, 0, 1, s5
	v_not_b32_e32 v26, v15
	v_cmp_gt_i32_e64 s6, 0, v15
	v_not_b32_e32 v15, v16
	v_lshlrev_b32_e32 v23, 27, v14
	v_cmp_ne_u32_e64 s5, 0, v22
	v_ashrrev_i32_e32 v26, 31, v26
	v_lshlrev_b32_e32 v24, 26, v14
	v_ashrrev_i32_e32 v15, 31, v15
	v_lshlrev_b32_e32 v25, 25, v14
	v_xor_b32_e32 v11, s5, v11
	v_cmp_gt_i32_e64 s5, 0, v16
	v_not_b32_e32 v16, v17
	v_xor_b32_e32 v26, s6, v26
	v_cmp_gt_i32_e64 s6, 0, v17
	v_and_b32_e32 v11, exec_lo, v11
	v_not_b32_e32 v17, v23
	v_ashrrev_i32_e32 v16, 31, v16
	v_xor_b32_e32 v15, s5, v15
	v_cmp_gt_i32_e64 s5, 0, v23
	v_and_b32_e32 v11, v11, v26
	v_not_b32_e32 v23, v24
	v_ashrrev_i32_e32 v17, 31, v17
	v_xor_b32_e32 v16, s6, v16
	v_lshlrev_b32_e32 v22, 24, v14
	v_and_b32_e32 v11, v11, v15
	v_cmp_gt_i32_e64 s6, 0, v24
	v_not_b32_e32 v15, v25
	v_ashrrev_i32_e32 v23, 31, v23
	v_xor_b32_e32 v17, s5, v17
	v_and_b32_e32 v11, v11, v16
	v_cmp_gt_i32_e64 s5, 0, v25
	v_not_b32_e32 v16, v22
	v_ashrrev_i32_e32 v15, 31, v15
	v_xor_b32_e32 v23, s6, v23
	v_and_b32_e32 v11, v11, v17
	v_bfe_u32 v17, v0, 20, 10
	v_cmp_gt_i32_e64 s6, 0, v22
	v_ashrrev_i32_e32 v16, 31, v16
	v_xor_b32_e32 v15, s5, v15
	v_and_b32_e32 v11, v11, v23
	v_mad_u32_u24 v17, v17, s8, v10
	v_mul_u32_u24_e32 v22, 9, v9
	v_xor_b32_e32 v16, s6, v16
	s_delay_alu instid0(VALU_DEP_4) | instskip(NEXT) | instid1(VALU_DEP_3)
	v_and_b32_e32 v15, v11, v15
	v_lshlrev_b32_e32 v23, 2, v22
	ds_store_2addr_b32 v23, v12, v12 offset0:32 offset1:33
	ds_store_2addr_b32 v23, v12, v12 offset0:34 offset1:35
	;; [unrolled: 1-line block ×4, first 2 shown]
	ds_store_b32 v23, v12 offset:160
	v_lshl_add_u32 v12, v14, 5, v14
	s_waitcnt vmcnt(0) lgkmcnt(0)
	s_barrier
	buffer_gl0_inv
	; wave barrier
	v_mad_u64_u32 v[10:11], null, v17, v13, v[9:10]
	v_and_b32_e32 v11, v15, v16
	s_delay_alu instid0(VALU_DEP_1) | instskip(NEXT) | instid1(VALU_DEP_3)
	v_mbcnt_lo_u32_b32 v22, v11, 0
	v_lshrrev_b32_e32 v10, 5, v10
	v_cmp_ne_u32_e64 s6, 0, v11
	s_delay_alu instid0(VALU_DEP_3) | instskip(NEXT) | instid1(VALU_DEP_3)
	v_cmp_eq_u32_e64 s5, 0, v22
	v_add_lshl_u32 v24, v10, v12, 2
	s_delay_alu instid0(VALU_DEP_2) | instskip(NEXT) | instid1(SALU_CYCLE_1)
	s_and_b32 s6, s6, s5
	s_and_saveexec_b32 s5, s6
	s_cbranch_execz .LBB111_11
; %bb.10:
	v_bcnt_u32_b32 v11, v11, 0
	ds_store_b32 v24, v11 offset:128
.LBB111_11:
	s_or_b32 exec_lo, exec_lo, s5
	v_xor_b32_e32 v4, 0x7fffffff, v4
	v_not_b32_e32 v3, v3
	; wave barrier
	s_delay_alu instid0(VALU_DEP_1) | instskip(NEXT) | instid1(VALU_DEP_1)
	v_lshrrev_b64 v[11:12], s28, v[3:4]
	v_and_b32_e32 v11, s34, v11
	s_delay_alu instid0(VALU_DEP_1)
	v_and_b32_e32 v12, 1, v11
	v_lshlrev_b32_e32 v13, 30, v11
	v_lshlrev_b32_e32 v14, 29, v11
	;; [unrolled: 1-line block ×4, first 2 shown]
	v_add_co_u32 v12, s5, v12, -1
	s_delay_alu instid0(VALU_DEP_1)
	v_cndmask_b32_e64 v16, 0, 1, s5
	v_not_b32_e32 v27, v13
	v_cmp_gt_i32_e64 s6, 0, v13
	v_not_b32_e32 v13, v14
	v_lshlrev_b32_e32 v25, 26, v11
	v_cmp_ne_u32_e64 s5, 0, v16
	v_ashrrev_i32_e32 v27, 31, v27
	v_lshlrev_b32_e32 v26, 25, v11
	v_ashrrev_i32_e32 v13, 31, v13
	v_lshlrev_b32_e32 v16, 24, v11
	v_xor_b32_e32 v12, s5, v12
	v_cmp_gt_i32_e64 s5, 0, v14
	v_not_b32_e32 v14, v15
	v_xor_b32_e32 v27, s6, v27
	v_cmp_gt_i32_e64 s6, 0, v15
	v_and_b32_e32 v12, exec_lo, v12
	v_not_b32_e32 v15, v17
	v_ashrrev_i32_e32 v14, 31, v14
	v_xor_b32_e32 v13, s5, v13
	v_cmp_gt_i32_e64 s5, 0, v17
	v_and_b32_e32 v12, v12, v27
	v_not_b32_e32 v17, v25
	v_ashrrev_i32_e32 v15, 31, v15
	v_xor_b32_e32 v14, s6, v14
	v_cmp_gt_i32_e64 s6, 0, v25
	v_and_b32_e32 v12, v12, v13
	;; [unrolled: 5-line block ×3, first 2 shown]
	v_not_b32_e32 v14, v16
	v_ashrrev_i32_e32 v13, 31, v13
	v_xor_b32_e32 v17, s6, v17
	v_lshl_add_u32 v11, v11, 5, v11
	v_and_b32_e32 v12, v12, v15
	v_cmp_gt_i32_e64 s6, 0, v16
	v_ashrrev_i32_e32 v14, 31, v14
	v_xor_b32_e32 v13, s5, v13
	v_add_lshl_u32 v27, v10, v11, 2
	v_and_b32_e32 v12, v12, v17
	s_delay_alu instid0(VALU_DEP_4) | instskip(SKIP_2) | instid1(VALU_DEP_1)
	v_xor_b32_e32 v11, s6, v14
	ds_load_b32 v25, v27 offset:128
	v_and_b32_e32 v12, v12, v13
	; wave barrier
	v_and_b32_e32 v11, v12, v11
	s_delay_alu instid0(VALU_DEP_1) | instskip(SKIP_1) | instid1(VALU_DEP_2)
	v_mbcnt_lo_u32_b32 v26, v11, 0
	v_cmp_ne_u32_e64 s6, 0, v11
	v_cmp_eq_u32_e64 s5, 0, v26
	s_delay_alu instid0(VALU_DEP_1) | instskip(NEXT) | instid1(SALU_CYCLE_1)
	s_and_b32 s6, s6, s5
	s_and_saveexec_b32 s5, s6
	s_cbranch_execz .LBB111_13
; %bb.12:
	s_waitcnt lgkmcnt(0)
	v_bcnt_u32_b32 v11, v11, v25
	ds_store_b32 v27, v11 offset:128
.LBB111_13:
	s_or_b32 exec_lo, exec_lo, s5
	v_xor_b32_e32 v6, 0x7fffffff, v6
	v_not_b32_e32 v5, v5
	; wave barrier
	s_delay_alu instid0(VALU_DEP_1) | instskip(NEXT) | instid1(VALU_DEP_1)
	v_lshrrev_b64 v[11:12], s28, v[5:6]
	v_and_b32_e32 v11, s34, v11
	s_delay_alu instid0(VALU_DEP_1)
	v_and_b32_e32 v12, 1, v11
	v_lshlrev_b32_e32 v13, 30, v11
	v_lshlrev_b32_e32 v14, 29, v11
	v_lshlrev_b32_e32 v15, 28, v11
	v_lshlrev_b32_e32 v17, 27, v11
	v_add_co_u32 v12, s5, v12, -1
	s_delay_alu instid0(VALU_DEP_1)
	v_cndmask_b32_e64 v16, 0, 1, s5
	v_not_b32_e32 v30, v13
	v_cmp_gt_i32_e64 s6, 0, v13
	v_not_b32_e32 v13, v14
	v_lshlrev_b32_e32 v28, 26, v11
	v_cmp_ne_u32_e64 s5, 0, v16
	v_ashrrev_i32_e32 v30, 31, v30
	v_lshlrev_b32_e32 v29, 25, v11
	v_ashrrev_i32_e32 v13, 31, v13
	v_lshlrev_b32_e32 v16, 24, v11
	v_xor_b32_e32 v12, s5, v12
	v_cmp_gt_i32_e64 s5, 0, v14
	v_not_b32_e32 v14, v15
	v_xor_b32_e32 v30, s6, v30
	v_cmp_gt_i32_e64 s6, 0, v15
	v_and_b32_e32 v12, exec_lo, v12
	v_not_b32_e32 v15, v17
	v_ashrrev_i32_e32 v14, 31, v14
	v_xor_b32_e32 v13, s5, v13
	v_cmp_gt_i32_e64 s5, 0, v17
	v_and_b32_e32 v12, v12, v30
	v_not_b32_e32 v17, v28
	v_ashrrev_i32_e32 v15, 31, v15
	v_xor_b32_e32 v14, s6, v14
	v_cmp_gt_i32_e64 s6, 0, v28
	v_and_b32_e32 v12, v12, v13
	;; [unrolled: 5-line block ×3, first 2 shown]
	v_not_b32_e32 v14, v16
	v_ashrrev_i32_e32 v13, 31, v13
	v_xor_b32_e32 v17, s6, v17
	v_lshl_add_u32 v11, v11, 5, v11
	v_and_b32_e32 v12, v12, v15
	v_cmp_gt_i32_e64 s6, 0, v16
	v_ashrrev_i32_e32 v14, 31, v14
	v_xor_b32_e32 v13, s5, v13
	v_add_lshl_u32 v30, v10, v11, 2
	v_and_b32_e32 v12, v12, v17
	s_delay_alu instid0(VALU_DEP_4) | instskip(SKIP_2) | instid1(VALU_DEP_1)
	v_xor_b32_e32 v11, s6, v14
	ds_load_b32 v28, v30 offset:128
	v_and_b32_e32 v12, v12, v13
	; wave barrier
	v_and_b32_e32 v11, v12, v11
	s_delay_alu instid0(VALU_DEP_1) | instskip(SKIP_1) | instid1(VALU_DEP_2)
	v_mbcnt_lo_u32_b32 v29, v11, 0
	v_cmp_ne_u32_e64 s6, 0, v11
	v_cmp_eq_u32_e64 s5, 0, v29
	s_delay_alu instid0(VALU_DEP_1) | instskip(NEXT) | instid1(SALU_CYCLE_1)
	s_and_b32 s6, s6, s5
	s_and_saveexec_b32 s5, s6
	s_cbranch_execz .LBB111_15
; %bb.14:
	s_waitcnt lgkmcnt(0)
	v_bcnt_u32_b32 v11, v11, v28
	ds_store_b32 v30, v11 offset:128
.LBB111_15:
	s_or_b32 exec_lo, exec_lo, s5
	v_xor_b32_e32 v8, 0x7fffffff, v8
	v_not_b32_e32 v7, v7
	; wave barrier
	v_add_nc_u32_e32 v34, 0x80, v23
	s_delay_alu instid0(VALU_DEP_2) | instskip(NEXT) | instid1(VALU_DEP_1)
	v_lshrrev_b64 v[11:12], s28, v[7:8]
	v_and_b32_e32 v11, s34, v11
	s_delay_alu instid0(VALU_DEP_1)
	v_and_b32_e32 v12, 1, v11
	v_lshlrev_b32_e32 v13, 30, v11
	v_lshlrev_b32_e32 v14, 29, v11
	;; [unrolled: 1-line block ×4, first 2 shown]
	v_add_co_u32 v12, s5, v12, -1
	s_delay_alu instid0(VALU_DEP_1)
	v_cndmask_b32_e64 v16, 0, 1, s5
	v_not_b32_e32 v33, v13
	v_cmp_gt_i32_e64 s6, 0, v13
	v_not_b32_e32 v13, v14
	v_lshlrev_b32_e32 v31, 26, v11
	v_cmp_ne_u32_e64 s5, 0, v16
	v_ashrrev_i32_e32 v33, 31, v33
	v_lshlrev_b32_e32 v32, 25, v11
	v_ashrrev_i32_e32 v13, 31, v13
	v_lshlrev_b32_e32 v16, 24, v11
	v_xor_b32_e32 v12, s5, v12
	v_cmp_gt_i32_e64 s5, 0, v14
	v_not_b32_e32 v14, v15
	v_xor_b32_e32 v33, s6, v33
	v_cmp_gt_i32_e64 s6, 0, v15
	v_and_b32_e32 v12, exec_lo, v12
	v_not_b32_e32 v15, v17
	v_ashrrev_i32_e32 v14, 31, v14
	v_xor_b32_e32 v13, s5, v13
	v_cmp_gt_i32_e64 s5, 0, v17
	v_and_b32_e32 v12, v12, v33
	v_not_b32_e32 v17, v31
	v_ashrrev_i32_e32 v15, 31, v15
	v_xor_b32_e32 v14, s6, v14
	v_cmp_gt_i32_e64 s6, 0, v31
	v_and_b32_e32 v12, v12, v13
	v_not_b32_e32 v13, v32
	v_ashrrev_i32_e32 v17, 31, v17
	v_xor_b32_e32 v15, s5, v15
	v_cmp_gt_i32_e64 s5, 0, v32
	v_and_b32_e32 v12, v12, v14
	v_not_b32_e32 v14, v16
	v_ashrrev_i32_e32 v13, 31, v13
	v_xor_b32_e32 v17, s6, v17
	v_lshl_add_u32 v11, v11, 5, v11
	v_and_b32_e32 v12, v12, v15
	v_cmp_gt_i32_e64 s6, 0, v16
	v_ashrrev_i32_e32 v14, 31, v14
	v_xor_b32_e32 v13, s5, v13
	v_add_lshl_u32 v33, v10, v11, 2
	v_and_b32_e32 v12, v12, v17
	s_delay_alu instid0(VALU_DEP_4) | instskip(SKIP_2) | instid1(VALU_DEP_1)
	v_xor_b32_e32 v10, s6, v14
	ds_load_b32 v31, v33 offset:128
	v_and_b32_e32 v11, v12, v13
	; wave barrier
	v_and_b32_e32 v10, v11, v10
	s_delay_alu instid0(VALU_DEP_1) | instskip(SKIP_1) | instid1(VALU_DEP_2)
	v_mbcnt_lo_u32_b32 v32, v10, 0
	v_cmp_ne_u32_e64 s6, 0, v10
	v_cmp_eq_u32_e64 s5, 0, v32
	s_delay_alu instid0(VALU_DEP_1) | instskip(NEXT) | instid1(SALU_CYCLE_1)
	s_and_b32 s6, s6, s5
	s_and_saveexec_b32 s5, s6
	s_cbranch_execz .LBB111_17
; %bb.16:
	s_waitcnt lgkmcnt(0)
	v_bcnt_u32_b32 v10, v10, v31
	ds_store_b32 v33, v10 offset:128
.LBB111_17:
	s_or_b32 exec_lo, exec_lo, s5
	; wave barrier
	s_waitcnt lgkmcnt(0)
	s_barrier
	buffer_gl0_inv
	ds_load_2addr_b32 v[16:17], v23 offset0:32 offset1:33
	ds_load_2addr_b32 v[14:15], v34 offset0:2 offset1:3
	;; [unrolled: 1-line block ×4, first 2 shown]
	ds_load_b32 v35, v34 offset:32
	v_and_b32_e32 v38, 16, v18
	v_and_b32_e32 v39, 31, v9
	s_mov_b32 s11, exec_lo
	s_delay_alu instid0(VALU_DEP_2) | instskip(SKIP_3) | instid1(VALU_DEP_1)
	v_cmp_eq_u32_e64 s9, 0, v38
	s_waitcnt lgkmcnt(3)
	v_add3_u32 v36, v17, v16, v14
	s_waitcnt lgkmcnt(2)
	v_add3_u32 v36, v36, v15, v12
	s_waitcnt lgkmcnt(1)
	s_delay_alu instid0(VALU_DEP_1) | instskip(SKIP_1) | instid1(VALU_DEP_1)
	v_add3_u32 v36, v36, v13, v10
	s_waitcnt lgkmcnt(0)
	v_add3_u32 v35, v36, v11, v35
	v_and_b32_e32 v36, 15, v18
	s_delay_alu instid0(VALU_DEP_2) | instskip(NEXT) | instid1(VALU_DEP_2)
	v_mov_b32_dpp v37, v35 row_shr:1 row_mask:0xf bank_mask:0xf
	v_cmp_eq_u32_e64 s5, 0, v36
	v_cmp_lt_u32_e64 s6, 1, v36
	v_cmp_lt_u32_e64 s7, 3, v36
	;; [unrolled: 1-line block ×3, first 2 shown]
	s_delay_alu instid0(VALU_DEP_4) | instskip(NEXT) | instid1(VALU_DEP_1)
	v_cndmask_b32_e64 v37, v37, 0, s5
	v_add_nc_u32_e32 v35, v37, v35
	s_delay_alu instid0(VALU_DEP_1) | instskip(NEXT) | instid1(VALU_DEP_1)
	v_mov_b32_dpp v37, v35 row_shr:2 row_mask:0xf bank_mask:0xf
	v_cndmask_b32_e64 v37, 0, v37, s6
	s_delay_alu instid0(VALU_DEP_1) | instskip(NEXT) | instid1(VALU_DEP_1)
	v_add_nc_u32_e32 v35, v35, v37
	v_mov_b32_dpp v37, v35 row_shr:4 row_mask:0xf bank_mask:0xf
	s_delay_alu instid0(VALU_DEP_1) | instskip(NEXT) | instid1(VALU_DEP_1)
	v_cndmask_b32_e64 v37, 0, v37, s7
	v_add_nc_u32_e32 v35, v35, v37
	s_delay_alu instid0(VALU_DEP_1) | instskip(NEXT) | instid1(VALU_DEP_1)
	v_mov_b32_dpp v37, v35 row_shr:8 row_mask:0xf bank_mask:0xf
	v_cndmask_b32_e64 v36, 0, v37, s8
	v_bfe_i32 v37, v18, 4, 1
	s_delay_alu instid0(VALU_DEP_2) | instskip(SKIP_4) | instid1(VALU_DEP_2)
	v_add_nc_u32_e32 v35, v35, v36
	ds_swizzle_b32 v36, v35 offset:swizzle(BROADCAST,32,15)
	s_waitcnt lgkmcnt(0)
	v_and_b32_e32 v37, v37, v36
	v_lshrrev_b32_e32 v36, 5, v9
	v_add_nc_u32_e32 v35, v35, v37
	v_cmpx_eq_u32_e32 31, v39
	s_cbranch_execz .LBB111_19
; %bb.18:
	s_delay_alu instid0(VALU_DEP_3)
	v_lshlrev_b32_e32 v37, 2, v36
	ds_store_b32 v37, v35
.LBB111_19:
	s_or_b32 exec_lo, exec_lo, s11
	v_cmp_lt_u32_e64 s10, 31, v9
	s_mov_b32 s35, exec_lo
	s_waitcnt lgkmcnt(0)
	s_barrier
	buffer_gl0_inv
	v_cmpx_gt_u32_e32 32, v9
	s_cbranch_execz .LBB111_21
; %bb.20:
	ds_load_b32 v37, v21
	s_waitcnt lgkmcnt(0)
	v_mov_b32_dpp v38, v37 row_shr:1 row_mask:0xf bank_mask:0xf
	s_delay_alu instid0(VALU_DEP_1) | instskip(NEXT) | instid1(VALU_DEP_1)
	v_cndmask_b32_e64 v38, v38, 0, s5
	v_add_nc_u32_e32 v37, v38, v37
	s_delay_alu instid0(VALU_DEP_1) | instskip(NEXT) | instid1(VALU_DEP_1)
	v_mov_b32_dpp v38, v37 row_shr:2 row_mask:0xf bank_mask:0xf
	v_cndmask_b32_e64 v38, 0, v38, s6
	s_delay_alu instid0(VALU_DEP_1) | instskip(NEXT) | instid1(VALU_DEP_1)
	v_add_nc_u32_e32 v37, v37, v38
	v_mov_b32_dpp v38, v37 row_shr:4 row_mask:0xf bank_mask:0xf
	s_delay_alu instid0(VALU_DEP_1) | instskip(NEXT) | instid1(VALU_DEP_1)
	v_cndmask_b32_e64 v38, 0, v38, s7
	v_add_nc_u32_e32 v37, v37, v38
	s_delay_alu instid0(VALU_DEP_1) | instskip(NEXT) | instid1(VALU_DEP_1)
	v_mov_b32_dpp v38, v37 row_shr:8 row_mask:0xf bank_mask:0xf
	v_cndmask_b32_e64 v38, 0, v38, s8
	s_delay_alu instid0(VALU_DEP_1) | instskip(SKIP_3) | instid1(VALU_DEP_1)
	v_add_nc_u32_e32 v37, v37, v38
	ds_swizzle_b32 v38, v37 offset:swizzle(BROADCAST,32,15)
	s_waitcnt lgkmcnt(0)
	v_cndmask_b32_e64 v38, v38, 0, s9
	v_add_nc_u32_e32 v37, v37, v38
	ds_store_b32 v21, v37
.LBB111_21:
	s_or_b32 exec_lo, exec_lo, s35
	v_mov_b32_e32 v21, 0
	s_waitcnt lgkmcnt(0)
	s_barrier
	buffer_gl0_inv
	s_and_saveexec_b32 s5, s10
	s_cbranch_execz .LBB111_23
; %bb.22:
	v_lshl_add_u32 v21, v36, 2, -4
	ds_load_b32 v21, v21
.LBB111_23:
	s_or_b32 exec_lo, exec_lo, s5
	v_add_nc_u32_e32 v36, -1, v18
	s_waitcnt lgkmcnt(0)
	v_add_nc_u32_e32 v35, v21, v35
	s_delay_alu instid0(VALU_DEP_2) | instskip(NEXT) | instid1(VALU_DEP_1)
	v_cmp_gt_i32_e64 s5, 0, v36
	v_cndmask_b32_e64 v36, v36, v18, s5
	v_cmp_eq_u32_e64 s5, 0, v18
	s_delay_alu instid0(VALU_DEP_2) | instskip(SKIP_4) | instid1(VALU_DEP_1)
	v_lshlrev_b32_e32 v36, 2, v36
	ds_bpermute_b32 v35, v36, v35
	s_waitcnt lgkmcnt(0)
	v_cndmask_b32_e64 v21, v35, v21, s5
	v_cmp_ne_u32_e64 s5, 0, v9
	v_cndmask_b32_e64 v21, 0, v21, s5
	v_cmp_gt_u32_e64 s5, 0x100, v9
	s_delay_alu instid0(VALU_DEP_2) | instskip(NEXT) | instid1(VALU_DEP_1)
	v_add_nc_u32_e32 v16, v21, v16
	v_add_nc_u32_e32 v17, v16, v17
	s_delay_alu instid0(VALU_DEP_1) | instskip(NEXT) | instid1(VALU_DEP_1)
	v_add_nc_u32_e32 v14, v17, v14
	v_add_nc_u32_e32 v15, v14, v15
	s_delay_alu instid0(VALU_DEP_1) | instskip(NEXT) | instid1(VALU_DEP_1)
	;; [unrolled: 3-line block ×3, first 2 shown]
	v_add_nc_u32_e32 v10, v13, v10
	v_add_nc_u32_e32 v11, v10, v11
	ds_store_2addr_b32 v23, v21, v16 offset0:32 offset1:33
	ds_store_2addr_b32 v34, v17, v14 offset0:2 offset1:3
	;; [unrolled: 1-line block ×4, first 2 shown]
	ds_store_b32 v34, v11 offset:32
	s_waitcnt lgkmcnt(0)
	s_barrier
	buffer_gl0_inv
	ds_load_b32 v14, v24 offset:128
	ds_load_b32 v15, v27 offset:128
	;; [unrolled: 1-line block ×4, first 2 shown]
                                        ; implicit-def: $vgpr12
                                        ; implicit-def: $vgpr13
	s_and_saveexec_b32 s7, s5
	s_cbranch_execz .LBB111_27
; %bb.24:
	v_mul_u32_u24_e32 v12, 33, v9
	s_mov_b32 s8, exec_lo
	s_delay_alu instid0(VALU_DEP_1)
	v_dual_mov_b32 v13, 0x1000 :: v_dual_lshlrev_b32 v16, 2, v12
	ds_load_b32 v12, v16 offset:128
	v_cmpx_ne_u32_e32 0xff, v9
	s_cbranch_execz .LBB111_26
; %bb.25:
	ds_load_b32 v13, v16 offset:260
.LBB111_26:
	s_or_b32 exec_lo, exec_lo, s8
	s_waitcnt lgkmcnt(0)
	v_sub_nc_u32_e32 v13, v13, v12
.LBB111_27:
	s_or_b32 exec_lo, exec_lo, s7
	v_add_nc_u32_e32 v17, v32, v31
	v_add_nc_u32_e32 v16, v26, v25
	;; [unrolled: 1-line block ×3, first 2 shown]
	s_waitcnt lgkmcnt(3)
	v_add_lshl_u32 v14, v14, v22, 3
	s_waitcnt lgkmcnt(0)
	v_add_lshl_u32 v17, v17, v10, 3
	v_add_lshl_u32 v15, v16, v15, 3
	v_add_lshl_u32 v16, v21, v11, 3
	s_barrier
	buffer_gl0_inv
	ds_store_b64 v14, v[1:2] offset:2048
	ds_store_b64 v15, v[3:4] offset:2048
	;; [unrolled: 1-line block ×4, first 2 shown]
	s_waitcnt lgkmcnt(0)
	s_barrier
	buffer_gl0_inv
	s_and_saveexec_b32 s7, s5
	s_cbranch_execz .LBB111_37
; %bb.28:
	v_lshl_or_b32 v3, s15, 8, v9
	v_dual_mov_b32 v4, 0 :: v_dual_mov_b32 v7, 0
	s_mov_b32 s8, 0
	s_mov_b32 s9, s15
	s_delay_alu instid0(VALU_DEP_1) | instskip(SKIP_1) | instid1(VALU_DEP_2)
	v_lshlrev_b64 v[1:2], 2, v[3:4]
	v_or_b32_e32 v3, 2.0, v13
	v_add_co_u32 v1, s6, s12, v1
	s_delay_alu instid0(VALU_DEP_1)
	v_add_co_ci_u32_e64 v2, s6, s13, v2, s6
                                        ; implicit-def: $sgpr6
	global_store_b32 v[1:2], v3, off
	s_branch .LBB111_30
	.p2align	6
.LBB111_29:                             ;   in Loop: Header=BB111_30 Depth=1
	s_or_b32 exec_lo, exec_lo, s10
	v_and_b32_e32 v5, 0x3fffffff, v8
	v_cmp_eq_u32_e64 s6, 0x80000000, v3
	s_delay_alu instid0(VALU_DEP_2) | instskip(NEXT) | instid1(VALU_DEP_2)
	v_add_nc_u32_e32 v7, v5, v7
	s_and_b32 s10, exec_lo, s6
	s_delay_alu instid0(SALU_CYCLE_1) | instskip(NEXT) | instid1(SALU_CYCLE_1)
	s_or_b32 s8, s10, s8
	s_and_not1_b32 exec_lo, exec_lo, s8
	s_cbranch_execz .LBB111_36
.LBB111_30:                             ; =>This Loop Header: Depth=1
                                        ;     Child Loop BB111_33 Depth 2
	s_or_b32 s6, s6, exec_lo
	s_cmp_eq_u32 s9, 0
	s_cbranch_scc1 .LBB111_35
; %bb.31:                               ;   in Loop: Header=BB111_30 Depth=1
	s_add_i32 s9, s9, -1
	s_mov_b32 s10, exec_lo
	v_lshl_or_b32 v3, s9, 8, v9
	s_delay_alu instid0(VALU_DEP_1) | instskip(NEXT) | instid1(VALU_DEP_1)
	v_lshlrev_b64 v[5:6], 2, v[3:4]
	v_add_co_u32 v5, s6, s12, v5
	s_delay_alu instid0(VALU_DEP_1) | instskip(SKIP_3) | instid1(VALU_DEP_1)
	v_add_co_ci_u32_e64 v6, s6, s13, v6, s6
	global_load_b32 v8, v[5:6], off glc
	s_waitcnt vmcnt(0)
	v_and_b32_e32 v3, -2.0, v8
	v_cmpx_eq_u32_e32 0, v3
	s_cbranch_execz .LBB111_29
; %bb.32:                               ;   in Loop: Header=BB111_30 Depth=1
	s_mov_b32 s11, 0
.LBB111_33:                             ;   Parent Loop BB111_30 Depth=1
                                        ; =>  This Inner Loop Header: Depth=2
	global_load_b32 v8, v[5:6], off glc
	s_waitcnt vmcnt(0)
	v_and_b32_e32 v3, -2.0, v8
	s_delay_alu instid0(VALU_DEP_1) | instskip(NEXT) | instid1(VALU_DEP_1)
	v_cmp_ne_u32_e64 s6, 0, v3
	s_or_b32 s11, s6, s11
	s_delay_alu instid0(SALU_CYCLE_1)
	s_and_not1_b32 exec_lo, exec_lo, s11
	s_cbranch_execnz .LBB111_33
; %bb.34:                               ;   in Loop: Header=BB111_30 Depth=1
	s_or_b32 exec_lo, exec_lo, s11
	s_branch .LBB111_29
.LBB111_35:                             ;   in Loop: Header=BB111_30 Depth=1
                                        ; implicit-def: $sgpr9
	s_and_b32 s10, exec_lo, s6
	s_delay_alu instid0(SALU_CYCLE_1) | instskip(NEXT) | instid1(SALU_CYCLE_1)
	s_or_b32 s8, s10, s8
	s_and_not1_b32 exec_lo, exec_lo, s8
	s_cbranch_execnz .LBB111_30
.LBB111_36:
	s_or_b32 exec_lo, exec_lo, s8
	v_add_nc_u32_e32 v3, v7, v13
	v_lshlrev_b32_e32 v4, 3, v9
	s_delay_alu instid0(VALU_DEP_2) | instskip(SKIP_3) | instid1(VALU_DEP_1)
	v_or_b32_e32 v3, 0x80000000, v3
	global_store_b32 v[1:2], v3, off
	global_load_b64 v[1:2], v4, s[24:25]
	v_sub_co_u32 v3, s6, v7, v12
	v_sub_co_ci_u32_e64 v5, null, 0, 0, s6
	s_waitcnt vmcnt(0)
	s_delay_alu instid0(VALU_DEP_2) | instskip(NEXT) | instid1(VALU_DEP_1)
	v_add_co_u32 v1, s6, v3, v1
	v_add_co_ci_u32_e64 v2, s6, v5, v2, s6
	ds_store_b64 v4, v[1:2]
.LBB111_37:
	s_or_b32 exec_lo, exec_lo, s7
	v_cmp_gt_u32_e64 s6, s33, v9
	v_lshlrev_b32_e32 v21, 3, v9
	s_waitcnt lgkmcnt(0)
	s_waitcnt_vscnt null, 0x0
	s_barrier
	buffer_gl0_inv
	s_and_saveexec_b32 s8, s6
	s_cbranch_execz .LBB111_39
; %bb.38:
	ds_load_b64 v[1:2], v21 offset:2048
	s_waitcnt lgkmcnt(0)
	v_lshrrev_b64 v[3:4], s28, v[1:2]
	v_xor_b32_e32 v2, 0x7fffffff, v2
	v_not_b32_e32 v1, v1
	s_delay_alu instid0(VALU_DEP_3) | instskip(NEXT) | instid1(VALU_DEP_1)
	v_and_b32_e32 v3, s34, v3
	v_lshlrev_b32_e32 v3, 3, v3
	ds_load_b64 v[3:4], v3
	s_waitcnt lgkmcnt(0)
	v_lshlrev_b64 v[3:4], 3, v[3:4]
	s_delay_alu instid0(VALU_DEP_1) | instskip(NEXT) | instid1(VALU_DEP_1)
	v_add_co_u32 v3, s7, s18, v3
	v_add_co_ci_u32_e64 v4, s7, s19, v4, s7
	s_delay_alu instid0(VALU_DEP_2) | instskip(NEXT) | instid1(VALU_DEP_1)
	v_add_co_u32 v3, s7, v3, v21
	v_add_co_ci_u32_e64 v4, s7, 0, v4, s7
	global_store_b64 v[3:4], v[1:2], off
.LBB111_39:
	s_or_b32 exec_lo, exec_lo, s8
	v_or_b32_e32 v1, 0x400, v9
	s_delay_alu instid0(VALU_DEP_1) | instskip(SKIP_1) | instid1(VALU_DEP_2)
	v_cmp_gt_u32_e64 s7, s33, v1
	v_lshlrev_b32_e32 v22, 3, v1
	s_and_saveexec_b32 s9, s7
	s_cbranch_execz .LBB111_41
; %bb.40:
	ds_load_b64 v[1:2], v21 offset:10240
	s_waitcnt lgkmcnt(0)
	v_lshrrev_b64 v[3:4], s28, v[1:2]
	v_xor_b32_e32 v2, 0x7fffffff, v2
	v_not_b32_e32 v1, v1
	s_delay_alu instid0(VALU_DEP_3) | instskip(NEXT) | instid1(VALU_DEP_1)
	v_and_b32_e32 v3, s34, v3
	v_lshlrev_b32_e32 v3, 3, v3
	ds_load_b64 v[3:4], v3
	s_waitcnt lgkmcnt(0)
	v_lshlrev_b64 v[3:4], 3, v[3:4]
	s_delay_alu instid0(VALU_DEP_1) | instskip(NEXT) | instid1(VALU_DEP_1)
	v_add_co_u32 v3, s8, s18, v3
	v_add_co_ci_u32_e64 v4, s8, s19, v4, s8
	s_delay_alu instid0(VALU_DEP_2) | instskip(NEXT) | instid1(VALU_DEP_1)
	v_add_co_u32 v3, s8, v3, v22
	v_add_co_ci_u32_e64 v4, s8, 0, v4, s8
	global_store_b64 v[3:4], v[1:2], off
.LBB111_41:
	s_or_b32 exec_lo, exec_lo, s9
	v_or_b32_e32 v1, 0x800, v9
	s_delay_alu instid0(VALU_DEP_1) | instskip(SKIP_1) | instid1(VALU_DEP_2)
	v_cmp_gt_u32_e64 s8, s33, v1
	v_lshlrev_b32_e32 v23, 3, v1
	;; [unrolled: 27-line block ×3, first 2 shown]
	s_and_saveexec_b32 s11, s9
	s_cbranch_execz .LBB111_45
; %bb.44:
	ds_load_b64 v[1:2], v21 offset:26624
	s_waitcnt lgkmcnt(0)
	v_lshrrev_b64 v[3:4], s28, v[1:2]
	v_xor_b32_e32 v2, 0x7fffffff, v2
	v_not_b32_e32 v1, v1
	s_delay_alu instid0(VALU_DEP_3) | instskip(NEXT) | instid1(VALU_DEP_1)
	v_and_b32_e32 v3, s34, v3
	v_lshlrev_b32_e32 v3, 3, v3
	ds_load_b64 v[3:4], v3
	s_waitcnt lgkmcnt(0)
	v_lshlrev_b64 v[3:4], 3, v[3:4]
	s_delay_alu instid0(VALU_DEP_1) | instskip(NEXT) | instid1(VALU_DEP_1)
	v_add_co_u32 v3, s10, s18, v3
	v_add_co_ci_u32_e64 v4, s10, s19, v4, s10
	s_delay_alu instid0(VALU_DEP_2) | instskip(NEXT) | instid1(VALU_DEP_1)
	v_add_co_u32 v3, s10, v3, v24
	v_add_co_ci_u32_e64 v4, s10, 0, v4, s10
	global_store_b64 v[3:4], v[1:2], off
.LBB111_45:
	s_or_b32 exec_lo, exec_lo, s11
	s_add_u32 s10, s20, s30
	s_addc_u32 s11, s21, s31
	v_add_co_u32 v1, s10, s10, v19
	s_delay_alu instid0(VALU_DEP_1) | instskip(NEXT) | instid1(VALU_DEP_2)
	v_add_co_ci_u32_e64 v2, null, s11, 0, s10
	v_add_co_u32 v10, s10, v1, v20
	s_delay_alu instid0(VALU_DEP_1) | instskip(SKIP_1) | instid1(SALU_CYCLE_1)
	v_add_co_ci_u32_e64 v11, s10, 0, v2, s10
                                        ; implicit-def: $vgpr1_vgpr2
	s_and_saveexec_b32 s10, vcc_lo
	s_xor_b32 s10, exec_lo, s10
	s_cbranch_execnz .LBB111_103
; %bb.46:
	s_or_b32 exec_lo, exec_lo, s10
                                        ; implicit-def: $vgpr3_vgpr4
	s_and_saveexec_b32 s10, s2
	s_cbranch_execnz .LBB111_104
.LBB111_47:
	s_or_b32 exec_lo, exec_lo, s10
                                        ; implicit-def: $vgpr5_vgpr6
	s_and_saveexec_b32 s2, s3
	s_cbranch_execnz .LBB111_105
.LBB111_48:
	s_or_b32 exec_lo, exec_lo, s2
                                        ; implicit-def: $vgpr7_vgpr8
	s_and_saveexec_b32 s2, s4
	s_cbranch_execz .LBB111_50
.LBB111_49:
	global_load_b64 v[7:8], v[10:11], off offset:768
.LBB111_50:
	s_or_b32 exec_lo, exec_lo, s2
	v_dual_mov_b32 v11, 0 :: v_dual_mov_b32 v20, 0
	s_and_saveexec_b32 s2, s6
	s_cbranch_execz .LBB111_52
; %bb.51:
	ds_load_b64 v[19:20], v21 offset:2048
	s_waitcnt lgkmcnt(0)
	v_lshrrev_b64 v[19:20], s28, v[19:20]
	s_delay_alu instid0(VALU_DEP_1)
	v_and_b32_e32 v20, s34, v19
.LBB111_52:
	s_or_b32 exec_lo, exec_lo, s2
	s_and_saveexec_b32 s2, s7
	s_cbranch_execz .LBB111_54
; %bb.53:
	ds_load_b64 v[10:11], v21 offset:10240
	s_waitcnt lgkmcnt(0)
	v_lshrrev_b64 v[10:11], s28, v[10:11]
	s_delay_alu instid0(VALU_DEP_1)
	v_and_b32_e32 v11, s34, v10
.LBB111_54:
	s_or_b32 exec_lo, exec_lo, s2
	v_dual_mov_b32 v10, 0 :: v_dual_mov_b32 v19, 0
	s_and_saveexec_b32 s2, s8
	s_cbranch_execz .LBB111_56
; %bb.55:
	ds_load_b64 v[25:26], v21 offset:18432
	s_waitcnt lgkmcnt(0)
	v_lshrrev_b64 v[25:26], s28, v[25:26]
	s_delay_alu instid0(VALU_DEP_1)
	v_and_b32_e32 v19, s34, v25
.LBB111_56:
	s_or_b32 exec_lo, exec_lo, s2
	s_and_saveexec_b32 s2, s9
	s_cbranch_execz .LBB111_58
; %bb.57:
	ds_load_b64 v[25:26], v21 offset:26624
	s_waitcnt lgkmcnt(0)
	v_lshrrev_b64 v[25:26], s28, v[25:26]
	s_delay_alu instid0(VALU_DEP_1)
	v_and_b32_e32 v10, s34, v25
.LBB111_58:
	s_or_b32 exec_lo, exec_lo, s2
	s_waitcnt vmcnt(0)
	s_waitcnt_vscnt null, 0x0
	s_barrier
	buffer_gl0_inv
	ds_store_b64 v14, v[1:2] offset:2048
	ds_store_b64 v15, v[3:4] offset:2048
	;; [unrolled: 1-line block ×4, first 2 shown]
	s_waitcnt lgkmcnt(0)
	s_barrier
	buffer_gl0_inv
	s_and_saveexec_b32 s2, s6
	s_cbranch_execnz .LBB111_106
; %bb.59:
	s_or_b32 exec_lo, exec_lo, s2
	s_and_saveexec_b32 s2, s7
	s_cbranch_execnz .LBB111_107
.LBB111_60:
	s_or_b32 exec_lo, exec_lo, s2
	s_and_saveexec_b32 s2, s8
	s_cbranch_execnz .LBB111_108
.LBB111_61:
	s_or_b32 exec_lo, exec_lo, s2
	s_and_saveexec_b32 s2, s9
	s_cbranch_execz .LBB111_63
.LBB111_62:
	v_lshlrev_b32_e32 v1, 3, v10
	ds_load_b64 v[1:2], v1
	ds_load_b64 v[3:4], v21 offset:26624
	s_waitcnt lgkmcnt(1)
	v_lshlrev_b64 v[1:2], 3, v[1:2]
	s_delay_alu instid0(VALU_DEP_1) | instskip(NEXT) | instid1(VALU_DEP_2)
	v_add_co_u32 v1, vcc_lo, s22, v1
	v_add_co_ci_u32_e32 v2, vcc_lo, s23, v2, vcc_lo
	s_delay_alu instid0(VALU_DEP_2) | instskip(NEXT) | instid1(VALU_DEP_2)
	v_add_co_u32 v1, vcc_lo, v1, v24
	v_add_co_ci_u32_e32 v2, vcc_lo, 0, v2, vcc_lo
	s_waitcnt lgkmcnt(0)
	global_store_b64 v[1:2], v[3:4], off
.LBB111_63:
	s_or_b32 exec_lo, exec_lo, s2
	s_add_i32 s14, s14, -1
	s_mov_b32 s2, 0
	s_cmp_eq_u32 s15, s14
	s_mov_b32 s8, 0
	s_cselect_b32 s3, -1, 0
                                        ; implicit-def: $vgpr1_vgpr2
	s_delay_alu instid0(SALU_CYCLE_1) | instskip(NEXT) | instid1(SALU_CYCLE_1)
	s_and_b32 s3, s5, s3
	s_and_saveexec_b32 s4, s3
	s_delay_alu instid0(SALU_CYCLE_1)
	s_xor_b32 s3, exec_lo, s4
; %bb.64:
	v_add_co_u32 v1, s4, v12, v13
	v_mov_b32_e32 v10, 0
	v_add_co_ci_u32_e64 v2, null, 0, 0, s4
	s_mov_b32 s8, exec_lo
; %bb.65:
	s_or_b32 exec_lo, exec_lo, s3
	s_delay_alu instid0(SALU_CYCLE_1)
	s_and_b32 vcc_lo, exec_lo, s2
	s_cbranch_vccnz .LBB111_67
	s_branch .LBB111_100
.LBB111_66:
	s_mov_b32 s8, 0
                                        ; implicit-def: $vgpr1_vgpr2
	s_cbranch_execz .LBB111_100
.LBB111_67:
	v_lshlrev_b32_e32 v21, 2, v9
	s_lshl_b32 s2, s15, 12
	s_mov_b32 s3, 0
	v_dual_mov_b32 v13, 0 :: v_dual_lshlrev_b32 v20, 3, v18
	s_delay_alu instid0(VALU_DEP_2) | instskip(SKIP_1) | instid1(SALU_CYCLE_1)
	v_and_b32_e32 v1, 0xf80, v21
	s_lshl_b64 s[6:7], s[2:3], 3
	s_add_u32 s2, s16, s6
	s_addc_u32 s3, s17, s7
	s_delay_alu instid0(VALU_DEP_1) | instskip(SKIP_1) | instid1(VALU_DEP_1)
	v_lshlrev_b32_e32 v19, 3, v1
	v_add_co_u32 v1, s2, s2, v20
	v_add_co_ci_u32_e64 v2, null, s3, 0, s2
	s_delay_alu instid0(VALU_DEP_2) | instskip(NEXT) | instid1(VALU_DEP_2)
	v_add_co_u32 v1, vcc_lo, v1, v19
	v_add_co_ci_u32_e32 v2, vcc_lo, 0, v2, vcc_lo
	global_load_b64 v[10:11], v[1:2], off
	s_clause 0x1
	s_load_b32 s2, s[0:1], 0x5c
	s_load_b32 s9, s[0:1], 0x50
	s_add_u32 s0, s0, 0x50
	s_addc_u32 s1, s1, 0
	s_waitcnt lgkmcnt(0)
	s_lshr_b32 s2, s2, 16
	s_cmp_lt_u32 s15, s9
	s_cselect_b32 s3, 12, 18
	s_delay_alu instid0(SALU_CYCLE_1)
	s_add_u32 s0, s0, s3
	s_addc_u32 s1, s1, 0
	global_load_u16 v14, v13, s[0:1]
	s_clause 0x2
	global_load_b64 v[3:4], v[1:2], off offset:256
	global_load_b64 v[7:8], v[1:2], off offset:512
	;; [unrolled: 1-line block ×3, first 2 shown]
	s_lshl_b32 s0, -1, s29
	s_delay_alu instid0(SALU_CYCLE_1) | instskip(SKIP_3) | instid1(VALU_DEP_1)
	s_not_b32 s10, s0
	s_waitcnt vmcnt(4)
	v_xor_b32_e32 v2, 0x7fffffff, v11
	v_not_b32_e32 v1, v10
	v_lshrrev_b64 v[10:11], s28, v[1:2]
	s_delay_alu instid0(VALU_DEP_1) | instskip(SKIP_2) | instid1(VALU_DEP_3)
	v_and_b32_e32 v15, s10, v10
	v_bfe_u32 v10, v0, 10, 10
	v_bfe_u32 v0, v0, 20, 10
	v_and_b32_e32 v11, 1, v15
	v_lshlrev_b32_e32 v12, 30, v15
	v_lshlrev_b32_e32 v16, 29, v15
	v_lshlrev_b32_e32 v17, 28, v15
	v_lshlrev_b32_e32 v23, 27, v15
	v_add_co_u32 v11, s0, v11, -1
	s_delay_alu instid0(VALU_DEP_1)
	v_cndmask_b32_e64 v22, 0, 1, s0
	v_not_b32_e32 v26, v12
	v_cmp_gt_i32_e64 s0, 0, v12
	v_not_b32_e32 v12, v16
	v_lshlrev_b32_e32 v24, 26, v15
	v_cmp_ne_u32_e32 vcc_lo, 0, v22
	v_ashrrev_i32_e32 v26, 31, v26
	v_lshlrev_b32_e32 v25, 25, v15
	v_ashrrev_i32_e32 v12, 31, v12
	v_lshlrev_b32_e32 v22, 24, v15
	v_xor_b32_e32 v11, vcc_lo, v11
	v_cmp_gt_i32_e32 vcc_lo, 0, v16
	v_not_b32_e32 v16, v17
	v_xor_b32_e32 v26, s0, v26
	v_cmp_gt_i32_e64 s0, 0, v17
	v_and_b32_e32 v11, exec_lo, v11
	v_not_b32_e32 v17, v23
	v_ashrrev_i32_e32 v16, 31, v16
	v_xor_b32_e32 v12, vcc_lo, v12
	v_cmp_gt_i32_e32 vcc_lo, 0, v23
	v_and_b32_e32 v11, v11, v26
	v_not_b32_e32 v23, v24
	v_ashrrev_i32_e32 v17, 31, v17
	v_xor_b32_e32 v16, s0, v16
	v_cmp_gt_i32_e64 s0, 0, v24
	v_and_b32_e32 v11, v11, v12
	v_not_b32_e32 v12, v25
	v_ashrrev_i32_e32 v23, 31, v23
	v_xor_b32_e32 v17, vcc_lo, v17
	v_cmp_gt_i32_e32 vcc_lo, 0, v25
	v_and_b32_e32 v11, v11, v16
	v_not_b32_e32 v16, v22
	v_ashrrev_i32_e32 v12, 31, v12
	v_xor_b32_e32 v23, s0, v23
	v_cmp_gt_i32_e64 s0, 0, v22
	v_and_b32_e32 v11, v11, v17
	v_ashrrev_i32_e32 v16, 31, v16
	v_xor_b32_e32 v12, vcc_lo, v12
	v_mad_u32_u24 v0, v0, s2, v10
	v_mul_u32_u24_e32 v17, 9, v9
	v_and_b32_e32 v11, v11, v23
	v_xor_b32_e32 v10, s0, v16
	s_delay_alu instid0(VALU_DEP_3) | instskip(NEXT) | instid1(VALU_DEP_3)
	v_lshlrev_b32_e32 v22, 2, v17
	v_and_b32_e32 v16, v11, v12
	s_waitcnt vmcnt(3)
	s_delay_alu instid0(VALU_DEP_3)
	v_mad_u64_u32 v[11:12], null, v0, v14, v[9:10]
	ds_store_2addr_b32 v22, v13, v13 offset0:32 offset1:33
	ds_store_2addr_b32 v22, v13, v13 offset0:34 offset1:35
	;; [unrolled: 1-line block ×4, first 2 shown]
	v_and_b32_e32 v10, v16, v10
	ds_store_b32 v22, v13 offset:160
	s_waitcnt vmcnt(0) lgkmcnt(0)
	s_waitcnt_vscnt null, 0x0
	s_barrier
	v_lshrrev_b32_e32 v12, 5, v11
	v_mbcnt_lo_u32_b32 v0, v10, 0
	v_lshl_add_u32 v11, v15, 5, v15
	v_cmp_ne_u32_e64 s0, 0, v10
	buffer_gl0_inv
	v_cmp_eq_u32_e32 vcc_lo, 0, v0
	v_add_lshl_u32 v23, v12, v11, 2
	; wave barrier
	s_and_b32 s1, s0, vcc_lo
	s_delay_alu instid0(SALU_CYCLE_1)
	s_and_saveexec_b32 s0, s1
	s_cbranch_execz .LBB111_69
; %bb.68:
	v_bcnt_u32_b32 v10, v10, 0
	ds_store_b32 v23, v10 offset:128
.LBB111_69:
	s_or_b32 exec_lo, exec_lo, s0
	v_xor_b32_e32 v4, 0x7fffffff, v4
	v_not_b32_e32 v3, v3
	; wave barrier
	s_delay_alu instid0(VALU_DEP_1) | instskip(NEXT) | instid1(VALU_DEP_1)
	v_lshrrev_b64 v[10:11], s28, v[3:4]
	v_and_b32_e32 v10, s10, v10
	s_delay_alu instid0(VALU_DEP_1)
	v_and_b32_e32 v11, 1, v10
	v_lshlrev_b32_e32 v13, 30, v10
	v_lshlrev_b32_e32 v14, 29, v10
	;; [unrolled: 1-line block ×4, first 2 shown]
	v_add_co_u32 v11, s0, v11, -1
	s_delay_alu instid0(VALU_DEP_1)
	v_cndmask_b32_e64 v16, 0, 1, s0
	v_not_b32_e32 v26, v13
	v_cmp_gt_i32_e64 s0, 0, v13
	v_not_b32_e32 v13, v14
	v_lshlrev_b32_e32 v24, 26, v10
	v_cmp_ne_u32_e32 vcc_lo, 0, v16
	v_ashrrev_i32_e32 v26, 31, v26
	v_lshlrev_b32_e32 v25, 25, v10
	v_ashrrev_i32_e32 v13, 31, v13
	v_lshlrev_b32_e32 v16, 24, v10
	v_xor_b32_e32 v11, vcc_lo, v11
	v_cmp_gt_i32_e32 vcc_lo, 0, v14
	v_not_b32_e32 v14, v15
	v_xor_b32_e32 v26, s0, v26
	v_cmp_gt_i32_e64 s0, 0, v15
	v_and_b32_e32 v11, exec_lo, v11
	v_not_b32_e32 v15, v17
	v_ashrrev_i32_e32 v14, 31, v14
	v_xor_b32_e32 v13, vcc_lo, v13
	v_cmp_gt_i32_e32 vcc_lo, 0, v17
	v_and_b32_e32 v11, v11, v26
	v_not_b32_e32 v17, v24
	v_ashrrev_i32_e32 v15, 31, v15
	v_xor_b32_e32 v14, s0, v14
	v_cmp_gt_i32_e64 s0, 0, v24
	v_and_b32_e32 v11, v11, v13
	v_not_b32_e32 v13, v25
	v_ashrrev_i32_e32 v17, 31, v17
	v_xor_b32_e32 v15, vcc_lo, v15
	v_cmp_gt_i32_e32 vcc_lo, 0, v25
	v_and_b32_e32 v11, v11, v14
	v_not_b32_e32 v14, v16
	v_ashrrev_i32_e32 v13, 31, v13
	v_xor_b32_e32 v17, s0, v17
	v_lshl_add_u32 v10, v10, 5, v10
	v_and_b32_e32 v11, v11, v15
	v_cmp_gt_i32_e64 s0, 0, v16
	v_ashrrev_i32_e32 v14, 31, v14
	v_xor_b32_e32 v13, vcc_lo, v13
	v_add_lshl_u32 v26, v12, v10, 2
	v_and_b32_e32 v11, v11, v17
	s_delay_alu instid0(VALU_DEP_4) | instskip(SKIP_2) | instid1(VALU_DEP_1)
	v_xor_b32_e32 v10, s0, v14
	ds_load_b32 v24, v26 offset:128
	v_and_b32_e32 v11, v11, v13
	; wave barrier
	v_and_b32_e32 v10, v11, v10
	s_delay_alu instid0(VALU_DEP_1) | instskip(SKIP_1) | instid1(VALU_DEP_2)
	v_mbcnt_lo_u32_b32 v25, v10, 0
	v_cmp_ne_u32_e64 s0, 0, v10
	v_cmp_eq_u32_e32 vcc_lo, 0, v25
	s_delay_alu instid0(VALU_DEP_2) | instskip(NEXT) | instid1(SALU_CYCLE_1)
	s_and_b32 s1, s0, vcc_lo
	s_and_saveexec_b32 s0, s1
	s_cbranch_execz .LBB111_71
; %bb.70:
	s_waitcnt lgkmcnt(0)
	v_bcnt_u32_b32 v10, v10, v24
	ds_store_b32 v26, v10 offset:128
.LBB111_71:
	s_or_b32 exec_lo, exec_lo, s0
	v_xor_b32_e32 v8, 0x7fffffff, v8
	v_not_b32_e32 v7, v7
	; wave barrier
	s_delay_alu instid0(VALU_DEP_1) | instskip(NEXT) | instid1(VALU_DEP_1)
	v_lshrrev_b64 v[10:11], s28, v[7:8]
	v_and_b32_e32 v10, s10, v10
	s_delay_alu instid0(VALU_DEP_1)
	v_and_b32_e32 v11, 1, v10
	v_lshlrev_b32_e32 v13, 30, v10
	v_lshlrev_b32_e32 v14, 29, v10
	;; [unrolled: 1-line block ×4, first 2 shown]
	v_add_co_u32 v11, s0, v11, -1
	s_delay_alu instid0(VALU_DEP_1)
	v_cndmask_b32_e64 v16, 0, 1, s0
	v_not_b32_e32 v29, v13
	v_cmp_gt_i32_e64 s0, 0, v13
	v_not_b32_e32 v13, v14
	v_lshlrev_b32_e32 v27, 26, v10
	v_cmp_ne_u32_e32 vcc_lo, 0, v16
	v_ashrrev_i32_e32 v29, 31, v29
	v_lshlrev_b32_e32 v28, 25, v10
	v_ashrrev_i32_e32 v13, 31, v13
	v_lshlrev_b32_e32 v16, 24, v10
	v_xor_b32_e32 v11, vcc_lo, v11
	v_cmp_gt_i32_e32 vcc_lo, 0, v14
	v_not_b32_e32 v14, v15
	v_xor_b32_e32 v29, s0, v29
	v_cmp_gt_i32_e64 s0, 0, v15
	v_and_b32_e32 v11, exec_lo, v11
	v_not_b32_e32 v15, v17
	v_ashrrev_i32_e32 v14, 31, v14
	v_xor_b32_e32 v13, vcc_lo, v13
	v_cmp_gt_i32_e32 vcc_lo, 0, v17
	v_and_b32_e32 v11, v11, v29
	v_not_b32_e32 v17, v27
	v_ashrrev_i32_e32 v15, 31, v15
	v_xor_b32_e32 v14, s0, v14
	v_cmp_gt_i32_e64 s0, 0, v27
	v_and_b32_e32 v11, v11, v13
	v_not_b32_e32 v13, v28
	v_ashrrev_i32_e32 v17, 31, v17
	v_xor_b32_e32 v15, vcc_lo, v15
	v_cmp_gt_i32_e32 vcc_lo, 0, v28
	v_and_b32_e32 v11, v11, v14
	v_not_b32_e32 v14, v16
	v_ashrrev_i32_e32 v13, 31, v13
	v_xor_b32_e32 v17, s0, v17
	v_lshl_add_u32 v10, v10, 5, v10
	v_and_b32_e32 v11, v11, v15
	v_cmp_gt_i32_e64 s0, 0, v16
	v_ashrrev_i32_e32 v14, 31, v14
	v_xor_b32_e32 v13, vcc_lo, v13
	v_add_lshl_u32 v29, v12, v10, 2
	v_and_b32_e32 v11, v11, v17
	s_delay_alu instid0(VALU_DEP_4) | instskip(SKIP_2) | instid1(VALU_DEP_1)
	v_xor_b32_e32 v10, s0, v14
	ds_load_b32 v27, v29 offset:128
	v_and_b32_e32 v11, v11, v13
	; wave barrier
	v_and_b32_e32 v10, v11, v10
	s_delay_alu instid0(VALU_DEP_1) | instskip(SKIP_1) | instid1(VALU_DEP_2)
	v_mbcnt_lo_u32_b32 v28, v10, 0
	v_cmp_ne_u32_e64 s0, 0, v10
	v_cmp_eq_u32_e32 vcc_lo, 0, v28
	s_delay_alu instid0(VALU_DEP_2) | instskip(NEXT) | instid1(SALU_CYCLE_1)
	s_and_b32 s1, s0, vcc_lo
	s_and_saveexec_b32 s0, s1
	s_cbranch_execz .LBB111_73
; %bb.72:
	s_waitcnt lgkmcnt(0)
	v_bcnt_u32_b32 v10, v10, v27
	ds_store_b32 v29, v10 offset:128
.LBB111_73:
	s_or_b32 exec_lo, exec_lo, s0
	v_xor_b32_e32 v11, 0x7fffffff, v6
	v_not_b32_e32 v10, v5
	; wave barrier
	v_add_nc_u32_e32 v33, 0x80, v22
	s_delay_alu instid0(VALU_DEP_2) | instskip(NEXT) | instid1(VALU_DEP_1)
	v_lshrrev_b64 v[5:6], s28, v[10:11]
	v_and_b32_e32 v5, s10, v5
	s_delay_alu instid0(VALU_DEP_1)
	v_and_b32_e32 v6, 1, v5
	v_lshlrev_b32_e32 v13, 30, v5
	v_lshlrev_b32_e32 v14, 29, v5
	;; [unrolled: 1-line block ×4, first 2 shown]
	v_add_co_u32 v6, s0, v6, -1
	s_delay_alu instid0(VALU_DEP_1)
	v_cndmask_b32_e64 v16, 0, 1, s0
	v_not_b32_e32 v32, v13
	v_cmp_gt_i32_e64 s0, 0, v13
	v_not_b32_e32 v13, v14
	v_lshlrev_b32_e32 v30, 26, v5
	v_cmp_ne_u32_e32 vcc_lo, 0, v16
	v_ashrrev_i32_e32 v32, 31, v32
	v_lshlrev_b32_e32 v31, 25, v5
	v_ashrrev_i32_e32 v13, 31, v13
	v_lshlrev_b32_e32 v16, 24, v5
	v_xor_b32_e32 v6, vcc_lo, v6
	v_cmp_gt_i32_e32 vcc_lo, 0, v14
	v_not_b32_e32 v14, v15
	v_xor_b32_e32 v32, s0, v32
	v_cmp_gt_i32_e64 s0, 0, v15
	v_and_b32_e32 v6, exec_lo, v6
	v_not_b32_e32 v15, v17
	v_ashrrev_i32_e32 v14, 31, v14
	v_xor_b32_e32 v13, vcc_lo, v13
	v_cmp_gt_i32_e32 vcc_lo, 0, v17
	v_and_b32_e32 v6, v6, v32
	v_not_b32_e32 v17, v30
	v_ashrrev_i32_e32 v15, 31, v15
	v_xor_b32_e32 v14, s0, v14
	v_cmp_gt_i32_e64 s0, 0, v30
	v_and_b32_e32 v6, v6, v13
	v_not_b32_e32 v13, v31
	v_ashrrev_i32_e32 v17, 31, v17
	v_xor_b32_e32 v15, vcc_lo, v15
	v_cmp_gt_i32_e32 vcc_lo, 0, v31
	v_and_b32_e32 v6, v6, v14
	v_not_b32_e32 v14, v16
	v_ashrrev_i32_e32 v13, 31, v13
	v_xor_b32_e32 v17, s0, v17
	v_lshl_add_u32 v5, v5, 5, v5
	v_and_b32_e32 v6, v6, v15
	v_cmp_gt_i32_e64 s0, 0, v16
	v_ashrrev_i32_e32 v14, 31, v14
	v_xor_b32_e32 v13, vcc_lo, v13
	v_add_lshl_u32 v32, v12, v5, 2
	v_and_b32_e32 v6, v6, v17
	s_delay_alu instid0(VALU_DEP_4) | instskip(SKIP_2) | instid1(VALU_DEP_1)
	v_xor_b32_e32 v5, s0, v14
	ds_load_b32 v30, v32 offset:128
	v_and_b32_e32 v6, v6, v13
	; wave barrier
	v_and_b32_e32 v5, v6, v5
	s_delay_alu instid0(VALU_DEP_1) | instskip(SKIP_1) | instid1(VALU_DEP_2)
	v_mbcnt_lo_u32_b32 v31, v5, 0
	v_cmp_ne_u32_e64 s0, 0, v5
	v_cmp_eq_u32_e32 vcc_lo, 0, v31
	s_delay_alu instid0(VALU_DEP_2) | instskip(NEXT) | instid1(SALU_CYCLE_1)
	s_and_b32 s1, s0, vcc_lo
	s_and_saveexec_b32 s0, s1
	s_cbranch_execz .LBB111_75
; %bb.74:
	s_waitcnt lgkmcnt(0)
	v_bcnt_u32_b32 v5, v5, v30
	ds_store_b32 v32, v5 offset:128
.LBB111_75:
	s_or_b32 exec_lo, exec_lo, s0
	; wave barrier
	s_waitcnt lgkmcnt(0)
	s_barrier
	buffer_gl0_inv
	ds_load_2addr_b32 v[16:17], v22 offset0:32 offset1:33
	ds_load_2addr_b32 v[14:15], v33 offset0:2 offset1:3
	;; [unrolled: 1-line block ×4, first 2 shown]
	ds_load_b32 v34, v33 offset:32
	v_and_b32_e32 v37, 16, v18
	v_and_b32_e32 v38, 31, v9
	s_mov_b32 s5, exec_lo
	s_delay_alu instid0(VALU_DEP_2) | instskip(SKIP_3) | instid1(VALU_DEP_1)
	v_cmp_eq_u32_e64 s3, 0, v37
	s_waitcnt lgkmcnt(3)
	v_add3_u32 v35, v17, v16, v14
	s_waitcnt lgkmcnt(2)
	v_add3_u32 v35, v35, v15, v12
	s_waitcnt lgkmcnt(1)
	s_delay_alu instid0(VALU_DEP_1) | instskip(SKIP_1) | instid1(VALU_DEP_1)
	v_add3_u32 v35, v35, v13, v5
	s_waitcnt lgkmcnt(0)
	v_add3_u32 v34, v35, v6, v34
	v_and_b32_e32 v35, 15, v18
	s_delay_alu instid0(VALU_DEP_2) | instskip(NEXT) | instid1(VALU_DEP_2)
	v_mov_b32_dpp v36, v34 row_shr:1 row_mask:0xf bank_mask:0xf
	v_cmp_eq_u32_e32 vcc_lo, 0, v35
	v_cmp_lt_u32_e64 s0, 1, v35
	v_cmp_lt_u32_e64 s1, 3, v35
	;; [unrolled: 1-line block ×3, first 2 shown]
	v_cndmask_b32_e64 v36, v36, 0, vcc_lo
	s_delay_alu instid0(VALU_DEP_1) | instskip(NEXT) | instid1(VALU_DEP_1)
	v_add_nc_u32_e32 v34, v36, v34
	v_mov_b32_dpp v36, v34 row_shr:2 row_mask:0xf bank_mask:0xf
	s_delay_alu instid0(VALU_DEP_1) | instskip(NEXT) | instid1(VALU_DEP_1)
	v_cndmask_b32_e64 v36, 0, v36, s0
	v_add_nc_u32_e32 v34, v34, v36
	s_delay_alu instid0(VALU_DEP_1) | instskip(NEXT) | instid1(VALU_DEP_1)
	v_mov_b32_dpp v36, v34 row_shr:4 row_mask:0xf bank_mask:0xf
	v_cndmask_b32_e64 v36, 0, v36, s1
	s_delay_alu instid0(VALU_DEP_1) | instskip(NEXT) | instid1(VALU_DEP_1)
	v_add_nc_u32_e32 v34, v34, v36
	v_mov_b32_dpp v36, v34 row_shr:8 row_mask:0xf bank_mask:0xf
	s_delay_alu instid0(VALU_DEP_1) | instskip(SKIP_1) | instid1(VALU_DEP_2)
	v_cndmask_b32_e64 v35, 0, v36, s2
	v_bfe_i32 v36, v18, 4, 1
	v_add_nc_u32_e32 v34, v34, v35
	ds_swizzle_b32 v35, v34 offset:swizzle(BROADCAST,32,15)
	s_waitcnt lgkmcnt(0)
	v_and_b32_e32 v36, v36, v35
	v_lshrrev_b32_e32 v35, 5, v9
	s_delay_alu instid0(VALU_DEP_2)
	v_add_nc_u32_e32 v34, v34, v36
	v_cmpx_eq_u32_e32 31, v38
	s_cbranch_execz .LBB111_77
; %bb.76:
	s_delay_alu instid0(VALU_DEP_3)
	v_lshlrev_b32_e32 v36, 2, v35
	ds_store_b32 v36, v34
.LBB111_77:
	s_or_b32 exec_lo, exec_lo, s5
	v_cmp_lt_u32_e64 s4, 31, v9
	s_mov_b32 s11, exec_lo
	s_waitcnt lgkmcnt(0)
	s_barrier
	buffer_gl0_inv
	v_cmpx_gt_u32_e32 32, v9
	s_cbranch_execz .LBB111_79
; %bb.78:
	ds_load_b32 v36, v21
	s_waitcnt lgkmcnt(0)
	v_mov_b32_dpp v37, v36 row_shr:1 row_mask:0xf bank_mask:0xf
	s_delay_alu instid0(VALU_DEP_1) | instskip(NEXT) | instid1(VALU_DEP_1)
	v_cndmask_b32_e64 v37, v37, 0, vcc_lo
	v_add_nc_u32_e32 v36, v37, v36
	s_delay_alu instid0(VALU_DEP_1) | instskip(NEXT) | instid1(VALU_DEP_1)
	v_mov_b32_dpp v37, v36 row_shr:2 row_mask:0xf bank_mask:0xf
	v_cndmask_b32_e64 v37, 0, v37, s0
	s_delay_alu instid0(VALU_DEP_1) | instskip(NEXT) | instid1(VALU_DEP_1)
	v_add_nc_u32_e32 v36, v36, v37
	v_mov_b32_dpp v37, v36 row_shr:4 row_mask:0xf bank_mask:0xf
	s_delay_alu instid0(VALU_DEP_1) | instskip(NEXT) | instid1(VALU_DEP_1)
	v_cndmask_b32_e64 v37, 0, v37, s1
	v_add_nc_u32_e32 v36, v36, v37
	s_delay_alu instid0(VALU_DEP_1) | instskip(NEXT) | instid1(VALU_DEP_1)
	v_mov_b32_dpp v37, v36 row_shr:8 row_mask:0xf bank_mask:0xf
	v_cndmask_b32_e64 v37, 0, v37, s2
	s_delay_alu instid0(VALU_DEP_1) | instskip(SKIP_3) | instid1(VALU_DEP_1)
	v_add_nc_u32_e32 v36, v36, v37
	ds_swizzle_b32 v37, v36 offset:swizzle(BROADCAST,32,15)
	s_waitcnt lgkmcnt(0)
	v_cndmask_b32_e64 v37, v37, 0, s3
	v_add_nc_u32_e32 v36, v36, v37
	ds_store_b32 v21, v36
.LBB111_79:
	s_or_b32 exec_lo, exec_lo, s11
	v_mov_b32_e32 v21, 0
	s_waitcnt lgkmcnt(0)
	s_barrier
	buffer_gl0_inv
	s_and_saveexec_b32 s0, s4
	s_cbranch_execz .LBB111_81
; %bb.80:
	v_lshl_add_u32 v21, v35, 2, -4
	ds_load_b32 v21, v21
.LBB111_81:
	s_or_b32 exec_lo, exec_lo, s0
	v_add_nc_u32_e32 v35, -1, v18
	s_waitcnt lgkmcnt(0)
	v_add_nc_u32_e32 v34, v21, v34
	v_cmp_lt_u32_e64 s0, 0xff, v9
	s_delay_alu instid0(VALU_DEP_3) | instskip(SKIP_2) | instid1(VALU_DEP_2)
	v_cmp_gt_i32_e32 vcc_lo, 0, v35
	v_cndmask_b32_e32 v35, v35, v18, vcc_lo
	v_cmp_eq_u32_e32 vcc_lo, 0, v18
	v_lshlrev_b32_e32 v35, 2, v35
	ds_bpermute_b32 v34, v35, v34
	s_waitcnt lgkmcnt(0)
	v_cndmask_b32_e32 v18, v34, v21, vcc_lo
	v_cmp_ne_u32_e32 vcc_lo, 0, v9
	s_delay_alu instid0(VALU_DEP_2) | instskip(SKIP_1) | instid1(VALU_DEP_2)
	v_cndmask_b32_e32 v18, 0, v18, vcc_lo
	v_cmp_gt_u32_e32 vcc_lo, 0x100, v9
	v_add_nc_u32_e32 v16, v18, v16
	s_delay_alu instid0(VALU_DEP_1) | instskip(NEXT) | instid1(VALU_DEP_1)
	v_add_nc_u32_e32 v17, v16, v17
	v_add_nc_u32_e32 v14, v17, v14
	s_delay_alu instid0(VALU_DEP_1) | instskip(NEXT) | instid1(VALU_DEP_1)
	v_add_nc_u32_e32 v15, v14, v15
	v_add_nc_u32_e32 v12, v15, v12
	s_delay_alu instid0(VALU_DEP_1) | instskip(NEXT) | instid1(VALU_DEP_1)
	v_add_nc_u32_e32 v13, v12, v13
	v_add_nc_u32_e32 v5, v13, v5
	s_delay_alu instid0(VALU_DEP_1)
	v_add_nc_u32_e32 v6, v5, v6
	ds_store_2addr_b32 v22, v18, v16 offset0:32 offset1:33
	ds_store_2addr_b32 v33, v17, v14 offset0:2 offset1:3
	;; [unrolled: 1-line block ×4, first 2 shown]
	ds_store_b32 v33, v6 offset:32
	s_waitcnt lgkmcnt(0)
	s_barrier
	buffer_gl0_inv
	ds_load_b32 v13, v23 offset:128
	ds_load_b32 v14, v26 offset:128
	;; [unrolled: 1-line block ×4, first 2 shown]
	v_mov_b32_e32 v5, 0
	v_mov_b32_e32 v6, 0
                                        ; implicit-def: $vgpr12
	s_and_saveexec_b32 s2, vcc_lo
	s_cbranch_execz .LBB111_85
; %bb.82:
	v_mul_u32_u24_e32 v5, 33, v9
	v_mov_b32_e32 v6, 0x1000
	s_mov_b32 s3, exec_lo
	s_delay_alu instid0(VALU_DEP_2)
	v_lshlrev_b32_e32 v12, 2, v5
	ds_load_b32 v5, v12 offset:128
	v_cmpx_ne_u32_e32 0xff, v9
	s_cbranch_execz .LBB111_84
; %bb.83:
	ds_load_b32 v6, v12 offset:260
.LBB111_84:
	s_or_b32 exec_lo, exec_lo, s3
	s_waitcnt lgkmcnt(0)
	v_sub_nc_u32_e32 v12, v6, v5
	v_mov_b32_e32 v6, 0
.LBB111_85:
	s_or_b32 exec_lo, exec_lo, s2
	v_add_nc_u32_e32 v17, v31, v30
	v_add_nc_u32_e32 v18, v25, v24
	;; [unrolled: 1-line block ×3, first 2 shown]
	s_waitcnt lgkmcnt(3)
	v_add_lshl_u32 v13, v13, v0, 3
	s_waitcnt lgkmcnt(0)
	v_add_lshl_u32 v16, v17, v16, 3
	v_add_lshl_u32 v14, v18, v14, 3
	;; [unrolled: 1-line block ×3, first 2 shown]
	s_barrier
	buffer_gl0_inv
	ds_store_b64 v13, v[1:2] offset:2048
	ds_store_b64 v14, v[3:4] offset:2048
	;; [unrolled: 1-line block ×4, first 2 shown]
	s_waitcnt lgkmcnt(0)
	s_barrier
	buffer_gl0_inv
	s_and_saveexec_b32 s1, s0
	s_delay_alu instid0(SALU_CYCLE_1)
	s_xor_b32 s0, exec_lo, s1
; %bb.86:
	v_mov_b32_e32 v10, 0
; %bb.87:
	s_and_not1_saveexec_b32 s1, s0
	s_cbranch_execz .LBB111_97
; %bb.88:
	v_lshl_or_b32 v2, s15, 8, v9
	v_dual_mov_b32 v3, 0 :: v_dual_mov_b32 v4, 0
	s_mov_b32 s2, 0
	s_mov_b32 s3, s15
	s_delay_alu instid0(VALU_DEP_1) | instskip(SKIP_1) | instid1(VALU_DEP_2)
	v_lshlrev_b64 v[0:1], 2, v[2:3]
	v_or_b32_e32 v2, 2.0, v12
	v_add_co_u32 v0, s0, s12, v0
	s_delay_alu instid0(VALU_DEP_1)
	v_add_co_ci_u32_e64 v1, s0, s13, v1, s0
                                        ; implicit-def: $sgpr0
	global_store_b32 v[0:1], v2, off
	s_branch .LBB111_91
	.p2align	6
.LBB111_89:                             ;   in Loop: Header=BB111_91 Depth=1
	s_or_b32 exec_lo, exec_lo, s5
.LBB111_90:                             ;   in Loop: Header=BB111_91 Depth=1
	s_delay_alu instid0(SALU_CYCLE_1) | instskip(SKIP_2) | instid1(VALU_DEP_2)
	s_or_b32 exec_lo, exec_lo, s4
	v_and_b32_e32 v7, 0x3fffffff, v10
	v_cmp_eq_u32_e64 s0, 0x80000000, v2
	v_add_nc_u32_e32 v4, v7, v4
	s_delay_alu instid0(VALU_DEP_2) | instskip(NEXT) | instid1(SALU_CYCLE_1)
	s_and_b32 s4, exec_lo, s0
	s_or_b32 s2, s4, s2
	s_delay_alu instid0(SALU_CYCLE_1)
	s_and_not1_b32 exec_lo, exec_lo, s2
	s_cbranch_execz .LBB111_96
.LBB111_91:                             ; =>This Loop Header: Depth=1
                                        ;     Child Loop BB111_94 Depth 2
	s_or_b32 s0, s0, exec_lo
	s_cmp_eq_u32 s3, 0
	s_cbranch_scc1 .LBB111_95
; %bb.92:                               ;   in Loop: Header=BB111_91 Depth=1
	s_add_i32 s3, s3, -1
	s_mov_b32 s4, exec_lo
	v_lshl_or_b32 v2, s3, 8, v9
	s_delay_alu instid0(VALU_DEP_1) | instskip(NEXT) | instid1(VALU_DEP_1)
	v_lshlrev_b64 v[7:8], 2, v[2:3]
	v_add_co_u32 v7, s0, s12, v7
	s_delay_alu instid0(VALU_DEP_1) | instskip(SKIP_3) | instid1(VALU_DEP_1)
	v_add_co_ci_u32_e64 v8, s0, s13, v8, s0
	global_load_b32 v10, v[7:8], off glc
	s_waitcnt vmcnt(0)
	v_and_b32_e32 v2, -2.0, v10
	v_cmpx_eq_u32_e32 0, v2
	s_cbranch_execz .LBB111_90
; %bb.93:                               ;   in Loop: Header=BB111_91 Depth=1
	s_mov_b32 s5, 0
.LBB111_94:                             ;   Parent Loop BB111_91 Depth=1
                                        ; =>  This Inner Loop Header: Depth=2
	global_load_b32 v10, v[7:8], off glc
	s_waitcnt vmcnt(0)
	v_and_b32_e32 v2, -2.0, v10
	s_delay_alu instid0(VALU_DEP_1) | instskip(NEXT) | instid1(VALU_DEP_1)
	v_cmp_ne_u32_e64 s0, 0, v2
	s_or_b32 s5, s0, s5
	s_delay_alu instid0(SALU_CYCLE_1)
	s_and_not1_b32 exec_lo, exec_lo, s5
	s_cbranch_execnz .LBB111_94
	s_branch .LBB111_89
.LBB111_95:                             ;   in Loop: Header=BB111_91 Depth=1
                                        ; implicit-def: $sgpr3
	s_and_b32 s4, exec_lo, s0
	s_delay_alu instid0(SALU_CYCLE_1) | instskip(NEXT) | instid1(SALU_CYCLE_1)
	s_or_b32 s2, s4, s2
	s_and_not1_b32 exec_lo, exec_lo, s2
	s_cbranch_execnz .LBB111_91
.LBB111_96:
	s_or_b32 exec_lo, exec_lo, s2
	v_add_nc_u32_e32 v2, v4, v12
	v_dual_mov_b32 v10, 0 :: v_dual_lshlrev_b32 v3, 3, v9
	s_delay_alu instid0(VALU_DEP_2) | instskip(SKIP_3) | instid1(VALU_DEP_1)
	v_or_b32_e32 v2, 0x80000000, v2
	global_store_b32 v[0:1], v2, off
	global_load_b64 v[0:1], v3, s[24:25]
	v_sub_co_u32 v2, s0, v4, v5
	v_sub_co_ci_u32_e64 v4, s0, 0, v6, s0
	s_waitcnt vmcnt(0)
	s_delay_alu instid0(VALU_DEP_2) | instskip(NEXT) | instid1(VALU_DEP_1)
	v_add_co_u32 v0, s0, v2, v0
	v_add_co_ci_u32_e64 v1, s0, v4, v1, s0
	ds_store_b64 v3, v[0:1]
.LBB111_97:
	s_or_b32 exec_lo, exec_lo, s1
	v_lshlrev_b32_e32 v4, 3, v9
	s_waitcnt lgkmcnt(0)
	s_waitcnt_vscnt null, 0x0
	s_barrier
	buffer_gl0_inv
	v_lshlrev_b32_e32 v11, 3, v9
	ds_load_2addr_stride64_b64 v[0:3], v4 offset0:20 offset1:36
	s_add_u32 s0, s20, s6
	s_addc_u32 s1, s21, s7
	v_add_co_u32 v31, s0, s0, v20
	ds_load_b64 v[7:8], v11 offset:2048
	v_add_co_ci_u32_e64 v32, null, s1, 0, s0
	v_or_b32_e32 v37, 0x4000, v4
	v_lshlrev_b64 v[25:26], 3, v[9:10]
	v_or_b32_e32 v35, 0x2000, v4
	v_or_b32_e32 v38, 0x6000, v4
	s_add_i32 s9, s9, -1
	s_delay_alu instid0(SALU_CYCLE_1) | instskip(SKIP_1) | instid1(SALU_CYCLE_1)
	s_cmp_eq_u32 s15, s9
	s_cselect_b32 s1, -1, 0
	s_and_b32 s1, vcc_lo, s1
	s_waitcnt lgkmcnt(1)
	v_lshrrev_b64 v[17:18], s28, v[2:3]
	v_xor_b32_e32 v3, 0x7fffffff, v3
	v_xor_b32_e32 v2, -1, v2
	s_delay_alu instid0(VALU_DEP_3)
	v_and_b32_e32 v21, s10, v17
	ds_load_b64 v[17:18], v4 offset:26624
	v_lshlrev_b32_e32 v33, 3, v21
	s_waitcnt lgkmcnt(1)
	v_lshrrev_b64 v[21:22], s28, v[7:8]
	v_lshrrev_b64 v[22:23], s28, v[0:1]
	v_xor_b32_e32 v8, 0x7fffffff, v8
	v_xor_b32_e32 v7, -1, v7
	ds_load_b64 v[23:24], v33
	v_xor_b32_e32 v1, 0x7fffffff, v1
	v_and_b32_e32 v21, s10, v21
	v_and_b32_e32 v22, s10, v22
	v_xor_b32_e32 v0, -1, v0
	s_delay_alu instid0(VALU_DEP_3) | instskip(NEXT) | instid1(VALU_DEP_3)
	v_lshlrev_b32_e32 v34, 3, v21
	v_lshlrev_b32_e32 v36, 3, v22
	s_waitcnt lgkmcnt(1)
	v_lshrrev_b64 v[20:21], s28, v[17:18]
	ds_load_b64 v[21:22], v34
	ds_load_b64 v[27:28], v36
	v_xor_b32_e32 v18, 0x7fffffff, v18
	v_xor_b32_e32 v17, -1, v17
	v_and_b32_e32 v20, s10, v20
	s_delay_alu instid0(VALU_DEP_1)
	v_lshlrev_b32_e32 v39, 3, v20
	ds_load_b64 v[29:30], v39
	s_waitcnt lgkmcnt(3)
	v_lshlrev_b64 v[23:24], 3, v[23:24]
	s_waitcnt lgkmcnt(2)
	v_lshlrev_b64 v[20:21], 3, v[21:22]
	;; [unrolled: 2-line block ×3, first 2 shown]
	s_delay_alu instid0(VALU_DEP_3) | instskip(NEXT) | instid1(VALU_DEP_1)
	v_add_co_u32 v23, s0, s18, v23
	v_add_co_ci_u32_e64 v24, s0, s19, v24, s0
	s_delay_alu instid0(VALU_DEP_2) | instskip(NEXT) | instid1(VALU_DEP_1)
	v_add_co_u32 v22, s0, v23, v37
	v_add_co_ci_u32_e64 v23, s0, 0, v24, s0
	v_add_co_u32 v24, s0, s18, v20
	s_delay_alu instid0(VALU_DEP_1)
	v_add_co_ci_u32_e64 v40, s0, s19, v21, s0
	v_add_co_u32 v41, s0, s18, v27
	s_waitcnt lgkmcnt(0)
	v_lshlrev_b64 v[20:21], 3, v[29:30]
	v_add_co_ci_u32_e64 v42, s0, s19, v28, s0
	v_add_co_u32 v27, s0, v24, v25
	s_delay_alu instid0(VALU_DEP_1) | instskip(NEXT) | instid1(VALU_DEP_4)
	v_add_co_ci_u32_e64 v28, s0, v40, v26, s0
	v_add_co_u32 v24, s0, s18, v20
	s_delay_alu instid0(VALU_DEP_1) | instskip(SKIP_1) | instid1(VALU_DEP_1)
	v_add_co_ci_u32_e64 v30, s0, s19, v21, s0
	v_add_co_u32 v20, s0, v41, v35
	v_add_co_ci_u32_e64 v21, s0, 0, v42, s0
	s_delay_alu instid0(VALU_DEP_4) | instskip(NEXT) | instid1(VALU_DEP_1)
	v_add_co_u32 v29, s0, v24, v38
	v_add_co_ci_u32_e64 v30, s0, 0, v30, s0
	v_add_co_u32 v31, s0, v31, v19
	s_delay_alu instid0(VALU_DEP_1)
	v_add_co_ci_u32_e64 v32, s0, 0, v32, s0
	s_clause 0x3
	global_store_b64 v[27:28], v[7:8], off
	global_store_b64 v[20:21], v[0:1], off
	;; [unrolled: 1-line block ×4, first 2 shown]
	s_clause 0x3
	global_load_b64 v[0:1], v[31:32], off
	global_load_b64 v[2:3], v[31:32], off offset:256
	global_load_b64 v[7:8], v[31:32], off offset:512
	;; [unrolled: 1-line block ×3, first 2 shown]
	s_waitcnt vmcnt(0)
	s_waitcnt_vscnt null, 0x0
	s_barrier
	buffer_gl0_inv
	ds_store_b64 v13, v[0:1] offset:2048
	ds_store_b64 v14, v[2:3] offset:2048
	;; [unrolled: 1-line block ×4, first 2 shown]
	s_waitcnt lgkmcnt(0)
	s_barrier
	buffer_gl0_inv
	ds_load_b64 v[0:1], v34
	ds_load_b64 v[7:8], v36
	;; [unrolled: 1-line block ×4, first 2 shown]
	ds_load_b64 v[17:18], v11 offset:2048
	ds_load_b64 v[19:20], v4 offset:26624
	s_waitcnt lgkmcnt(5)
	v_lshlrev_b64 v[21:22], 3, v[0:1]
	s_waitcnt lgkmcnt(4)
	v_lshlrev_b64 v[7:8], 3, v[7:8]
	ds_load_2addr_stride64_b64 v[0:3], v4 offset0:20 offset1:36
	s_waitcnt lgkmcnt(4)
	v_lshlrev_b64 v[13:14], 3, v[13:14]
	s_waitcnt lgkmcnt(3)
	v_lshlrev_b64 v[15:16], 3, v[15:16]
	v_add_co_u32 v4, s0, s22, v21
	s_delay_alu instid0(VALU_DEP_1) | instskip(SKIP_1) | instid1(VALU_DEP_1)
	v_add_co_ci_u32_e64 v11, s0, s23, v22, s0
	v_add_co_u32 v21, s0, s22, v7
	v_add_co_ci_u32_e64 v22, s0, s23, v8, s0
	v_add_co_u32 v23, s0, s22, v13
	s_delay_alu instid0(VALU_DEP_1) | instskip(SKIP_1) | instid1(VALU_DEP_1)
	v_add_co_ci_u32_e64 v24, s0, s23, v14, s0
	v_add_co_u32 v27, s0, s22, v15
	v_add_co_ci_u32_e64 v28, s0, s23, v16, s0
	;; [unrolled: 5-line block ×4, first 2 shown]
	s_waitcnt lgkmcnt(2)
	global_store_b64 v[7:8], v[17:18], off
	s_waitcnt lgkmcnt(0)
	s_clause 0x2
	global_store_b64 v[13:14], v[0:1], off
	global_store_b64 v[15:16], v[2:3], off
	;; [unrolled: 1-line block ×3, first 2 shown]
                                        ; implicit-def: $vgpr1_vgpr2
	s_and_saveexec_b32 s0, s1
; %bb.98:
	v_add_co_u32 v1, vcc_lo, v5, v12
	v_add_co_ci_u32_e32 v2, vcc_lo, 0, v6, vcc_lo
	s_or_b32 s8, s8, exec_lo
; %bb.99:
	s_or_b32 exec_lo, exec_lo, s0
.LBB111_100:
	s_and_saveexec_b32 s0, s8
	s_cbranch_execnz .LBB111_102
; %bb.101:
	s_nop 0
	s_sendmsg sendmsg(MSG_DEALLOC_VGPRS)
	s_endpgm
.LBB111_102:
	v_lshlrev_b32_e32 v0, 3, v9
	v_lshlrev_b64 v[5:6], 3, v[9:10]
	ds_load_b64 v[3:4], v0
	v_add_co_u32 v5, vcc_lo, s26, v5
	v_add_co_ci_u32_e32 v6, vcc_lo, s27, v6, vcc_lo
	s_waitcnt lgkmcnt(0)
	v_add_co_u32 v0, vcc_lo, v3, v1
	v_add_co_ci_u32_e32 v1, vcc_lo, v4, v2, vcc_lo
	global_store_b64 v[5:6], v[0:1], off
	s_nop 0
	s_sendmsg sendmsg(MSG_DEALLOC_VGPRS)
	s_endpgm
.LBB111_103:
	global_load_b64 v[1:2], v[10:11], off
	s_or_b32 exec_lo, exec_lo, s10
                                        ; implicit-def: $vgpr3_vgpr4
	s_and_saveexec_b32 s10, s2
	s_cbranch_execz .LBB111_47
.LBB111_104:
	global_load_b64 v[3:4], v[10:11], off offset:256
	s_or_b32 exec_lo, exec_lo, s10
                                        ; implicit-def: $vgpr5_vgpr6
	s_and_saveexec_b32 s2, s3
	s_cbranch_execz .LBB111_48
.LBB111_105:
	global_load_b64 v[5:6], v[10:11], off offset:512
	s_or_b32 exec_lo, exec_lo, s2
                                        ; implicit-def: $vgpr7_vgpr8
	s_and_saveexec_b32 s2, s4
	s_cbranch_execnz .LBB111_49
	s_branch .LBB111_50
.LBB111_106:
	v_lshlrev_b32_e32 v1, 3, v20
	ds_load_b64 v[1:2], v1
	ds_load_b64 v[3:4], v21 offset:2048
	s_waitcnt lgkmcnt(1)
	v_lshlrev_b64 v[1:2], 3, v[1:2]
	s_delay_alu instid0(VALU_DEP_1) | instskip(NEXT) | instid1(VALU_DEP_2)
	v_add_co_u32 v1, vcc_lo, s22, v1
	v_add_co_ci_u32_e32 v2, vcc_lo, s23, v2, vcc_lo
	s_delay_alu instid0(VALU_DEP_2) | instskip(NEXT) | instid1(VALU_DEP_2)
	v_add_co_u32 v1, vcc_lo, v1, v21
	v_add_co_ci_u32_e32 v2, vcc_lo, 0, v2, vcc_lo
	s_waitcnt lgkmcnt(0)
	global_store_b64 v[1:2], v[3:4], off
	s_or_b32 exec_lo, exec_lo, s2
	s_and_saveexec_b32 s2, s7
	s_cbranch_execz .LBB111_60
.LBB111_107:
	v_lshlrev_b32_e32 v1, 3, v11
	ds_load_b64 v[1:2], v1
	ds_load_b64 v[3:4], v21 offset:10240
	s_waitcnt lgkmcnt(1)
	v_lshlrev_b64 v[1:2], 3, v[1:2]
	s_delay_alu instid0(VALU_DEP_1) | instskip(NEXT) | instid1(VALU_DEP_2)
	v_add_co_u32 v1, vcc_lo, s22, v1
	v_add_co_ci_u32_e32 v2, vcc_lo, s23, v2, vcc_lo
	s_delay_alu instid0(VALU_DEP_2) | instskip(NEXT) | instid1(VALU_DEP_2)
	v_add_co_u32 v1, vcc_lo, v1, v22
	v_add_co_ci_u32_e32 v2, vcc_lo, 0, v2, vcc_lo
	s_waitcnt lgkmcnt(0)
	global_store_b64 v[1:2], v[3:4], off
	s_or_b32 exec_lo, exec_lo, s2
	s_and_saveexec_b32 s2, s8
	s_cbranch_execz .LBB111_61
.LBB111_108:
	v_lshlrev_b32_e32 v1, 3, v19
	ds_load_b64 v[1:2], v1
	ds_load_b64 v[3:4], v21 offset:18432
	s_waitcnt lgkmcnt(1)
	v_lshlrev_b64 v[1:2], 3, v[1:2]
	s_delay_alu instid0(VALU_DEP_1) | instskip(NEXT) | instid1(VALU_DEP_2)
	v_add_co_u32 v1, vcc_lo, s22, v1
	v_add_co_ci_u32_e32 v2, vcc_lo, s23, v2, vcc_lo
	s_delay_alu instid0(VALU_DEP_2) | instskip(NEXT) | instid1(VALU_DEP_2)
	v_add_co_u32 v1, vcc_lo, v1, v23
	v_add_co_ci_u32_e32 v2, vcc_lo, 0, v2, vcc_lo
	s_waitcnt lgkmcnt(0)
	global_store_b64 v[1:2], v[3:4], off
	s_or_b32 exec_lo, exec_lo, s2
	s_and_saveexec_b32 s2, s9
	s_cbranch_execnz .LBB111_62
	s_branch .LBB111_63
	.section	.rodata,"a",@progbits
	.p2align	6, 0x0
	.amdhsa_kernel _ZN7rocprim17ROCPRIM_304000_NS6detail25onesweep_iteration_kernelINS1_34wrapped_radix_sort_onesweep_configINS0_14default_configElN2at4cuda3cub6detail10OpaqueTypeILi8EEEEELb1EPlSC_PSA_SD_mNS0_19identity_decomposerEEEvT1_T2_T3_T4_jPT5_SK_PNS1_23onesweep_lookback_stateET6_jjj
		.amdhsa_group_segment_fixed_size 36992
		.amdhsa_private_segment_fixed_size 0
		.amdhsa_kernarg_size 336
		.amdhsa_user_sgpr_count 15
		.amdhsa_user_sgpr_dispatch_ptr 0
		.amdhsa_user_sgpr_queue_ptr 0
		.amdhsa_user_sgpr_kernarg_segment_ptr 1
		.amdhsa_user_sgpr_dispatch_id 0
		.amdhsa_user_sgpr_private_segment_size 0
		.amdhsa_wavefront_size32 1
		.amdhsa_uses_dynamic_stack 0
		.amdhsa_enable_private_segment 0
		.amdhsa_system_sgpr_workgroup_id_x 1
		.amdhsa_system_sgpr_workgroup_id_y 0
		.amdhsa_system_sgpr_workgroup_id_z 0
		.amdhsa_system_sgpr_workgroup_info 0
		.amdhsa_system_vgpr_workitem_id 2
		.amdhsa_next_free_vgpr 43
		.amdhsa_next_free_sgpr 36
		.amdhsa_reserve_vcc 1
		.amdhsa_float_round_mode_32 0
		.amdhsa_float_round_mode_16_64 0
		.amdhsa_float_denorm_mode_32 3
		.amdhsa_float_denorm_mode_16_64 3
		.amdhsa_dx10_clamp 1
		.amdhsa_ieee_mode 1
		.amdhsa_fp16_overflow 0
		.amdhsa_workgroup_processor_mode 1
		.amdhsa_memory_ordered 1
		.amdhsa_forward_progress 0
		.amdhsa_shared_vgpr_count 0
		.amdhsa_exception_fp_ieee_invalid_op 0
		.amdhsa_exception_fp_denorm_src 0
		.amdhsa_exception_fp_ieee_div_zero 0
		.amdhsa_exception_fp_ieee_overflow 0
		.amdhsa_exception_fp_ieee_underflow 0
		.amdhsa_exception_fp_ieee_inexact 0
		.amdhsa_exception_int_div_zero 0
	.end_amdhsa_kernel
	.section	.text._ZN7rocprim17ROCPRIM_304000_NS6detail25onesweep_iteration_kernelINS1_34wrapped_radix_sort_onesweep_configINS0_14default_configElN2at4cuda3cub6detail10OpaqueTypeILi8EEEEELb1EPlSC_PSA_SD_mNS0_19identity_decomposerEEEvT1_T2_T3_T4_jPT5_SK_PNS1_23onesweep_lookback_stateET6_jjj,"axG",@progbits,_ZN7rocprim17ROCPRIM_304000_NS6detail25onesweep_iteration_kernelINS1_34wrapped_radix_sort_onesweep_configINS0_14default_configElN2at4cuda3cub6detail10OpaqueTypeILi8EEEEELb1EPlSC_PSA_SD_mNS0_19identity_decomposerEEEvT1_T2_T3_T4_jPT5_SK_PNS1_23onesweep_lookback_stateET6_jjj,comdat
.Lfunc_end111:
	.size	_ZN7rocprim17ROCPRIM_304000_NS6detail25onesweep_iteration_kernelINS1_34wrapped_radix_sort_onesweep_configINS0_14default_configElN2at4cuda3cub6detail10OpaqueTypeILi8EEEEELb1EPlSC_PSA_SD_mNS0_19identity_decomposerEEEvT1_T2_T3_T4_jPT5_SK_PNS1_23onesweep_lookback_stateET6_jjj, .Lfunc_end111-_ZN7rocprim17ROCPRIM_304000_NS6detail25onesweep_iteration_kernelINS1_34wrapped_radix_sort_onesweep_configINS0_14default_configElN2at4cuda3cub6detail10OpaqueTypeILi8EEEEELb1EPlSC_PSA_SD_mNS0_19identity_decomposerEEEvT1_T2_T3_T4_jPT5_SK_PNS1_23onesweep_lookback_stateET6_jjj
                                        ; -- End function
	.section	.AMDGPU.csdata,"",@progbits
; Kernel info:
; codeLenInByte = 9048
; NumSgprs: 38
; NumVgprs: 43
; ScratchSize: 0
; MemoryBound: 1
; FloatMode: 240
; IeeeMode: 1
; LDSByteSize: 36992 bytes/workgroup (compile time only)
; SGPRBlocks: 4
; VGPRBlocks: 5
; NumSGPRsForWavesPerEU: 38
; NumVGPRsForWavesPerEU: 43
; Occupancy: 16
; WaveLimiterHint : 1
; COMPUTE_PGM_RSRC2:SCRATCH_EN: 0
; COMPUTE_PGM_RSRC2:USER_SGPR: 15
; COMPUTE_PGM_RSRC2:TRAP_HANDLER: 0
; COMPUTE_PGM_RSRC2:TGID_X_EN: 1
; COMPUTE_PGM_RSRC2:TGID_Y_EN: 0
; COMPUTE_PGM_RSRC2:TGID_Z_EN: 0
; COMPUTE_PGM_RSRC2:TIDIG_COMP_CNT: 2
	.section	.text._ZN7rocprim17ROCPRIM_304000_NS6detail28radix_sort_block_sort_kernelINS1_36wrapped_radix_sort_block_sort_configINS0_13kernel_configILj256ELj4ELj4294967295EEElN2at4cuda3cub6detail10OpaqueTypeILi8EEEEELb0EPKlPlPKSB_PSB_NS0_19identity_decomposerEEEvT1_T2_T3_T4_jT5_jj,"axG",@progbits,_ZN7rocprim17ROCPRIM_304000_NS6detail28radix_sort_block_sort_kernelINS1_36wrapped_radix_sort_block_sort_configINS0_13kernel_configILj256ELj4ELj4294967295EEElN2at4cuda3cub6detail10OpaqueTypeILi8EEEEELb0EPKlPlPKSB_PSB_NS0_19identity_decomposerEEEvT1_T2_T3_T4_jT5_jj,comdat
	.protected	_ZN7rocprim17ROCPRIM_304000_NS6detail28radix_sort_block_sort_kernelINS1_36wrapped_radix_sort_block_sort_configINS0_13kernel_configILj256ELj4ELj4294967295EEElN2at4cuda3cub6detail10OpaqueTypeILi8EEEEELb0EPKlPlPKSB_PSB_NS0_19identity_decomposerEEEvT1_T2_T3_T4_jT5_jj ; -- Begin function _ZN7rocprim17ROCPRIM_304000_NS6detail28radix_sort_block_sort_kernelINS1_36wrapped_radix_sort_block_sort_configINS0_13kernel_configILj256ELj4ELj4294967295EEElN2at4cuda3cub6detail10OpaqueTypeILi8EEEEELb0EPKlPlPKSB_PSB_NS0_19identity_decomposerEEEvT1_T2_T3_T4_jT5_jj
	.globl	_ZN7rocprim17ROCPRIM_304000_NS6detail28radix_sort_block_sort_kernelINS1_36wrapped_radix_sort_block_sort_configINS0_13kernel_configILj256ELj4ELj4294967295EEElN2at4cuda3cub6detail10OpaqueTypeILi8EEEEELb0EPKlPlPKSB_PSB_NS0_19identity_decomposerEEEvT1_T2_T3_T4_jT5_jj
	.p2align	8
	.type	_ZN7rocprim17ROCPRIM_304000_NS6detail28radix_sort_block_sort_kernelINS1_36wrapped_radix_sort_block_sort_configINS0_13kernel_configILj256ELj4ELj4294967295EEElN2at4cuda3cub6detail10OpaqueTypeILi8EEEEELb0EPKlPlPKSB_PSB_NS0_19identity_decomposerEEEvT1_T2_T3_T4_jT5_jj,@function
_ZN7rocprim17ROCPRIM_304000_NS6detail28radix_sort_block_sort_kernelINS1_36wrapped_radix_sort_block_sort_configINS0_13kernel_configILj256ELj4ELj4294967295EEElN2at4cuda3cub6detail10OpaqueTypeILi8EEEEELb0EPKlPlPKSB_PSB_NS0_19identity_decomposerEEEvT1_T2_T3_T4_jT5_jj: ; @_ZN7rocprim17ROCPRIM_304000_NS6detail28radix_sort_block_sort_kernelINS1_36wrapped_radix_sort_block_sort_configINS0_13kernel_configILj256ELj4ELj4294967295EEElN2at4cuda3cub6detail10OpaqueTypeILi8EEEEELb0EPKlPlPKSB_PSB_NS0_19identity_decomposerEEEvT1_T2_T3_T4_jT5_jj
; %bb.0:
	s_clause 0x1
	s_load_b32 s4, s[0:1], 0x20
	s_load_b256 s[16:23], s[0:1], 0x0
	v_and_b32_e32 v16, 0x3ff, v0
	v_mbcnt_lo_u32_b32 v11, -1, 0
	s_lshl_b32 s2, s15, 10
	s_mov_b32 s3, 0
	s_delay_alu instid0(VALU_DEP_2) | instskip(NEXT) | instid1(VALU_DEP_2)
	v_lshlrev_b32_e32 v1, 2, v16
	v_lshlrev_b32_e32 v15, 3, v11
	s_delay_alu instid0(VALU_DEP_2) | instskip(NEXT) | instid1(VALU_DEP_1)
	v_and_b32_e32 v12, 0x380, v1
	v_lshlrev_b32_e32 v18, 3, v12
	v_add_nc_u32_e32 v13, v11, v12
	s_waitcnt lgkmcnt(0)
	s_lshr_b32 s5, s4, 10
	s_delay_alu instid0(SALU_CYCLE_1) | instskip(SKIP_2) | instid1(SALU_CYCLE_1)
	s_cmp_lg_u32 s15, s5
	s_cselect_b32 s26, -1, 0
	s_lshl_b64 s[24:25], s[2:3], 3
	s_add_u32 s3, s16, s24
	s_addc_u32 s6, s17, s25
	v_add_co_u32 v1, s3, s3, v15
	s_delay_alu instid0(VALU_DEP_1) | instskip(SKIP_1) | instid1(VALU_DEP_2)
	v_add_co_ci_u32_e64 v2, null, s6, 0, s3
	s_cmp_eq_u32 s15, s5
	v_add_co_u32 v9, vcc_lo, v1, v18
	s_delay_alu instid0(VALU_DEP_2)
	v_add_co_ci_u32_e32 v10, vcc_lo, 0, v2, vcc_lo
	s_mov_b32 s3, -1
	s_cbranch_scc1 .LBB112_2
; %bb.1:
	s_add_u32 s3, s20, s24
	s_addc_u32 s5, s21, s25
	v_add_co_u32 v1, s3, s3, v15
	s_delay_alu instid0(VALU_DEP_1) | instskip(NEXT) | instid1(VALU_DEP_2)
	v_add_co_ci_u32_e64 v2, null, s5, 0, s3
	v_add_co_u32 v19, vcc_lo, v1, v18
	s_delay_alu instid0(VALU_DEP_2)
	v_add_co_ci_u32_e32 v20, vcc_lo, 0, v2, vcc_lo
	s_clause 0x3
	global_load_b64 v[1:2], v[9:10], off
	global_load_b64 v[3:4], v[9:10], off offset:256
	global_load_b64 v[5:6], v[9:10], off offset:512
	;; [unrolled: 1-line block ×3, first 2 shown]
	s_clause 0x3
	global_load_b64 v[31:32], v[19:20], off
	global_load_b64 v[33:34], v[19:20], off offset:256
	global_load_b64 v[35:36], v[19:20], off offset:512
	;; [unrolled: 1-line block ×3, first 2 shown]
	v_add_nc_u32_e32 v19, v11, v12
	s_delay_alu instid0(VALU_DEP_1)
	v_add_nc_u32_e32 v12, 32, v19
	v_add_nc_u32_e32 v14, 64, v19
	;; [unrolled: 1-line block ×3, first 2 shown]
	s_sub_i32 s16, s4, s2
	s_cbranch_execz .LBB112_3
	s_branch .LBB112_17
.LBB112_2:
                                        ; implicit-def: $vgpr1_vgpr2_vgpr3_vgpr4_vgpr5_vgpr6_vgpr7_vgpr8
                                        ; implicit-def: $vgpr31_vgpr32
                                        ; implicit-def: $vgpr33_vgpr34
                                        ; implicit-def: $vgpr35_vgpr36
                                        ; implicit-def: $vgpr37_vgpr38
                                        ; implicit-def: $vgpr19
                                        ; implicit-def: $vgpr12
                                        ; implicit-def: $vgpr14
                                        ; implicit-def: $vgpr17
	s_and_not1_b32 vcc_lo, exec_lo, s3
	s_sub_i32 s16, s4, s2
	s_cbranch_vccnz .LBB112_17
.LBB112_3:
	s_mov_b32 s4, -1
	s_brev_b32 s5, -2
	s_mov_b32 s6, s4
	s_mov_b32 s7, s5
	;; [unrolled: 1-line block ×6, first 2 shown]
	s_waitcnt vmcnt(4)
	v_dual_mov_b32 v1, s4 :: v_dual_mov_b32 v2, s5
	v_cmp_gt_u32_e32 vcc_lo, s16, v13
	v_dual_mov_b32 v3, s6 :: v_dual_mov_b32 v4, s7
	v_dual_mov_b32 v5, s8 :: v_dual_mov_b32 v6, s9
	;; [unrolled: 1-line block ×3, first 2 shown]
	s_and_saveexec_b32 s2, vcc_lo
	s_cbranch_execz .LBB112_5
; %bb.4:
	global_load_b64 v[1:2], v[9:10], off
	v_bfrev_b32_e32 v4, -2
	s_delay_alu instid0(VALU_DEP_1) | instskip(NEXT) | instid1(VALU_DEP_1)
	v_dual_mov_b32 v3, -1 :: v_dual_mov_b32 v6, v4
	v_dual_mov_b32 v5, v3 :: v_dual_mov_b32 v8, v4
	v_mov_b32_e32 v7, v3
.LBB112_5:
	s_or_b32 exec_lo, exec_lo, s2
	v_add_nc_u32_e32 v12, 32, v13
	s_delay_alu instid0(VALU_DEP_1) | instskip(NEXT) | instid1(VALU_DEP_1)
	v_cmp_gt_u32_e64 s2, s16, v12
	s_and_saveexec_b32 s3, s2
	s_cbranch_execz .LBB112_7
; %bb.6:
	global_load_b64 v[3:4], v[9:10], off offset:256
.LBB112_7:
	s_or_b32 exec_lo, exec_lo, s3
	v_add_nc_u32_e32 v14, 64, v13
	s_delay_alu instid0(VALU_DEP_1) | instskip(NEXT) | instid1(VALU_DEP_1)
	v_cmp_gt_u32_e64 s3, s16, v14
	s_and_saveexec_b32 s4, s3
	s_cbranch_execz .LBB112_9
; %bb.8:
	global_load_b64 v[5:6], v[9:10], off offset:512
.LBB112_9:
	;; [unrolled: 9-line block ×3, first 2 shown]
	s_or_b32 exec_lo, exec_lo, s5
	s_add_u32 s5, s20, s24
	s_addc_u32 s6, s21, s25
	v_add_co_u32 v9, s5, s5, v15
	s_delay_alu instid0(VALU_DEP_1) | instskip(NEXT) | instid1(VALU_DEP_2)
	v_add_co_ci_u32_e64 v10, null, s6, 0, s5
                                        ; implicit-def: $vgpr31_vgpr32
	v_add_co_u32 v9, s5, v9, v18
	s_delay_alu instid0(VALU_DEP_1)
	v_add_co_ci_u32_e64 v10, s5, 0, v10, s5
	s_and_saveexec_b32 s5, vcc_lo
	s_cbranch_execnz .LBB112_54
; %bb.12:
	s_or_b32 exec_lo, exec_lo, s5
                                        ; implicit-def: $vgpr33_vgpr34
	s_and_saveexec_b32 s5, s2
	s_cbranch_execnz .LBB112_55
.LBB112_13:
	s_or_b32 exec_lo, exec_lo, s5
                                        ; implicit-def: $vgpr35_vgpr36
	s_and_saveexec_b32 s2, s3
	s_cbranch_execnz .LBB112_56
.LBB112_14:
	s_or_b32 exec_lo, exec_lo, s2
                                        ; implicit-def: $vgpr37_vgpr38
	s_and_saveexec_b32 s2, s4
	s_cbranch_execz .LBB112_16
.LBB112_15:
	global_load_b64 v[37:38], v[9:10], off offset:768
.LBB112_16:
	s_or_b32 exec_lo, exec_lo, s2
	v_mov_b32_e32 v19, v13
.LBB112_17:
	s_clause 0x1
	s_load_b32 s4, s[0:1], 0x3c
	s_load_b64 s[14:15], s[0:1], 0x28
	v_bfe_u32 v9, v0, 10, 10
	v_bfe_u32 v0, v0, 20, 10
	v_add_nc_u32_e32 v20, -1, v11
	s_mov_b32 s20, 0
	v_lshrrev_b32_e32 v21, 3, v16
	s_mov_b32 s28, s20
	s_mov_b32 s29, s20
	v_and_b32_e32 v10, 0x3e0, v16
	v_cmp_gt_i32_e32 vcc_lo, 0, v20
	v_lshlrev_b32_e32 v15, 5, v16
	v_and_b32_e32 v22, 7, v11
	v_and_b32_e32 v42, 0x7c, v21
	v_min_u32_e32 v23, 0xe0, v10
	s_mov_b32 s21, s20
	v_and_b32_e32 v13, 15, v11
	v_and_b32_e32 v18, 16, v11
	v_cmp_eq_u32_e64 s8, 0, v11
	v_lshlrev_b32_e32 v45, 3, v12
	s_waitcnt lgkmcnt(0)
	s_lshr_b32 s3, s4, 16
	s_and_b32 s4, s4, 0xffff
	v_mad_u32_u24 v0, v0, s3, v9
	s_waitcnt vmcnt(0)
	v_xor_b32_e32 v2, 0x80000000, v2
	v_xor_b32_e32 v4, 0x80000000, v4
	;; [unrolled: 1-line block ×4, first 2 shown]
	v_mad_u64_u32 v[9:10], null, v0, s4, v[16:17]
	v_cndmask_b32_e32 v0, v20, v11, vcc_lo
	v_or_b32_e32 v10, 31, v23
	v_mov_b32_e32 v11, s28
	v_cmp_gt_u32_e64 s0, 8, v16
	v_cmp_lt_u32_e64 s1, 31, v16
	v_lshlrev_b32_e32 v40, 2, v0
	v_mul_i32_i24_e32 v0, 0xffffffe4, v16
	v_cmp_eq_u32_e64 s7, v10, v16
	v_lshrrev_b32_e32 v41, 5, v9
	v_mov_b32_e32 v9, s20
	v_dual_mov_b32 v12, s29 :: v_dual_add_nc_u32 v39, 32, v15
	v_cmp_eq_u32_e64 s6, 0, v18
	v_cmp_eq_u32_e64 s9, 0, v16
	;; [unrolled: 1-line block ×3, first 2 shown]
	v_cmp_lt_u32_e64 s11, 1, v22
	v_cmp_lt_u32_e64 s12, 3, v22
	v_add_nc_u32_e32 v43, -4, v42
	v_lshlrev_b32_e32 v44, 3, v19
	v_lshlrev_b32_e32 v46, 3, v14
	v_dual_mov_b32 v10, s21 :: v_dual_lshlrev_b32 v47, 3, v17
	v_cmp_eq_u32_e64 s2, 0, v13
	v_cmp_lt_u32_e64 s3, 1, v13
	v_cmp_lt_u32_e64 s4, 3, v13
	;; [unrolled: 1-line block ×3, first 2 shown]
	v_add_nc_u32_e32 v48, v15, v0
	s_add_i32 s17, s15, s14
	s_branch .LBB112_19
.LBB112_18:                             ;   in Loop: Header=BB112_19 Depth=1
	s_barrier
	buffer_gl0_inv
	ds_store_b64 v0, v[13:14]
	ds_store_b64 v49, v[29:30]
	ds_store_b64 v50, v[27:28]
	ds_store_b64 v51, v[25:26]
	s_waitcnt lgkmcnt(0)
	s_barrier
	buffer_gl0_inv
	ds_load_b64 v[1:2], v44
	ds_load_b64 v[3:4], v45
	;; [unrolled: 1-line block ×4, first 2 shown]
	s_waitcnt lgkmcnt(0)
	s_barrier
	buffer_gl0_inv
	ds_store_b64 v0, v[23:24]
	ds_store_b64 v49, v[21:22]
	;; [unrolled: 1-line block ×4, first 2 shown]
	s_waitcnt lgkmcnt(0)
	s_barrier
	buffer_gl0_inv
	ds_load_b64 v[31:32], v44
	ds_load_b64 v[33:34], v45
	;; [unrolled: 1-line block ×4, first 2 shown]
	s_add_i32 s15, s15, -8
	s_waitcnt lgkmcnt(0)
	s_barrier
	buffer_gl0_inv
	s_cbranch_execz .LBB112_35
.LBB112_19:                             ; =>This Inner Loop Header: Depth=1
	v_dual_mov_b32 v14, v2 :: v_dual_mov_b32 v13, v1
	s_min_u32 s13, s15, 8
	ds_store_2addr_b64 v15, v[9:10], v[11:12] offset0:4 offset1:5
	ds_store_2addr_b64 v39, v[9:10], v[11:12] offset0:2 offset1:3
	s_lshl_b32 s13, -1, s13
	s_waitcnt lgkmcnt(0)
	v_lshrrev_b64 v[0:1], s14, v[13:14]
	s_not_b32 s20, s13
	s_barrier
	buffer_gl0_inv
	v_dual_mov_b32 v26, v8 :: v_dual_and_b32 v1, s20, v0
	; wave barrier
	v_dual_mov_b32 v25, v7 :: v_dual_mov_b32 v28, v6
	v_mov_b32_e32 v30, v4
	s_delay_alu instid0(VALU_DEP_3) | instskip(SKIP_3) | instid1(VALU_DEP_4)
	v_and_b32_e32 v0, 1, v1
	v_dual_mov_b32 v27, v5 :: v_dual_lshlrev_b32 v2, 30, v1
	v_lshlrev_b32_e32 v17, 29, v1
	v_dual_mov_b32 v29, v3 :: v_dual_lshlrev_b32 v18, 28, v1
	v_add_co_u32 v0, s13, v0, -1
	s_delay_alu instid0(VALU_DEP_1)
	v_cndmask_b32_e64 v19, 0, 1, s13
	v_not_b32_e32 v23, v2
	v_cmp_gt_i32_e64 s13, 0, v2
	v_not_b32_e32 v2, v17
	v_lshlrev_b32_e32 v21, 26, v1
	v_cmp_ne_u32_e32 vcc_lo, 0, v19
	v_ashrrev_i32_e32 v23, 31, v23
	v_lshlrev_b32_e32 v20, 27, v1
	v_ashrrev_i32_e32 v2, 31, v2
	v_lshlrev_b32_e32 v22, 25, v1
	v_xor_b32_e32 v0, vcc_lo, v0
	v_cmp_gt_i32_e32 vcc_lo, 0, v17
	v_not_b32_e32 v17, v18
	v_xor_b32_e32 v23, s13, v23
	v_cmp_gt_i32_e64 s13, 0, v18
	v_and_b32_e32 v0, exec_lo, v0
	v_xor_b32_e32 v2, vcc_lo, v2
	v_ashrrev_i32_e32 v17, 31, v17
	v_lshlrev_b32_e32 v19, 24, v1
	v_lshl_add_u32 v1, v1, 3, v41
	v_dual_mov_b32 v23, v31 :: v_dual_and_b32 v0, v0, v23
	v_not_b32_e32 v18, v20
	v_cmp_gt_i32_e32 vcc_lo, 0, v20
	v_not_b32_e32 v20, v21
	v_xor_b32_e32 v17, s13, v17
	v_and_b32_e32 v0, v0, v2
	v_ashrrev_i32_e32 v18, 31, v18
	v_cmp_gt_i32_e64 s13, 0, v21
	v_ashrrev_i32_e32 v20, 31, v20
	v_mov_b32_e32 v24, v32
	v_and_b32_e32 v0, v0, v17
	v_xor_b32_e32 v18, vcc_lo, v18
	v_not_b32_e32 v17, v19
	v_xor_b32_e32 v20, s13, v20
	v_cmp_gt_i32_e64 s13, 0, v19
	v_lshl_add_u32 v31, v1, 2, 32
	v_and_b32_e32 v0, v0, v18
	v_ashrrev_i32_e32 v17, 31, v17
	s_delay_alu instid0(VALU_DEP_2) | instskip(SKIP_2) | instid1(VALU_DEP_4)
	v_dual_mov_b32 v19, v35 :: v_dual_and_b32 v0, v0, v20
	v_not_b32_e32 v2, v22
	v_cmp_gt_i32_e32 vcc_lo, 0, v22
	v_xor_b32_e32 v17, s13, v17
	v_dual_mov_b32 v21, v33 :: v_dual_mov_b32 v22, v34
	s_delay_alu instid0(VALU_DEP_4) | instskip(SKIP_1) | instid1(VALU_DEP_2)
	v_ashrrev_i32_e32 v2, 31, v2
	v_mov_b32_e32 v20, v36
	v_xor_b32_e32 v2, vcc_lo, v2
	s_delay_alu instid0(VALU_DEP_1) | instskip(NEXT) | instid1(VALU_DEP_1)
	v_and_b32_e32 v0, v0, v2
	v_dual_mov_b32 v17, v37 :: v_dual_and_b32 v0, v0, v17
	v_mov_b32_e32 v18, v38
	s_delay_alu instid0(VALU_DEP_2) | instskip(SKIP_1) | instid1(VALU_DEP_2)
	v_mbcnt_lo_u32_b32 v8, v0, 0
	v_cmp_ne_u32_e64 s13, 0, v0
	v_cmp_eq_u32_e32 vcc_lo, 0, v8
	s_delay_alu instid0(VALU_DEP_2) | instskip(NEXT) | instid1(SALU_CYCLE_1)
	s_and_b32 s21, s13, vcc_lo
	s_and_saveexec_b32 s13, s21
	s_cbranch_execz .LBB112_21
; %bb.20:                               ;   in Loop: Header=BB112_19 Depth=1
	v_bcnt_u32_b32 v0, v0, 0
	ds_store_b32 v31, v0
.LBB112_21:                             ;   in Loop: Header=BB112_19 Depth=1
	s_or_b32 exec_lo, exec_lo, s13
	v_lshrrev_b64 v[0:1], s14, v[29:30]
	; wave barrier
	s_delay_alu instid0(VALU_DEP_1) | instskip(NEXT) | instid1(VALU_DEP_1)
	v_and_b32_e32 v0, s20, v0
	v_and_b32_e32 v1, 1, v0
	v_lshlrev_b32_e32 v2, 30, v0
	v_lshlrev_b32_e32 v3, 29, v0
	;; [unrolled: 1-line block ×4, first 2 shown]
	v_add_co_u32 v1, s13, v1, -1
	s_delay_alu instid0(VALU_DEP_1)
	v_cndmask_b32_e64 v5, 0, 1, s13
	v_not_b32_e32 v33, v2
	v_cmp_gt_i32_e64 s13, 0, v2
	v_not_b32_e32 v2, v3
	v_lshlrev_b32_e32 v7, 26, v0
	v_cmp_ne_u32_e32 vcc_lo, 0, v5
	v_ashrrev_i32_e32 v33, 31, v33
	v_lshlrev_b32_e32 v32, 25, v0
	v_ashrrev_i32_e32 v2, 31, v2
	v_lshlrev_b32_e32 v5, 24, v0
	v_xor_b32_e32 v1, vcc_lo, v1
	v_cmp_gt_i32_e32 vcc_lo, 0, v3
	v_not_b32_e32 v3, v4
	v_xor_b32_e32 v33, s13, v33
	v_cmp_gt_i32_e64 s13, 0, v4
	v_and_b32_e32 v1, exec_lo, v1
	v_not_b32_e32 v4, v6
	v_ashrrev_i32_e32 v3, 31, v3
	v_xor_b32_e32 v2, vcc_lo, v2
	v_cmp_gt_i32_e32 vcc_lo, 0, v6
	v_and_b32_e32 v1, v1, v33
	v_not_b32_e32 v6, v7
	v_ashrrev_i32_e32 v4, 31, v4
	v_xor_b32_e32 v3, s13, v3
	v_cmp_gt_i32_e64 s13, 0, v7
	v_and_b32_e32 v1, v1, v2
	v_not_b32_e32 v2, v32
	v_ashrrev_i32_e32 v6, 31, v6
	v_xor_b32_e32 v4, vcc_lo, v4
	v_cmp_gt_i32_e32 vcc_lo, 0, v32
	v_and_b32_e32 v1, v1, v3
	v_not_b32_e32 v3, v5
	v_ashrrev_i32_e32 v2, 31, v2
	v_xor_b32_e32 v6, s13, v6
	v_lshlrev_b32_e32 v0, 3, v0
	v_and_b32_e32 v1, v1, v4
	v_cmp_gt_i32_e64 s13, 0, v5
	v_ashrrev_i32_e32 v3, 31, v3
	v_xor_b32_e32 v2, vcc_lo, v2
	v_add_lshl_u32 v4, v0, v41, 2
	v_and_b32_e32 v1, v1, v6
	s_delay_alu instid0(VALU_DEP_4) | instskip(SKIP_3) | instid1(VALU_DEP_2)
	v_xor_b32_e32 v0, s13, v3
	ds_load_b32 v32, v4 offset:32
	v_and_b32_e32 v1, v1, v2
	v_add_nc_u32_e32 v34, 32, v4
	; wave barrier
	v_and_b32_e32 v0, v1, v0
	s_delay_alu instid0(VALU_DEP_1) | instskip(SKIP_1) | instid1(VALU_DEP_2)
	v_mbcnt_lo_u32_b32 v33, v0, 0
	v_cmp_ne_u32_e64 s13, 0, v0
	v_cmp_eq_u32_e32 vcc_lo, 0, v33
	s_delay_alu instid0(VALU_DEP_2) | instskip(NEXT) | instid1(SALU_CYCLE_1)
	s_and_b32 s21, s13, vcc_lo
	s_and_saveexec_b32 s13, s21
	s_cbranch_execz .LBB112_23
; %bb.22:                               ;   in Loop: Header=BB112_19 Depth=1
	s_waitcnt lgkmcnt(0)
	v_bcnt_u32_b32 v0, v0, v32
	ds_store_b32 v34, v0
.LBB112_23:                             ;   in Loop: Header=BB112_19 Depth=1
	s_or_b32 exec_lo, exec_lo, s13
	v_lshrrev_b64 v[0:1], s14, v[27:28]
	; wave barrier
	s_delay_alu instid0(VALU_DEP_1) | instskip(NEXT) | instid1(VALU_DEP_1)
	v_and_b32_e32 v0, s20, v0
	v_and_b32_e32 v1, 1, v0
	v_lshlrev_b32_e32 v2, 30, v0
	v_lshlrev_b32_e32 v3, 29, v0
	;; [unrolled: 1-line block ×4, first 2 shown]
	v_add_co_u32 v1, s13, v1, -1
	s_delay_alu instid0(VALU_DEP_1)
	v_cndmask_b32_e64 v5, 0, 1, s13
	v_not_b32_e32 v36, v2
	v_cmp_gt_i32_e64 s13, 0, v2
	v_not_b32_e32 v2, v3
	v_lshlrev_b32_e32 v7, 26, v0
	v_cmp_ne_u32_e32 vcc_lo, 0, v5
	v_ashrrev_i32_e32 v36, 31, v36
	v_lshlrev_b32_e32 v35, 25, v0
	v_ashrrev_i32_e32 v2, 31, v2
	v_lshlrev_b32_e32 v5, 24, v0
	v_xor_b32_e32 v1, vcc_lo, v1
	v_cmp_gt_i32_e32 vcc_lo, 0, v3
	v_not_b32_e32 v3, v4
	v_xor_b32_e32 v36, s13, v36
	v_cmp_gt_i32_e64 s13, 0, v4
	v_and_b32_e32 v1, exec_lo, v1
	v_not_b32_e32 v4, v6
	v_ashrrev_i32_e32 v3, 31, v3
	v_xor_b32_e32 v2, vcc_lo, v2
	v_cmp_gt_i32_e32 vcc_lo, 0, v6
	v_and_b32_e32 v1, v1, v36
	v_not_b32_e32 v6, v7
	v_ashrrev_i32_e32 v4, 31, v4
	v_xor_b32_e32 v3, s13, v3
	v_cmp_gt_i32_e64 s13, 0, v7
	v_and_b32_e32 v1, v1, v2
	v_not_b32_e32 v2, v35
	v_ashrrev_i32_e32 v6, 31, v6
	v_xor_b32_e32 v4, vcc_lo, v4
	v_cmp_gt_i32_e32 vcc_lo, 0, v35
	v_and_b32_e32 v1, v1, v3
	v_not_b32_e32 v3, v5
	v_ashrrev_i32_e32 v2, 31, v2
	v_xor_b32_e32 v6, s13, v6
	v_lshlrev_b32_e32 v0, 3, v0
	v_and_b32_e32 v1, v1, v4
	v_cmp_gt_i32_e64 s13, 0, v5
	v_ashrrev_i32_e32 v3, 31, v3
	v_xor_b32_e32 v2, vcc_lo, v2
	v_add_lshl_u32 v4, v0, v41, 2
	v_and_b32_e32 v1, v1, v6
	s_delay_alu instid0(VALU_DEP_4) | instskip(SKIP_3) | instid1(VALU_DEP_2)
	v_xor_b32_e32 v0, s13, v3
	ds_load_b32 v35, v4 offset:32
	v_and_b32_e32 v1, v1, v2
	v_add_nc_u32_e32 v37, 32, v4
	; wave barrier
	v_and_b32_e32 v0, v1, v0
	s_delay_alu instid0(VALU_DEP_1) | instskip(SKIP_1) | instid1(VALU_DEP_2)
	v_mbcnt_lo_u32_b32 v36, v0, 0
	v_cmp_ne_u32_e64 s13, 0, v0
	v_cmp_eq_u32_e32 vcc_lo, 0, v36
	s_delay_alu instid0(VALU_DEP_2) | instskip(NEXT) | instid1(SALU_CYCLE_1)
	s_and_b32 s21, s13, vcc_lo
	s_and_saveexec_b32 s13, s21
	s_cbranch_execz .LBB112_25
; %bb.24:                               ;   in Loop: Header=BB112_19 Depth=1
	s_waitcnt lgkmcnt(0)
	v_bcnt_u32_b32 v0, v0, v35
	ds_store_b32 v37, v0
.LBB112_25:                             ;   in Loop: Header=BB112_19 Depth=1
	s_or_b32 exec_lo, exec_lo, s13
	v_lshrrev_b64 v[0:1], s14, v[25:26]
	; wave barrier
	s_delay_alu instid0(VALU_DEP_1) | instskip(NEXT) | instid1(VALU_DEP_1)
	v_and_b32_e32 v0, s20, v0
	v_and_b32_e32 v1, 1, v0
	v_lshlrev_b32_e32 v2, 30, v0
	v_lshlrev_b32_e32 v3, 29, v0
	;; [unrolled: 1-line block ×4, first 2 shown]
	v_add_co_u32 v1, s13, v1, -1
	s_delay_alu instid0(VALU_DEP_1)
	v_cndmask_b32_e64 v5, 0, 1, s13
	v_not_b32_e32 v49, v2
	v_cmp_gt_i32_e64 s13, 0, v2
	v_not_b32_e32 v2, v3
	v_lshlrev_b32_e32 v7, 26, v0
	v_cmp_ne_u32_e32 vcc_lo, 0, v5
	v_ashrrev_i32_e32 v49, 31, v49
	v_lshlrev_b32_e32 v38, 25, v0
	v_ashrrev_i32_e32 v2, 31, v2
	v_lshlrev_b32_e32 v5, 24, v0
	v_xor_b32_e32 v1, vcc_lo, v1
	v_cmp_gt_i32_e32 vcc_lo, 0, v3
	v_not_b32_e32 v3, v4
	v_xor_b32_e32 v49, s13, v49
	v_cmp_gt_i32_e64 s13, 0, v4
	v_and_b32_e32 v1, exec_lo, v1
	v_not_b32_e32 v4, v6
	v_ashrrev_i32_e32 v3, 31, v3
	v_xor_b32_e32 v2, vcc_lo, v2
	v_cmp_gt_i32_e32 vcc_lo, 0, v6
	v_and_b32_e32 v1, v1, v49
	v_not_b32_e32 v6, v7
	v_ashrrev_i32_e32 v4, 31, v4
	v_xor_b32_e32 v3, s13, v3
	v_cmp_gt_i32_e64 s13, 0, v7
	v_and_b32_e32 v1, v1, v2
	v_not_b32_e32 v2, v38
	v_ashrrev_i32_e32 v6, 31, v6
	v_xor_b32_e32 v4, vcc_lo, v4
	v_cmp_gt_i32_e32 vcc_lo, 0, v38
	v_and_b32_e32 v1, v1, v3
	v_not_b32_e32 v3, v5
	v_ashrrev_i32_e32 v2, 31, v2
	v_xor_b32_e32 v6, s13, v6
	v_lshlrev_b32_e32 v0, 3, v0
	v_and_b32_e32 v1, v1, v4
	v_cmp_gt_i32_e64 s13, 0, v5
	v_ashrrev_i32_e32 v3, 31, v3
	v_xor_b32_e32 v2, vcc_lo, v2
	v_add_lshl_u32 v4, v0, v41, 2
	v_and_b32_e32 v1, v1, v6
	s_delay_alu instid0(VALU_DEP_4) | instskip(SKIP_3) | instid1(VALU_DEP_2)
	v_xor_b32_e32 v0, s13, v3
	ds_load_b32 v38, v4 offset:32
	v_and_b32_e32 v1, v1, v2
	v_add_nc_u32_e32 v50, 32, v4
	; wave barrier
	v_and_b32_e32 v0, v1, v0
	s_delay_alu instid0(VALU_DEP_1) | instskip(SKIP_1) | instid1(VALU_DEP_2)
	v_mbcnt_lo_u32_b32 v49, v0, 0
	v_cmp_ne_u32_e64 s13, 0, v0
	v_cmp_eq_u32_e32 vcc_lo, 0, v49
	s_delay_alu instid0(VALU_DEP_2) | instskip(NEXT) | instid1(SALU_CYCLE_1)
	s_and_b32 s20, s13, vcc_lo
	s_and_saveexec_b32 s13, s20
	s_cbranch_execz .LBB112_27
; %bb.26:                               ;   in Loop: Header=BB112_19 Depth=1
	s_waitcnt lgkmcnt(0)
	v_bcnt_u32_b32 v0, v0, v38
	ds_store_b32 v50, v0
.LBB112_27:                             ;   in Loop: Header=BB112_19 Depth=1
	s_or_b32 exec_lo, exec_lo, s13
	; wave barrier
	s_waitcnt lgkmcnt(0)
	s_barrier
	buffer_gl0_inv
	ds_load_2addr_b64 v[4:7], v15 offset0:4 offset1:5
	ds_load_2addr_b64 v[0:3], v39 offset0:2 offset1:3
	s_waitcnt lgkmcnt(1)
	v_add_nc_u32_e32 v51, v5, v4
	s_delay_alu instid0(VALU_DEP_1) | instskip(SKIP_1) | instid1(VALU_DEP_1)
	v_add3_u32 v51, v51, v6, v7
	s_waitcnt lgkmcnt(0)
	v_add3_u32 v51, v51, v0, v1
	s_delay_alu instid0(VALU_DEP_1) | instskip(NEXT) | instid1(VALU_DEP_1)
	v_add3_u32 v3, v51, v2, v3
	v_mov_b32_dpp v51, v3 row_shr:1 row_mask:0xf bank_mask:0xf
	s_delay_alu instid0(VALU_DEP_1) | instskip(NEXT) | instid1(VALU_DEP_1)
	v_cndmask_b32_e64 v51, v51, 0, s2
	v_add_nc_u32_e32 v3, v51, v3
	s_delay_alu instid0(VALU_DEP_1) | instskip(NEXT) | instid1(VALU_DEP_1)
	v_mov_b32_dpp v51, v3 row_shr:2 row_mask:0xf bank_mask:0xf
	v_cndmask_b32_e64 v51, 0, v51, s3
	s_delay_alu instid0(VALU_DEP_1) | instskip(NEXT) | instid1(VALU_DEP_1)
	v_add_nc_u32_e32 v3, v3, v51
	v_mov_b32_dpp v51, v3 row_shr:4 row_mask:0xf bank_mask:0xf
	s_delay_alu instid0(VALU_DEP_1) | instskip(NEXT) | instid1(VALU_DEP_1)
	v_cndmask_b32_e64 v51, 0, v51, s4
	v_add_nc_u32_e32 v3, v3, v51
	s_delay_alu instid0(VALU_DEP_1) | instskip(NEXT) | instid1(VALU_DEP_1)
	v_mov_b32_dpp v51, v3 row_shr:8 row_mask:0xf bank_mask:0xf
	v_cndmask_b32_e64 v51, 0, v51, s5
	s_delay_alu instid0(VALU_DEP_1) | instskip(SKIP_3) | instid1(VALU_DEP_1)
	v_add_nc_u32_e32 v3, v3, v51
	ds_swizzle_b32 v51, v3 offset:swizzle(BROADCAST,32,15)
	s_waitcnt lgkmcnt(0)
	v_cndmask_b32_e64 v51, v51, 0, s6
	v_add_nc_u32_e32 v3, v3, v51
	s_and_saveexec_b32 s13, s7
	s_cbranch_execz .LBB112_29
; %bb.28:                               ;   in Loop: Header=BB112_19 Depth=1
	ds_store_b32 v42, v3
.LBB112_29:                             ;   in Loop: Header=BB112_19 Depth=1
	s_or_b32 exec_lo, exec_lo, s13
	s_waitcnt lgkmcnt(0)
	s_barrier
	buffer_gl0_inv
	s_and_saveexec_b32 s13, s0
	s_cbranch_execz .LBB112_31
; %bb.30:                               ;   in Loop: Header=BB112_19 Depth=1
	ds_load_b32 v51, v48
	s_waitcnt lgkmcnt(0)
	v_mov_b32_dpp v52, v51 row_shr:1 row_mask:0xf bank_mask:0xf
	s_delay_alu instid0(VALU_DEP_1) | instskip(NEXT) | instid1(VALU_DEP_1)
	v_cndmask_b32_e64 v52, v52, 0, s10
	v_add_nc_u32_e32 v51, v52, v51
	s_delay_alu instid0(VALU_DEP_1) | instskip(NEXT) | instid1(VALU_DEP_1)
	v_mov_b32_dpp v52, v51 row_shr:2 row_mask:0xf bank_mask:0xf
	v_cndmask_b32_e64 v52, 0, v52, s11
	s_delay_alu instid0(VALU_DEP_1) | instskip(NEXT) | instid1(VALU_DEP_1)
	v_add_nc_u32_e32 v51, v51, v52
	v_mov_b32_dpp v52, v51 row_shr:4 row_mask:0xf bank_mask:0xf
	s_delay_alu instid0(VALU_DEP_1) | instskip(NEXT) | instid1(VALU_DEP_1)
	v_cndmask_b32_e64 v52, 0, v52, s12
	v_add_nc_u32_e32 v51, v51, v52
	ds_store_b32 v48, v51
.LBB112_31:                             ;   in Loop: Header=BB112_19 Depth=1
	s_or_b32 exec_lo, exec_lo, s13
	v_mov_b32_e32 v51, 0
	s_waitcnt lgkmcnt(0)
	s_barrier
	buffer_gl0_inv
	s_and_saveexec_b32 s13, s1
	s_cbranch_execz .LBB112_33
; %bb.32:                               ;   in Loop: Header=BB112_19 Depth=1
	ds_load_b32 v51, v43
.LBB112_33:                             ;   in Loop: Header=BB112_19 Depth=1
	s_or_b32 exec_lo, exec_lo, s13
	s_waitcnt lgkmcnt(0)
	v_add_nc_u32_e32 v3, v51, v3
	s_add_i32 s14, s14, 8
	s_delay_alu instid0(SALU_CYCLE_1) | instskip(SKIP_3) | instid1(VALU_DEP_1)
	s_cmp_ge_u32 s14, s17
	ds_bpermute_b32 v3, v40, v3
	s_waitcnt lgkmcnt(0)
	v_cndmask_b32_e64 v3, v3, v51, s8
	v_cndmask_b32_e64 v3, v3, 0, s9
	s_delay_alu instid0(VALU_DEP_1) | instskip(NEXT) | instid1(VALU_DEP_1)
	v_add_nc_u32_e32 v4, v3, v4
	v_add_nc_u32_e32 v5, v4, v5
	s_delay_alu instid0(VALU_DEP_1) | instskip(NEXT) | instid1(VALU_DEP_1)
	v_add_nc_u32_e32 v6, v5, v6
	v_add_nc_u32_e32 v51, v6, v7
	v_lshlrev_b32_e32 v7, 3, v36
	s_delay_alu instid0(VALU_DEP_2) | instskip(NEXT) | instid1(VALU_DEP_1)
	v_add_nc_u32_e32 v52, v51, v0
	v_add_nc_u32_e32 v0, v52, v1
	s_delay_alu instid0(VALU_DEP_1)
	v_add_nc_u32_e32 v1, v0, v2
	ds_store_2addr_b64 v15, v[3:4], v[5:6] offset0:4 offset1:5
	ds_store_2addr_b64 v39, v[51:52], v[0:1] offset0:2 offset1:3
	s_waitcnt lgkmcnt(0)
	s_barrier
	buffer_gl0_inv
	ds_load_b32 v0, v34
	ds_load_b32 v1, v37
	;; [unrolled: 1-line block ×4, first 2 shown]
	v_lshlrev_b32_e32 v4, 3, v8
	v_lshlrev_b32_e32 v5, 3, v33
	;; [unrolled: 1-line block ×6, first 2 shown]
	s_waitcnt lgkmcnt(0)
	v_lshlrev_b32_e32 v33, 3, v0
	v_lshlrev_b32_e32 v1, 3, v1
	;; [unrolled: 1-line block ×3, first 2 shown]
	v_lshl_add_u32 v0, v3, 3, v4
	s_delay_alu instid0(VALU_DEP_4) | instskip(NEXT) | instid1(VALU_DEP_4)
	v_add3_u32 v49, v5, v6, v33
	v_add3_u32 v50, v7, v8, v1
	s_delay_alu instid0(VALU_DEP_4)
	v_add3_u32 v51, v31, v32, v2
	s_cbranch_scc0 .LBB112_18
; %bb.34:
                                        ; implicit-def: $vgpr7_vgpr8
                                        ; implicit-def: $sgpr14
                                        ; implicit-def: $vgpr31_vgpr32
                                        ; implicit-def: $vgpr33_vgpr34
                                        ; implicit-def: $vgpr35_vgpr36
                                        ; implicit-def: $vgpr37_vgpr38
.LBB112_35:
	s_barrier
	buffer_gl0_inv
	ds_store_b64 v0, v[13:14]
	ds_store_b64 v49, v[29:30]
	;; [unrolled: 1-line block ×3, first 2 shown]
	v_lshlrev_b32_e32 v27, 3, v16
	ds_store_b64 v51, v[25:26]
	s_waitcnt lgkmcnt(0)
	s_barrier
	buffer_gl0_inv
	ds_load_2addr_stride64_b64 v[12:15], v27 offset1:4
	ds_load_2addr_stride64_b64 v[8:11], v27 offset0:8 offset1:12
	s_waitcnt lgkmcnt(0)
	s_barrier
	buffer_gl0_inv
	ds_store_b64 v0, v[23:24]
	ds_store_b64 v49, v[21:22]
	;; [unrolled: 1-line block ×4, first 2 shown]
	s_waitcnt lgkmcnt(0)
	s_barrier
	buffer_gl0_inv
	ds_load_2addr_stride64_b64 v[4:7], v27 offset1:4
	ds_load_2addr_stride64_b64 v[0:3], v27 offset0:8 offset1:12
	s_add_u32 s0, s18, s24
	s_addc_u32 s1, s19, s25
	v_add_co_u32 v17, s0, s0, v27
	s_delay_alu instid0(VALU_DEP_1)
	v_add_co_ci_u32_e64 v18, null, s1, 0, s0
	s_mov_b32 s3, 0
	s_and_not1_b32 vcc_lo, exec_lo, s26
	s_mov_b32 s0, -1
	v_xor_b32_e32 v13, 0x80000000, v13
	v_xor_b32_e32 v15, 0x80000000, v15
	;; [unrolled: 1-line block ×4, first 2 shown]
	s_cbranch_vccz .LBB112_39
; %bb.36:
	s_and_not1_b32 vcc_lo, exec_lo, s0
	s_cbranch_vccz .LBB112_40
.LBB112_37:
	s_and_saveexec_b32 s0, s3
	s_cbranch_execnz .LBB112_53
.LBB112_38:
	s_nop 0
	s_sendmsg sendmsg(MSG_DEALLOC_VGPRS)
	s_endpgm
.LBB112_39:
	s_add_u32 s4, s22, s24
	s_addc_u32 s5, s23, s25
	v_add_co_u32 v21, s1, s4, v27
	s_delay_alu instid0(VALU_DEP_1) | instskip(SKIP_2) | instid1(VALU_DEP_4)
	v_add_co_ci_u32_e64 v22, null, s5, 0, s1
	v_add_co_u32 v19, vcc_lo, 0x1000, v17
	v_add_co_ci_u32_e32 v20, vcc_lo, 0, v18, vcc_lo
	v_add_co_u32 v21, vcc_lo, 0x1000, v21
	s_delay_alu instid0(VALU_DEP_4)
	v_add_co_ci_u32_e32 v22, vcc_lo, 0, v22, vcc_lo
	s_mov_b32 s3, -1
	s_clause 0x3
	global_store_b64 v[17:18], v[12:13], off
	global_store_b64 v[17:18], v[14:15], off offset:2048
	global_store_b64 v[19:20], v[8:9], off
	global_store_b64 v[19:20], v[10:11], off offset:2048
	s_waitcnt lgkmcnt(1)
	s_clause 0x1
	global_store_b64 v27, v[4:5], s[4:5]
	global_store_b64 v27, v[6:7], s[4:5] offset:2048
	s_waitcnt lgkmcnt(0)
	global_store_b64 v[21:22], v[0:1], off
	s_cbranch_execnz .LBB112_37
.LBB112_40:
	v_cmp_gt_u32_e32 vcc_lo, s16, v16
	s_and_saveexec_b32 s0, vcc_lo
	s_cbranch_execz .LBB112_42
; %bb.41:
	global_store_b64 v[17:18], v[12:13], off
.LBB112_42:
	s_or_b32 exec_lo, exec_lo, s0
	v_add_nc_u32_e32 v12, 0x100, v16
	s_delay_alu instid0(VALU_DEP_1) | instskip(NEXT) | instid1(VALU_DEP_1)
	v_cmp_gt_u32_e64 s0, s16, v12
	s_and_saveexec_b32 s1, s0
	s_cbranch_execz .LBB112_44
; %bb.43:
	global_store_b64 v[17:18], v[14:15], off offset:2048
.LBB112_44:
	s_or_b32 exec_lo, exec_lo, s1
	v_add_nc_u32_e32 v12, 0x200, v16
	s_delay_alu instid0(VALU_DEP_1) | instskip(NEXT) | instid1(VALU_DEP_1)
	v_cmp_gt_u32_e64 s1, s16, v12
	s_and_saveexec_b32 s3, s1
	s_cbranch_execz .LBB112_46
; %bb.45:
	v_add_co_u32 v12, s2, 0x1000, v17
	s_delay_alu instid0(VALU_DEP_1)
	v_add_co_ci_u32_e64 v13, s2, 0, v18, s2
	global_store_b64 v[12:13], v[8:9], off
.LBB112_46:
	s_or_b32 exec_lo, exec_lo, s3
	v_add_nc_u32_e32 v8, 0x300, v16
	s_delay_alu instid0(VALU_DEP_1) | instskip(NEXT) | instid1(VALU_DEP_1)
	v_cmp_gt_u32_e64 s3, s16, v8
	s_and_saveexec_b32 s4, s3
	s_cbranch_execz .LBB112_48
; %bb.47:
	v_add_co_u32 v8, s2, 0x1000, v17
	s_delay_alu instid0(VALU_DEP_1)
	v_add_co_ci_u32_e64 v9, s2, 0, v18, s2
	global_store_b64 v[8:9], v[10:11], off offset:2048
.LBB112_48:
	s_or_b32 exec_lo, exec_lo, s4
	s_add_u32 s2, s22, s24
	s_addc_u32 s4, s23, s25
	v_add_co_u32 v8, s2, s2, v27
	s_delay_alu instid0(VALU_DEP_1)
	v_add_co_ci_u32_e64 v9, null, s4, 0, s2
	s_and_saveexec_b32 s2, vcc_lo
	s_cbranch_execnz .LBB112_57
; %bb.49:
	s_or_b32 exec_lo, exec_lo, s2
	s_and_saveexec_b32 s2, s0
	s_cbranch_execnz .LBB112_58
.LBB112_50:
	s_or_b32 exec_lo, exec_lo, s2
	s_and_saveexec_b32 s0, s1
	s_cbranch_execz .LBB112_52
.LBB112_51:
	s_waitcnt lgkmcnt(1)
	v_add_co_u32 v4, vcc_lo, 0x1000, v8
	v_add_co_ci_u32_e32 v5, vcc_lo, 0, v9, vcc_lo
	s_waitcnt lgkmcnt(0)
	global_store_b64 v[4:5], v[0:1], off
.LBB112_52:
	s_or_b32 exec_lo, exec_lo, s0
	s_and_saveexec_b32 s0, s3
	s_cbranch_execz .LBB112_38
.LBB112_53:
	s_add_u32 s0, s22, s24
	s_addc_u32 s1, s23, s25
	s_waitcnt lgkmcnt(0)
	v_add_co_u32 v0, s0, s0, v27
	s_delay_alu instid0(VALU_DEP_1) | instskip(NEXT) | instid1(VALU_DEP_2)
	v_add_co_ci_u32_e64 v1, null, s1, 0, s0
	v_add_co_u32 v0, vcc_lo, 0x1000, v0
	s_delay_alu instid0(VALU_DEP_2)
	v_add_co_ci_u32_e32 v1, vcc_lo, 0, v1, vcc_lo
	global_store_b64 v[0:1], v[2:3], off offset:2048
	s_nop 0
	s_sendmsg sendmsg(MSG_DEALLOC_VGPRS)
	s_endpgm
.LBB112_54:
	global_load_b64 v[31:32], v[9:10], off
	s_or_b32 exec_lo, exec_lo, s5
                                        ; implicit-def: $vgpr33_vgpr34
	s_and_saveexec_b32 s5, s2
	s_cbranch_execz .LBB112_13
.LBB112_55:
	global_load_b64 v[33:34], v[9:10], off offset:256
	s_or_b32 exec_lo, exec_lo, s5
                                        ; implicit-def: $vgpr35_vgpr36
	s_and_saveexec_b32 s2, s3
	s_cbranch_execz .LBB112_14
.LBB112_56:
	global_load_b64 v[35:36], v[9:10], off offset:512
	s_or_b32 exec_lo, exec_lo, s2
                                        ; implicit-def: $vgpr37_vgpr38
	s_and_saveexec_b32 s2, s4
	s_cbranch_execnz .LBB112_15
	s_branch .LBB112_16
.LBB112_57:
	s_waitcnt lgkmcnt(1)
	global_store_b64 v[8:9], v[4:5], off
	s_or_b32 exec_lo, exec_lo, s2
	s_and_saveexec_b32 s2, s0
	s_cbranch_execz .LBB112_50
.LBB112_58:
	s_waitcnt lgkmcnt(1)
	global_store_b64 v[8:9], v[6:7], off offset:2048
	s_or_b32 exec_lo, exec_lo, s2
	s_and_saveexec_b32 s0, s1
	s_cbranch_execnz .LBB112_51
	s_branch .LBB112_52
	.section	.rodata,"a",@progbits
	.p2align	6, 0x0
	.amdhsa_kernel _ZN7rocprim17ROCPRIM_304000_NS6detail28radix_sort_block_sort_kernelINS1_36wrapped_radix_sort_block_sort_configINS0_13kernel_configILj256ELj4ELj4294967295EEElN2at4cuda3cub6detail10OpaqueTypeILi8EEEEELb0EPKlPlPKSB_PSB_NS0_19identity_decomposerEEEvT1_T2_T3_T4_jT5_jj
		.amdhsa_group_segment_fixed_size 8224
		.amdhsa_private_segment_fixed_size 0
		.amdhsa_kernarg_size 304
		.amdhsa_user_sgpr_count 15
		.amdhsa_user_sgpr_dispatch_ptr 0
		.amdhsa_user_sgpr_queue_ptr 0
		.amdhsa_user_sgpr_kernarg_segment_ptr 1
		.amdhsa_user_sgpr_dispatch_id 0
		.amdhsa_user_sgpr_private_segment_size 0
		.amdhsa_wavefront_size32 1
		.amdhsa_uses_dynamic_stack 0
		.amdhsa_enable_private_segment 0
		.amdhsa_system_sgpr_workgroup_id_x 1
		.amdhsa_system_sgpr_workgroup_id_y 0
		.amdhsa_system_sgpr_workgroup_id_z 0
		.amdhsa_system_sgpr_workgroup_info 0
		.amdhsa_system_vgpr_workitem_id 2
		.amdhsa_next_free_vgpr 53
		.amdhsa_next_free_sgpr 30
		.amdhsa_reserve_vcc 1
		.amdhsa_float_round_mode_32 0
		.amdhsa_float_round_mode_16_64 0
		.amdhsa_float_denorm_mode_32 3
		.amdhsa_float_denorm_mode_16_64 3
		.amdhsa_dx10_clamp 1
		.amdhsa_ieee_mode 1
		.amdhsa_fp16_overflow 0
		.amdhsa_workgroup_processor_mode 1
		.amdhsa_memory_ordered 1
		.amdhsa_forward_progress 0
		.amdhsa_shared_vgpr_count 0
		.amdhsa_exception_fp_ieee_invalid_op 0
		.amdhsa_exception_fp_denorm_src 0
		.amdhsa_exception_fp_ieee_div_zero 0
		.amdhsa_exception_fp_ieee_overflow 0
		.amdhsa_exception_fp_ieee_underflow 0
		.amdhsa_exception_fp_ieee_inexact 0
		.amdhsa_exception_int_div_zero 0
	.end_amdhsa_kernel
	.section	.text._ZN7rocprim17ROCPRIM_304000_NS6detail28radix_sort_block_sort_kernelINS1_36wrapped_radix_sort_block_sort_configINS0_13kernel_configILj256ELj4ELj4294967295EEElN2at4cuda3cub6detail10OpaqueTypeILi8EEEEELb0EPKlPlPKSB_PSB_NS0_19identity_decomposerEEEvT1_T2_T3_T4_jT5_jj,"axG",@progbits,_ZN7rocprim17ROCPRIM_304000_NS6detail28radix_sort_block_sort_kernelINS1_36wrapped_radix_sort_block_sort_configINS0_13kernel_configILj256ELj4ELj4294967295EEElN2at4cuda3cub6detail10OpaqueTypeILi8EEEEELb0EPKlPlPKSB_PSB_NS0_19identity_decomposerEEEvT1_T2_T3_T4_jT5_jj,comdat
.Lfunc_end112:
	.size	_ZN7rocprim17ROCPRIM_304000_NS6detail28radix_sort_block_sort_kernelINS1_36wrapped_radix_sort_block_sort_configINS0_13kernel_configILj256ELj4ELj4294967295EEElN2at4cuda3cub6detail10OpaqueTypeILi8EEEEELb0EPKlPlPKSB_PSB_NS0_19identity_decomposerEEEvT1_T2_T3_T4_jT5_jj, .Lfunc_end112-_ZN7rocprim17ROCPRIM_304000_NS6detail28radix_sort_block_sort_kernelINS1_36wrapped_radix_sort_block_sort_configINS0_13kernel_configILj256ELj4ELj4294967295EEElN2at4cuda3cub6detail10OpaqueTypeILi8EEEEELb0EPKlPlPKSB_PSB_NS0_19identity_decomposerEEEvT1_T2_T3_T4_jT5_jj
                                        ; -- End function
	.section	.AMDGPU.csdata,"",@progbits
; Kernel info:
; codeLenInByte = 4164
; NumSgprs: 32
; NumVgprs: 53
; ScratchSize: 0
; MemoryBound: 1
; FloatMode: 240
; IeeeMode: 1
; LDSByteSize: 8224 bytes/workgroup (compile time only)
; SGPRBlocks: 3
; VGPRBlocks: 6
; NumSGPRsForWavesPerEU: 32
; NumVGPRsForWavesPerEU: 53
; Occupancy: 16
; WaveLimiterHint : 1
; COMPUTE_PGM_RSRC2:SCRATCH_EN: 0
; COMPUTE_PGM_RSRC2:USER_SGPR: 15
; COMPUTE_PGM_RSRC2:TRAP_HANDLER: 0
; COMPUTE_PGM_RSRC2:TGID_X_EN: 1
; COMPUTE_PGM_RSRC2:TGID_Y_EN: 0
; COMPUTE_PGM_RSRC2:TGID_Z_EN: 0
; COMPUTE_PGM_RSRC2:TIDIG_COMP_CNT: 2
	.section	.text._ZN7rocprim17ROCPRIM_304000_NS6detail45device_block_merge_mergepath_partition_kernelINS1_37wrapped_merge_sort_block_merge_configINS0_14default_configElN2at4cuda3cub6detail10OpaqueTypeILi8EEEEEPljNS1_19radix_merge_compareILb0ELb0ElNS0_19identity_decomposerEEEEEvT0_T1_jPSH_T2_SH_,"axG",@progbits,_ZN7rocprim17ROCPRIM_304000_NS6detail45device_block_merge_mergepath_partition_kernelINS1_37wrapped_merge_sort_block_merge_configINS0_14default_configElN2at4cuda3cub6detail10OpaqueTypeILi8EEEEEPljNS1_19radix_merge_compareILb0ELb0ElNS0_19identity_decomposerEEEEEvT0_T1_jPSH_T2_SH_,comdat
	.protected	_ZN7rocprim17ROCPRIM_304000_NS6detail45device_block_merge_mergepath_partition_kernelINS1_37wrapped_merge_sort_block_merge_configINS0_14default_configElN2at4cuda3cub6detail10OpaqueTypeILi8EEEEEPljNS1_19radix_merge_compareILb0ELb0ElNS0_19identity_decomposerEEEEEvT0_T1_jPSH_T2_SH_ ; -- Begin function _ZN7rocprim17ROCPRIM_304000_NS6detail45device_block_merge_mergepath_partition_kernelINS1_37wrapped_merge_sort_block_merge_configINS0_14default_configElN2at4cuda3cub6detail10OpaqueTypeILi8EEEEEPljNS1_19radix_merge_compareILb0ELb0ElNS0_19identity_decomposerEEEEEvT0_T1_jPSH_T2_SH_
	.globl	_ZN7rocprim17ROCPRIM_304000_NS6detail45device_block_merge_mergepath_partition_kernelINS1_37wrapped_merge_sort_block_merge_configINS0_14default_configElN2at4cuda3cub6detail10OpaqueTypeILi8EEEEEPljNS1_19radix_merge_compareILb0ELb0ElNS0_19identity_decomposerEEEEEvT0_T1_jPSH_T2_SH_
	.p2align	8
	.type	_ZN7rocprim17ROCPRIM_304000_NS6detail45device_block_merge_mergepath_partition_kernelINS1_37wrapped_merge_sort_block_merge_configINS0_14default_configElN2at4cuda3cub6detail10OpaqueTypeILi8EEEEEPljNS1_19radix_merge_compareILb0ELb0ElNS0_19identity_decomposerEEEEEvT0_T1_jPSH_T2_SH_,@function
_ZN7rocprim17ROCPRIM_304000_NS6detail45device_block_merge_mergepath_partition_kernelINS1_37wrapped_merge_sort_block_merge_configINS0_14default_configElN2at4cuda3cub6detail10OpaqueTypeILi8EEEEEPljNS1_19radix_merge_compareILb0ELb0ElNS0_19identity_decomposerEEEEEvT0_T1_jPSH_T2_SH_: ; @_ZN7rocprim17ROCPRIM_304000_NS6detail45device_block_merge_mergepath_partition_kernelINS1_37wrapped_merge_sort_block_merge_configINS0_14default_configElN2at4cuda3cub6detail10OpaqueTypeILi8EEEEEPljNS1_19radix_merge_compareILb0ELb0ElNS0_19identity_decomposerEEEEEvT0_T1_jPSH_T2_SH_
; %bb.0:
	s_load_b64 s[2:3], s[0:1], 0x8
	v_lshl_or_b32 v0, s15, 7, v0
	s_waitcnt lgkmcnt(0)
	s_delay_alu instid0(VALU_DEP_1)
	v_cmp_gt_u32_e32 vcc_lo, s3, v0
	s_and_saveexec_b32 s3, vcc_lo
	s_cbranch_execz .LBB113_6
; %bb.1:
	s_load_b32 s3, s[0:1], 0x1c
	s_waitcnt lgkmcnt(0)
	s_lshr_b32 s4, s3, 9
	s_delay_alu instid0(SALU_CYCLE_1) | instskip(NEXT) | instid1(SALU_CYCLE_1)
	s_and_b32 s4, s4, 0x7ffffe
	s_sub_i32 s5, 0, s4
	s_add_i32 s4, s4, -1
	v_and_b32_e32 v1, s5, v0
	v_and_b32_e32 v5, s4, v0
	s_delay_alu instid0(VALU_DEP_2) | instskip(NEXT) | instid1(VALU_DEP_1)
	v_lshlrev_b32_e32 v1, 10, v1
	v_add_nc_u32_e32 v2, s3, v1
	s_delay_alu instid0(VALU_DEP_1) | instskip(SKIP_1) | instid1(VALU_DEP_2)
	v_min_u32_e32 v4, s2, v2
	v_min_u32_e32 v2, s2, v1
	v_add_nc_u32_e32 v3, s3, v4
	s_delay_alu instid0(VALU_DEP_1) | instskip(SKIP_2) | instid1(VALU_DEP_2)
	v_min_u32_e32 v1, s2, v3
	v_lshlrev_b32_e32 v3, 10, v5
	s_mov_b32 s2, exec_lo
	v_sub_nc_u32_e32 v5, v1, v2
	v_sub_nc_u32_e32 v6, v1, v4
	s_delay_alu instid0(VALU_DEP_2) | instskip(SKIP_1) | instid1(VALU_DEP_2)
	v_min_u32_e32 v1, v5, v3
	v_sub_nc_u32_e32 v3, v4, v2
	v_sub_nc_u32_e64 v6, v1, v6 clamp
	s_delay_alu instid0(VALU_DEP_2) | instskip(NEXT) | instid1(VALU_DEP_1)
	v_min_u32_e32 v7, v1, v3
	v_cmpx_lt_u32_e64 v6, v7
	s_cbranch_execz .LBB113_5
; %bb.2:
	s_load_b64 s[4:5], s[0:1], 0x0
	v_mov_b32_e32 v5, 0
	s_mov_b32 s3, 0
	s_delay_alu instid0(VALU_DEP_1) | instskip(SKIP_1) | instid1(VALU_DEP_2)
	v_mov_b32_e32 v3, v5
	v_lshlrev_b64 v[10:11], 3, v[4:5]
	v_lshlrev_b64 v[8:9], 3, v[2:3]
	s_waitcnt lgkmcnt(0)
	s_delay_alu instid0(VALU_DEP_1) | instskip(NEXT) | instid1(VALU_DEP_2)
	v_add_co_u32 v3, vcc_lo, s4, v8
	v_add_co_ci_u32_e32 v8, vcc_lo, s5, v9, vcc_lo
	s_delay_alu instid0(VALU_DEP_4)
	v_add_co_u32 v9, vcc_lo, s4, v10
	v_add_co_ci_u32_e32 v10, vcc_lo, s5, v11, vcc_lo
	.p2align	6
.LBB113_3:                              ; =>This Inner Loop Header: Depth=1
	v_add_nc_u32_e32 v4, v7, v6
	s_delay_alu instid0(VALU_DEP_1) | instskip(SKIP_1) | instid1(VALU_DEP_2)
	v_lshrrev_b32_e32 v4, 1, v4
	v_mov_b32_e32 v12, v5
	v_xad_u32 v11, v4, -1, v1
	v_lshlrev_b64 v[13:14], 3, v[4:5]
	s_delay_alu instid0(VALU_DEP_2) | instskip(NEXT) | instid1(VALU_DEP_2)
	v_lshlrev_b64 v[11:12], 3, v[11:12]
	v_add_co_u32 v13, vcc_lo, v3, v13
	s_delay_alu instid0(VALU_DEP_3) | instskip(NEXT) | instid1(VALU_DEP_3)
	v_add_co_ci_u32_e32 v14, vcc_lo, v8, v14, vcc_lo
	v_add_co_u32 v11, vcc_lo, v9, v11
	s_delay_alu instid0(VALU_DEP_4)
	v_add_co_ci_u32_e32 v12, vcc_lo, v10, v12, vcc_lo
	s_clause 0x1
	global_load_b64 v[13:14], v[13:14], off
	global_load_b64 v[11:12], v[11:12], off
	s_waitcnt vmcnt(0)
	v_cmp_gt_i64_e32 vcc_lo, v[13:14], v[11:12]
	v_add_nc_u32_e32 v11, 1, v4
	v_cndmask_b32_e32 v7, v7, v4, vcc_lo
	s_delay_alu instid0(VALU_DEP_2) | instskip(NEXT) | instid1(VALU_DEP_1)
	v_cndmask_b32_e32 v6, v11, v6, vcc_lo
	v_cmp_ge_u32_e32 vcc_lo, v6, v7
	s_or_b32 s3, vcc_lo, s3
	s_delay_alu instid0(SALU_CYCLE_1)
	s_and_not1_b32 exec_lo, exec_lo, s3
	s_cbranch_execnz .LBB113_3
; %bb.4:
	s_or_b32 exec_lo, exec_lo, s3
.LBB113_5:
	s_delay_alu instid0(SALU_CYCLE_1) | instskip(SKIP_2) | instid1(VALU_DEP_1)
	s_or_b32 exec_lo, exec_lo, s2
	s_load_b64 s[0:1], s[0:1], 0x10
	v_dual_mov_b32 v1, 0 :: v_dual_add_nc_u32 v2, v6, v2
	v_lshlrev_b64 v[0:1], 2, v[0:1]
	s_waitcnt lgkmcnt(0)
	s_delay_alu instid0(VALU_DEP_1) | instskip(NEXT) | instid1(VALU_DEP_2)
	v_add_co_u32 v0, vcc_lo, s0, v0
	v_add_co_ci_u32_e32 v1, vcc_lo, s1, v1, vcc_lo
	global_store_b32 v[0:1], v2, off
.LBB113_6:
	s_nop 0
	s_sendmsg sendmsg(MSG_DEALLOC_VGPRS)
	s_endpgm
	.section	.rodata,"a",@progbits
	.p2align	6, 0x0
	.amdhsa_kernel _ZN7rocprim17ROCPRIM_304000_NS6detail45device_block_merge_mergepath_partition_kernelINS1_37wrapped_merge_sort_block_merge_configINS0_14default_configElN2at4cuda3cub6detail10OpaqueTypeILi8EEEEEPljNS1_19radix_merge_compareILb0ELb0ElNS0_19identity_decomposerEEEEEvT0_T1_jPSH_T2_SH_
		.amdhsa_group_segment_fixed_size 0
		.amdhsa_private_segment_fixed_size 0
		.amdhsa_kernarg_size 32
		.amdhsa_user_sgpr_count 15
		.amdhsa_user_sgpr_dispatch_ptr 0
		.amdhsa_user_sgpr_queue_ptr 0
		.amdhsa_user_sgpr_kernarg_segment_ptr 1
		.amdhsa_user_sgpr_dispatch_id 0
		.amdhsa_user_sgpr_private_segment_size 0
		.amdhsa_wavefront_size32 1
		.amdhsa_uses_dynamic_stack 0
		.amdhsa_enable_private_segment 0
		.amdhsa_system_sgpr_workgroup_id_x 1
		.amdhsa_system_sgpr_workgroup_id_y 0
		.amdhsa_system_sgpr_workgroup_id_z 0
		.amdhsa_system_sgpr_workgroup_info 0
		.amdhsa_system_vgpr_workitem_id 0
		.amdhsa_next_free_vgpr 15
		.amdhsa_next_free_sgpr 16
		.amdhsa_reserve_vcc 1
		.amdhsa_float_round_mode_32 0
		.amdhsa_float_round_mode_16_64 0
		.amdhsa_float_denorm_mode_32 3
		.amdhsa_float_denorm_mode_16_64 3
		.amdhsa_dx10_clamp 1
		.amdhsa_ieee_mode 1
		.amdhsa_fp16_overflow 0
		.amdhsa_workgroup_processor_mode 1
		.amdhsa_memory_ordered 1
		.amdhsa_forward_progress 0
		.amdhsa_shared_vgpr_count 0
		.amdhsa_exception_fp_ieee_invalid_op 0
		.amdhsa_exception_fp_denorm_src 0
		.amdhsa_exception_fp_ieee_div_zero 0
		.amdhsa_exception_fp_ieee_overflow 0
		.amdhsa_exception_fp_ieee_underflow 0
		.amdhsa_exception_fp_ieee_inexact 0
		.amdhsa_exception_int_div_zero 0
	.end_amdhsa_kernel
	.section	.text._ZN7rocprim17ROCPRIM_304000_NS6detail45device_block_merge_mergepath_partition_kernelINS1_37wrapped_merge_sort_block_merge_configINS0_14default_configElN2at4cuda3cub6detail10OpaqueTypeILi8EEEEEPljNS1_19radix_merge_compareILb0ELb0ElNS0_19identity_decomposerEEEEEvT0_T1_jPSH_T2_SH_,"axG",@progbits,_ZN7rocprim17ROCPRIM_304000_NS6detail45device_block_merge_mergepath_partition_kernelINS1_37wrapped_merge_sort_block_merge_configINS0_14default_configElN2at4cuda3cub6detail10OpaqueTypeILi8EEEEEPljNS1_19radix_merge_compareILb0ELb0ElNS0_19identity_decomposerEEEEEvT0_T1_jPSH_T2_SH_,comdat
.Lfunc_end113:
	.size	_ZN7rocprim17ROCPRIM_304000_NS6detail45device_block_merge_mergepath_partition_kernelINS1_37wrapped_merge_sort_block_merge_configINS0_14default_configElN2at4cuda3cub6detail10OpaqueTypeILi8EEEEEPljNS1_19radix_merge_compareILb0ELb0ElNS0_19identity_decomposerEEEEEvT0_T1_jPSH_T2_SH_, .Lfunc_end113-_ZN7rocprim17ROCPRIM_304000_NS6detail45device_block_merge_mergepath_partition_kernelINS1_37wrapped_merge_sort_block_merge_configINS0_14default_configElN2at4cuda3cub6detail10OpaqueTypeILi8EEEEEPljNS1_19radix_merge_compareILb0ELb0ElNS0_19identity_decomposerEEEEEvT0_T1_jPSH_T2_SH_
                                        ; -- End function
	.section	.AMDGPU.csdata,"",@progbits
; Kernel info:
; codeLenInByte = 464
; NumSgprs: 18
; NumVgprs: 15
; ScratchSize: 0
; MemoryBound: 0
; FloatMode: 240
; IeeeMode: 1
; LDSByteSize: 0 bytes/workgroup (compile time only)
; SGPRBlocks: 2
; VGPRBlocks: 1
; NumSGPRsForWavesPerEU: 18
; NumVGPRsForWavesPerEU: 15
; Occupancy: 16
; WaveLimiterHint : 0
; COMPUTE_PGM_RSRC2:SCRATCH_EN: 0
; COMPUTE_PGM_RSRC2:USER_SGPR: 15
; COMPUTE_PGM_RSRC2:TRAP_HANDLER: 0
; COMPUTE_PGM_RSRC2:TGID_X_EN: 1
; COMPUTE_PGM_RSRC2:TGID_Y_EN: 0
; COMPUTE_PGM_RSRC2:TGID_Z_EN: 0
; COMPUTE_PGM_RSRC2:TIDIG_COMP_CNT: 0
	.section	.text._ZN7rocprim17ROCPRIM_304000_NS6detail35device_block_merge_mergepath_kernelINS1_37wrapped_merge_sort_block_merge_configINS0_14default_configElN2at4cuda3cub6detail10OpaqueTypeILi8EEEEEPlSC_PSA_SD_jNS1_19radix_merge_compareILb0ELb0ElNS0_19identity_decomposerEEEEEvT0_T1_T2_T3_T4_SL_jT5_PKSL_NS1_7vsmem_tE,"axG",@progbits,_ZN7rocprim17ROCPRIM_304000_NS6detail35device_block_merge_mergepath_kernelINS1_37wrapped_merge_sort_block_merge_configINS0_14default_configElN2at4cuda3cub6detail10OpaqueTypeILi8EEEEEPlSC_PSA_SD_jNS1_19radix_merge_compareILb0ELb0ElNS0_19identity_decomposerEEEEEvT0_T1_T2_T3_T4_SL_jT5_PKSL_NS1_7vsmem_tE,comdat
	.protected	_ZN7rocprim17ROCPRIM_304000_NS6detail35device_block_merge_mergepath_kernelINS1_37wrapped_merge_sort_block_merge_configINS0_14default_configElN2at4cuda3cub6detail10OpaqueTypeILi8EEEEEPlSC_PSA_SD_jNS1_19radix_merge_compareILb0ELb0ElNS0_19identity_decomposerEEEEEvT0_T1_T2_T3_T4_SL_jT5_PKSL_NS1_7vsmem_tE ; -- Begin function _ZN7rocprim17ROCPRIM_304000_NS6detail35device_block_merge_mergepath_kernelINS1_37wrapped_merge_sort_block_merge_configINS0_14default_configElN2at4cuda3cub6detail10OpaqueTypeILi8EEEEEPlSC_PSA_SD_jNS1_19radix_merge_compareILb0ELb0ElNS0_19identity_decomposerEEEEEvT0_T1_T2_T3_T4_SL_jT5_PKSL_NS1_7vsmem_tE
	.globl	_ZN7rocprim17ROCPRIM_304000_NS6detail35device_block_merge_mergepath_kernelINS1_37wrapped_merge_sort_block_merge_configINS0_14default_configElN2at4cuda3cub6detail10OpaqueTypeILi8EEEEEPlSC_PSA_SD_jNS1_19radix_merge_compareILb0ELb0ElNS0_19identity_decomposerEEEEEvT0_T1_T2_T3_T4_SL_jT5_PKSL_NS1_7vsmem_tE
	.p2align	8
	.type	_ZN7rocprim17ROCPRIM_304000_NS6detail35device_block_merge_mergepath_kernelINS1_37wrapped_merge_sort_block_merge_configINS0_14default_configElN2at4cuda3cub6detail10OpaqueTypeILi8EEEEEPlSC_PSA_SD_jNS1_19radix_merge_compareILb0ELb0ElNS0_19identity_decomposerEEEEEvT0_T1_T2_T3_T4_SL_jT5_PKSL_NS1_7vsmem_tE,@function
_ZN7rocprim17ROCPRIM_304000_NS6detail35device_block_merge_mergepath_kernelINS1_37wrapped_merge_sort_block_merge_configINS0_14default_configElN2at4cuda3cub6detail10OpaqueTypeILi8EEEEEPlSC_PSA_SD_jNS1_19radix_merge_compareILb0ELb0ElNS0_19identity_decomposerEEEEEvT0_T1_T2_T3_T4_SL_jT5_PKSL_NS1_7vsmem_tE: ; @_ZN7rocprim17ROCPRIM_304000_NS6detail35device_block_merge_mergepath_kernelINS1_37wrapped_merge_sort_block_merge_configINS0_14default_configElN2at4cuda3cub6detail10OpaqueTypeILi8EEEEEPlSC_PSA_SD_jNS1_19radix_merge_compareILb0ELb0ElNS0_19identity_decomposerEEEEEvT0_T1_T2_T3_T4_SL_jT5_PKSL_NS1_7vsmem_tE
; %bb.0:
	s_clause 0x1
	s_load_b64 s[2:3], s[0:1], 0x40
	s_load_b128 s[8:11], s[0:1], 0x20
	s_waitcnt lgkmcnt(0)
	s_mul_i32 s3, s3, s15
	s_delay_alu instid0(SALU_CYCLE_1) | instskip(NEXT) | instid1(SALU_CYCLE_1)
	s_add_i32 s3, s3, s14
	s_mul_i32 s2, s3, s2
	s_delay_alu instid0(SALU_CYCLE_1) | instskip(NEXT) | instid1(SALU_CYCLE_1)
	s_add_i32 s14, s2, s13
	s_cmp_ge_u32 s14, s10
	s_cbranch_scc1 .LBB114_38
; %bb.1:
	s_load_b64 s[2:3], s[0:1], 0x30
	s_lshr_b32 s4, s8, 10
	s_mov_b32 s15, 0
	s_cmp_lg_u32 s14, s4
                                        ; implicit-def: $vgpr2_vgpr3
	s_cselect_b32 s11, -1, 0
	s_lshl_b64 s[4:5], s[14:15], 2
	s_waitcnt lgkmcnt(0)
	s_add_u32 s2, s2, s4
	s_addc_u32 s3, s3, s5
	s_load_b64 s[12:13], s[2:3], 0x0
	s_lshr_b32 s2, s9, 9
	s_delay_alu instid0(SALU_CYCLE_1)
	s_and_b32 s10, s2, 0x7ffffe
	s_load_b256 s[0:7], s[0:1], 0x0
	s_sub_i32 s16, 0, s10
	s_lshl_b32 s10, s14, 10
	s_and_b32 s17, s14, s16
	s_or_b32 s16, s14, s16
	s_lshl_b32 s14, s17, 11
	s_lshl_b32 s17, s17, 10
	s_add_i32 s14, s14, s9
	s_sub_i32 s18, s10, s17
	s_sub_i32 s17, s14, s17
	s_add_i32 s14, s14, s18
	s_min_u32 s18, s8, s17
	s_add_i32 s17, s17, s9
	s_waitcnt lgkmcnt(0)
	s_sub_i32 s19, s14, s12
	s_sub_i32 s20, s14, s13
	s_min_u32 s14, s8, s19
	s_addk_i32 s20, 0x400
	s_cmp_eq_u32 s16, -1
	s_cselect_b32 s9, s17, s20
	s_cselect_b32 s13, s18, s13
	s_min_u32 s9, s9, s8
	s_sub_i32 s16, s13, s12
	s_sub_i32 s17, s9, s14
	s_mov_b32 s13, s15
	s_add_i32 s18, s17, s16
	s_delay_alu instid0(SALU_CYCLE_1) | instskip(SKIP_1) | instid1(SALU_CYCLE_1)
	v_cmp_gt_u32_e32 vcc_lo, s18, v0
	s_or_b32 s9, s11, vcc_lo
	s_and_saveexec_b32 s19, s9
	s_delay_alu instid0(SALU_CYCLE_1)
	s_xor_b32 s19, exec_lo, s19
	s_cbranch_execz .LBB114_3
; %bb.2:
	v_dual_mov_b32 v1, 0 :: v_dual_lshlrev_b32 v4, 3, v0
	s_lshl_b64 s[20:21], s[12:13], 3
	v_subrev_nc_u32_e32 v2, s16, v0
	s_add_u32 s22, s0, s20
	s_addc_u32 s23, s1, s21
	v_add_co_u32 v4, s22, s22, v4
	v_mov_b32_e32 v3, v1
	s_lshl_b64 s[20:21], s[14:15], 3
	v_add_co_ci_u32_e64 v5, null, s23, 0, s22
	s_add_u32 s0, s0, s20
	s_delay_alu instid0(VALU_DEP_2) | instskip(SKIP_1) | instid1(VALU_DEP_1)
	v_lshlrev_b64 v[2:3], 3, v[2:3]
	s_addc_u32 s1, s1, s21
	v_add_co_u32 v2, vcc_lo, s0, v2
	s_delay_alu instid0(VALU_DEP_2) | instskip(SKIP_1) | instid1(VALU_DEP_2)
	v_add_co_ci_u32_e32 v3, vcc_lo, s1, v3, vcc_lo
	v_cmp_gt_u32_e32 vcc_lo, s16, v0
	v_dual_cndmask_b32 v2, v2, v4 :: v_dual_cndmask_b32 v3, v3, v5
	global_load_b64 v[2:3], v[2:3], off
.LBB114_3:
	s_and_not1_saveexec_b32 s0, s19
; %bb.4:
	v_mov_b32_e32 v1, 0
                                        ; implicit-def: $vgpr2_vgpr3
; %bb.5:
	s_or_b32 exec_lo, exec_lo, s0
	v_min_u32_e32 v4, s18, v0
	v_lshlrev_b32_e32 v8, 3, v0
	s_mov_b32 s0, exec_lo
	s_delay_alu instid0(VALU_DEP_2)
	v_sub_nc_u32_e64 v6, v4, s17 clamp
	v_min_u32_e32 v5, s16, v4
	s_waitcnt vmcnt(0)
	ds_store_b64 v8, v[2:3]
	s_waitcnt lgkmcnt(0)
	s_barrier
	buffer_gl0_inv
	v_cmpx_lt_u32_e64 v6, v5
	s_cbranch_execz .LBB114_9
; %bb.6:
	v_lshlrev_b32_e32 v7, 3, v4
	s_mov_b32 s1, 0
	s_delay_alu instid0(VALU_DEP_1)
	v_lshl_add_u32 v7, s16, 3, v7
	.p2align	6
.LBB114_7:                              ; =>This Inner Loop Header: Depth=1
	v_add_nc_u32_e32 v9, v5, v6
	s_delay_alu instid0(VALU_DEP_1) | instskip(NEXT) | instid1(VALU_DEP_1)
	v_lshrrev_b32_e32 v13, 1, v9
	v_not_b32_e32 v9, v13
	v_lshlrev_b32_e32 v10, 3, v13
	s_delay_alu instid0(VALU_DEP_2)
	v_lshl_add_u32 v11, v9, 3, v7
	ds_load_b64 v[9:10], v10
	ds_load_b64 v[11:12], v11
	s_waitcnt lgkmcnt(0)
	v_cmp_gt_i64_e32 vcc_lo, v[9:10], v[11:12]
	v_add_nc_u32_e32 v9, 1, v13
	v_cndmask_b32_e32 v5, v5, v13, vcc_lo
	s_delay_alu instid0(VALU_DEP_2) | instskip(NEXT) | instid1(VALU_DEP_1)
	v_cndmask_b32_e32 v6, v9, v6, vcc_lo
	v_cmp_ge_u32_e32 vcc_lo, v6, v5
	s_or_b32 s1, vcc_lo, s1
	s_delay_alu instid0(SALU_CYCLE_1)
	s_and_not1_b32 exec_lo, exec_lo, s1
	s_cbranch_execnz .LBB114_7
; %bb.8:
	s_or_b32 exec_lo, exec_lo, s1
.LBB114_9:
	s_delay_alu instid0(SALU_CYCLE_1) | instskip(SKIP_3) | instid1(VALU_DEP_3)
	s_or_b32 exec_lo, exec_lo, s0
	v_sub_nc_u32_e32 v4, v4, v6
	v_cmp_ge_u32_e32 vcc_lo, s16, v6
	v_mov_b32_e32 v9, 0
	v_add_nc_u32_e32 v7, s16, v4
	s_delay_alu instid0(VALU_DEP_1) | instskip(NEXT) | instid1(VALU_DEP_1)
	v_cmp_ge_u32_e64 s0, s18, v7
	s_or_b32 s0, vcc_lo, s0
	s_delay_alu instid0(SALU_CYCLE_1)
	s_and_saveexec_b32 s19, s0
	s_cbranch_execz .LBB114_15
; %bb.10:
	v_cmp_gt_u32_e32 vcc_lo, s16, v6
                                        ; implicit-def: $vgpr2_vgpr3
	s_and_saveexec_b32 s0, vcc_lo
	s_cbranch_execz .LBB114_12
; %bb.11:
	v_lshlrev_b32_e32 v2, 3, v6
	ds_load_b64 v[2:3], v2
.LBB114_12:
	s_or_b32 exec_lo, exec_lo, s0
	v_cmp_le_u32_e64 s0, s18, v7
	v_cmp_gt_u32_e64 s1, s18, v7
                                        ; implicit-def: $vgpr4_vgpr5
	s_delay_alu instid0(VALU_DEP_1)
	s_and_saveexec_b32 s18, s1
	s_cbranch_execz .LBB114_14
; %bb.13:
	v_lshlrev_b32_e32 v4, 3, v7
	ds_load_b64 v[4:5], v4
.LBB114_14:
	s_or_b32 exec_lo, exec_lo, s18
	s_waitcnt lgkmcnt(0)
	v_cmp_le_i64_e64 s1, v[2:3], v[4:5]
	s_delay_alu instid0(VALU_DEP_1) | instskip(NEXT) | instid1(SALU_CYCLE_1)
	s_and_b32 s1, vcc_lo, s1
	s_or_b32 vcc_lo, s0, s1
	v_cndmask_b32_e32 v9, v7, v6, vcc_lo
	v_dual_cndmask_b32 v3, v5, v3 :: v_dual_cndmask_b32 v2, v4, v2
.LBB114_15:
	s_or_b32 exec_lo, exec_lo, s19
	s_lshl_b64 s[12:13], s[12:13], 3
	v_cmp_le_u32_e64 s0, s16, v0
	s_add_u32 s1, s4, s12
	s_addc_u32 s12, s5, s13
	s_lshl_b64 s[14:15], s[14:15], 3
	s_delay_alu instid0(SALU_CYCLE_1)
	s_add_u32 s13, s4, s14
	s_addc_u32 s5, s5, s15
	s_and_b32 vcc_lo, exec_lo, s11
	s_barrier
	buffer_gl0_inv
	s_cbranch_vccz .LBB114_21
; %bb.16:
                                        ; implicit-def: $vgpr4_vgpr5
	s_and_saveexec_b32 s4, s0
	s_delay_alu instid0(SALU_CYCLE_1)
	s_xor_b32 s4, exec_lo, s4
; %bb.17:
	v_subrev_nc_u32_e32 v4, s16, v0
	v_mov_b32_e32 v5, 0
	s_delay_alu instid0(VALU_DEP_1) | instskip(NEXT) | instid1(VALU_DEP_1)
	v_lshlrev_b64 v[4:5], 3, v[4:5]
	v_add_co_u32 v4, vcc_lo, s13, v4
	s_delay_alu instid0(VALU_DEP_2)
	v_add_co_ci_u32_e32 v5, vcc_lo, s5, v5, vcc_lo
; %bb.18:
	s_and_not1_saveexec_b32 s4, s4
; %bb.19:
	v_lshlrev_b64 v[4:5], 3, v[0:1]
	s_delay_alu instid0(VALU_DEP_1) | instskip(NEXT) | instid1(VALU_DEP_2)
	v_add_co_u32 v4, vcc_lo, s1, v4
	v_add_co_ci_u32_e32 v5, vcc_lo, s12, v5, vcc_lo
; %bb.20:
	s_or_b32 exec_lo, exec_lo, s4
	s_mov_b32 s4, -1
	s_cbranch_execz .LBB114_22
	s_branch .LBB114_29
.LBB114_21:
	s_mov_b32 s4, 0
                                        ; implicit-def: $vgpr4_vgpr5
.LBB114_22:
                                        ; implicit-def: $vgpr4_vgpr5
	s_and_saveexec_b32 s14, s0
	s_delay_alu instid0(SALU_CYCLE_1)
	s_xor_b32 s0, exec_lo, s14
	s_cbranch_execz .LBB114_26
; %bb.23:
	v_subrev_nc_u32_e32 v6, s16, v0
	s_mov_b32 s15, s4
	s_mov_b32 s14, exec_lo
                                        ; implicit-def: $vgpr4_vgpr5
	s_delay_alu instid0(VALU_DEP_1)
	v_cmpx_gt_u32_e64 s17, v6
	s_xor_b32 s14, exec_lo, s14
; %bb.24:
	v_mov_b32_e32 v7, 0
	s_or_b32 s15, s4, exec_lo
	s_delay_alu instid0(VALU_DEP_1) | instskip(NEXT) | instid1(VALU_DEP_1)
	v_lshlrev_b64 v[4:5], 3, v[6:7]
	v_add_co_u32 v4, vcc_lo, s13, v4
	s_delay_alu instid0(VALU_DEP_2)
	v_add_co_ci_u32_e32 v5, vcc_lo, s5, v5, vcc_lo
; %bb.25:
	s_or_b32 exec_lo, exec_lo, s14
	s_delay_alu instid0(SALU_CYCLE_1) | instskip(SKIP_1) | instid1(SALU_CYCLE_1)
	s_and_not1_b32 s4, s4, exec_lo
	s_and_b32 s5, s15, exec_lo
	s_or_b32 s4, s4, s5
.LBB114_26:
	s_and_not1_saveexec_b32 s0, s0
; %bb.27:
	v_lshlrev_b64 v[4:5], 3, v[0:1]
	s_or_b32 s4, s4, exec_lo
	s_delay_alu instid0(VALU_DEP_1) | instskip(NEXT) | instid1(VALU_DEP_2)
	v_add_co_u32 v4, vcc_lo, s1, v4
	v_add_co_ci_u32_e32 v5, vcc_lo, s12, v5, vcc_lo
; %bb.28:
	s_or_b32 exec_lo, exec_lo, s0
.LBB114_29:
	s_and_saveexec_b32 s0, s4
	s_cbranch_execz .LBB114_31
; %bb.30:
	global_load_b64 v[4:5], v[4:5], off
	s_waitcnt vmcnt(0)
	ds_store_b64 v8, v[4:5]
.LBB114_31:
	s_or_b32 exec_lo, exec_lo, s0
	s_waitcnt lgkmcnt(0)
	s_barrier
	buffer_gl0_inv
	s_and_saveexec_b32 s0, s9
	s_cbranch_execz .LBB114_33
; %bb.32:
	v_dual_mov_b32 v7, 0 :: v_dual_lshlrev_b32 v4, 3, v9
	v_or_b32_e32 v6, s10, v0
	ds_load_b64 v[4:5], v4
	v_lshlrev_b64 v[6:7], 3, v[6:7]
	s_delay_alu instid0(VALU_DEP_1) | instskip(NEXT) | instid1(VALU_DEP_2)
	v_add_co_u32 v6, vcc_lo, s6, v6
	v_add_co_ci_u32_e32 v7, vcc_lo, s7, v7, vcc_lo
	s_waitcnt lgkmcnt(0)
	global_store_b64 v[6:7], v[4:5], off
.LBB114_33:
	s_or_b32 exec_lo, exec_lo, s0
	s_delay_alu instid0(SALU_CYCLE_1)
	s_and_b32 vcc_lo, exec_lo, s11
	s_mov_b32 s11, -1
	s_waitcnt_vscnt null, 0x0
	s_barrier
	buffer_gl0_inv
	s_barrier
	buffer_gl0_inv
	s_cbranch_vccz .LBB114_35
; %bb.34:
	ds_store_b64 v8, v[2:3]
	s_waitcnt lgkmcnt(0)
	s_barrier
	buffer_gl0_inv
	ds_load_b64 v[4:5], v8
	s_mov_b32 s11, 0
	v_lshlrev_b64 v[6:7], 3, v[0:1]
	s_lshl_b64 s[0:1], s[10:11], 3
	s_delay_alu instid0(SALU_CYCLE_1) | instskip(SKIP_1) | instid1(VALU_DEP_1)
	s_add_u32 s0, s2, s0
	s_addc_u32 s1, s3, s1
	v_add_co_u32 v6, vcc_lo, s0, v6
	s_delay_alu instid0(VALU_DEP_2)
	v_add_co_ci_u32_e32 v7, vcc_lo, s1, v7, vcc_lo
	s_waitcnt lgkmcnt(0)
	global_store_b64 v[6:7], v[4:5], off
.LBB114_35:
	s_and_not1_b32 vcc_lo, exec_lo, s11
	s_cbranch_vccnz .LBB114_38
; %bb.36:
	s_sub_i32 s0, s8, s10
	ds_store_b64 v8, v[2:3]
	v_cmp_gt_u32_e32 vcc_lo, s0, v0
	s_waitcnt lgkmcnt(0)
	s_waitcnt_vscnt null, 0x0
	s_barrier
	buffer_gl0_inv
	s_and_saveexec_b32 s0, vcc_lo
	s_cbranch_execz .LBB114_38
; %bb.37:
	ds_load_b64 v[2:3], v8
	s_mov_b32 s11, 0
	v_lshlrev_b64 v[0:1], 3, v[0:1]
	s_lshl_b64 s[0:1], s[10:11], 3
	s_delay_alu instid0(SALU_CYCLE_1) | instskip(SKIP_1) | instid1(VALU_DEP_1)
	s_add_u32 s0, s2, s0
	s_addc_u32 s1, s3, s1
	v_add_co_u32 v0, vcc_lo, s0, v0
	s_delay_alu instid0(VALU_DEP_2)
	v_add_co_ci_u32_e32 v1, vcc_lo, s1, v1, vcc_lo
	s_waitcnt lgkmcnt(0)
	global_store_b64 v[0:1], v[2:3], off
.LBB114_38:
	s_nop 0
	s_sendmsg sendmsg(MSG_DEALLOC_VGPRS)
	s_endpgm
	.section	.rodata,"a",@progbits
	.p2align	6, 0x0
	.amdhsa_kernel _ZN7rocprim17ROCPRIM_304000_NS6detail35device_block_merge_mergepath_kernelINS1_37wrapped_merge_sort_block_merge_configINS0_14default_configElN2at4cuda3cub6detail10OpaqueTypeILi8EEEEEPlSC_PSA_SD_jNS1_19radix_merge_compareILb0ELb0ElNS0_19identity_decomposerEEEEEvT0_T1_T2_T3_T4_SL_jT5_PKSL_NS1_7vsmem_tE
		.amdhsa_group_segment_fixed_size 8208
		.amdhsa_private_segment_fixed_size 0
		.amdhsa_kernarg_size 320
		.amdhsa_user_sgpr_count 13
		.amdhsa_user_sgpr_dispatch_ptr 0
		.amdhsa_user_sgpr_queue_ptr 0
		.amdhsa_user_sgpr_kernarg_segment_ptr 1
		.amdhsa_user_sgpr_dispatch_id 0
		.amdhsa_user_sgpr_private_segment_size 0
		.amdhsa_wavefront_size32 1
		.amdhsa_uses_dynamic_stack 0
		.amdhsa_enable_private_segment 0
		.amdhsa_system_sgpr_workgroup_id_x 1
		.amdhsa_system_sgpr_workgroup_id_y 1
		.amdhsa_system_sgpr_workgroup_id_z 1
		.amdhsa_system_sgpr_workgroup_info 0
		.amdhsa_system_vgpr_workitem_id 0
		.amdhsa_next_free_vgpr 14
		.amdhsa_next_free_sgpr 24
		.amdhsa_reserve_vcc 1
		.amdhsa_float_round_mode_32 0
		.amdhsa_float_round_mode_16_64 0
		.amdhsa_float_denorm_mode_32 3
		.amdhsa_float_denorm_mode_16_64 3
		.amdhsa_dx10_clamp 1
		.amdhsa_ieee_mode 1
		.amdhsa_fp16_overflow 0
		.amdhsa_workgroup_processor_mode 1
		.amdhsa_memory_ordered 1
		.amdhsa_forward_progress 0
		.amdhsa_shared_vgpr_count 0
		.amdhsa_exception_fp_ieee_invalid_op 0
		.amdhsa_exception_fp_denorm_src 0
		.amdhsa_exception_fp_ieee_div_zero 0
		.amdhsa_exception_fp_ieee_overflow 0
		.amdhsa_exception_fp_ieee_underflow 0
		.amdhsa_exception_fp_ieee_inexact 0
		.amdhsa_exception_int_div_zero 0
	.end_amdhsa_kernel
	.section	.text._ZN7rocprim17ROCPRIM_304000_NS6detail35device_block_merge_mergepath_kernelINS1_37wrapped_merge_sort_block_merge_configINS0_14default_configElN2at4cuda3cub6detail10OpaqueTypeILi8EEEEEPlSC_PSA_SD_jNS1_19radix_merge_compareILb0ELb0ElNS0_19identity_decomposerEEEEEvT0_T1_T2_T3_T4_SL_jT5_PKSL_NS1_7vsmem_tE,"axG",@progbits,_ZN7rocprim17ROCPRIM_304000_NS6detail35device_block_merge_mergepath_kernelINS1_37wrapped_merge_sort_block_merge_configINS0_14default_configElN2at4cuda3cub6detail10OpaqueTypeILi8EEEEEPlSC_PSA_SD_jNS1_19radix_merge_compareILb0ELb0ElNS0_19identity_decomposerEEEEEvT0_T1_T2_T3_T4_SL_jT5_PKSL_NS1_7vsmem_tE,comdat
.Lfunc_end114:
	.size	_ZN7rocprim17ROCPRIM_304000_NS6detail35device_block_merge_mergepath_kernelINS1_37wrapped_merge_sort_block_merge_configINS0_14default_configElN2at4cuda3cub6detail10OpaqueTypeILi8EEEEEPlSC_PSA_SD_jNS1_19radix_merge_compareILb0ELb0ElNS0_19identity_decomposerEEEEEvT0_T1_T2_T3_T4_SL_jT5_PKSL_NS1_7vsmem_tE, .Lfunc_end114-_ZN7rocprim17ROCPRIM_304000_NS6detail35device_block_merge_mergepath_kernelINS1_37wrapped_merge_sort_block_merge_configINS0_14default_configElN2at4cuda3cub6detail10OpaqueTypeILi8EEEEEPlSC_PSA_SD_jNS1_19radix_merge_compareILb0ELb0ElNS0_19identity_decomposerEEEEEvT0_T1_T2_T3_T4_SL_jT5_PKSL_NS1_7vsmem_tE
                                        ; -- End function
	.section	.AMDGPU.csdata,"",@progbits
; Kernel info:
; codeLenInByte = 1384
; NumSgprs: 26
; NumVgprs: 14
; ScratchSize: 0
; MemoryBound: 1
; FloatMode: 240
; IeeeMode: 1
; LDSByteSize: 8208 bytes/workgroup (compile time only)
; SGPRBlocks: 3
; VGPRBlocks: 1
; NumSGPRsForWavesPerEU: 26
; NumVGPRsForWavesPerEU: 14
; Occupancy: 16
; WaveLimiterHint : 1
; COMPUTE_PGM_RSRC2:SCRATCH_EN: 0
; COMPUTE_PGM_RSRC2:USER_SGPR: 13
; COMPUTE_PGM_RSRC2:TRAP_HANDLER: 0
; COMPUTE_PGM_RSRC2:TGID_X_EN: 1
; COMPUTE_PGM_RSRC2:TGID_Y_EN: 1
; COMPUTE_PGM_RSRC2:TGID_Z_EN: 1
; COMPUTE_PGM_RSRC2:TIDIG_COMP_CNT: 0
	.section	.text._ZN7rocprim17ROCPRIM_304000_NS6detail33device_block_merge_oddeven_kernelINS1_37wrapped_merge_sort_block_merge_configINS0_14default_configElN2at4cuda3cub6detail10OpaqueTypeILi8EEEEEPlSC_PSA_SD_jNS1_19radix_merge_compareILb0ELb0ElNS0_19identity_decomposerEEEEEvT0_T1_T2_T3_T4_SL_T5_,"axG",@progbits,_ZN7rocprim17ROCPRIM_304000_NS6detail33device_block_merge_oddeven_kernelINS1_37wrapped_merge_sort_block_merge_configINS0_14default_configElN2at4cuda3cub6detail10OpaqueTypeILi8EEEEEPlSC_PSA_SD_jNS1_19radix_merge_compareILb0ELb0ElNS0_19identity_decomposerEEEEEvT0_T1_T2_T3_T4_SL_T5_,comdat
	.protected	_ZN7rocprim17ROCPRIM_304000_NS6detail33device_block_merge_oddeven_kernelINS1_37wrapped_merge_sort_block_merge_configINS0_14default_configElN2at4cuda3cub6detail10OpaqueTypeILi8EEEEEPlSC_PSA_SD_jNS1_19radix_merge_compareILb0ELb0ElNS0_19identity_decomposerEEEEEvT0_T1_T2_T3_T4_SL_T5_ ; -- Begin function _ZN7rocprim17ROCPRIM_304000_NS6detail33device_block_merge_oddeven_kernelINS1_37wrapped_merge_sort_block_merge_configINS0_14default_configElN2at4cuda3cub6detail10OpaqueTypeILi8EEEEEPlSC_PSA_SD_jNS1_19radix_merge_compareILb0ELb0ElNS0_19identity_decomposerEEEEEvT0_T1_T2_T3_T4_SL_T5_
	.globl	_ZN7rocprim17ROCPRIM_304000_NS6detail33device_block_merge_oddeven_kernelINS1_37wrapped_merge_sort_block_merge_configINS0_14default_configElN2at4cuda3cub6detail10OpaqueTypeILi8EEEEEPlSC_PSA_SD_jNS1_19radix_merge_compareILb0ELb0ElNS0_19identity_decomposerEEEEEvT0_T1_T2_T3_T4_SL_T5_
	.p2align	8
	.type	_ZN7rocprim17ROCPRIM_304000_NS6detail33device_block_merge_oddeven_kernelINS1_37wrapped_merge_sort_block_merge_configINS0_14default_configElN2at4cuda3cub6detail10OpaqueTypeILi8EEEEEPlSC_PSA_SD_jNS1_19radix_merge_compareILb0ELb0ElNS0_19identity_decomposerEEEEEvT0_T1_T2_T3_T4_SL_T5_,@function
_ZN7rocprim17ROCPRIM_304000_NS6detail33device_block_merge_oddeven_kernelINS1_37wrapped_merge_sort_block_merge_configINS0_14default_configElN2at4cuda3cub6detail10OpaqueTypeILi8EEEEEPlSC_PSA_SD_jNS1_19radix_merge_compareILb0ELb0ElNS0_19identity_decomposerEEEEEvT0_T1_T2_T3_T4_SL_T5_: ; @_ZN7rocprim17ROCPRIM_304000_NS6detail33device_block_merge_oddeven_kernelINS1_37wrapped_merge_sort_block_merge_configINS0_14default_configElN2at4cuda3cub6detail10OpaqueTypeILi8EEEEEPlSC_PSA_SD_jNS1_19radix_merge_compareILb0ELb0ElNS0_19identity_decomposerEEEEEvT0_T1_T2_T3_T4_SL_T5_
; %bb.0:
	s_load_b64 s[16:17], s[0:1], 0x20
	s_waitcnt lgkmcnt(0)
	s_lshr_b32 s2, s16, 8
	s_delay_alu instid0(SALU_CYCLE_1) | instskip(SKIP_4) | instid1(SALU_CYCLE_1)
	s_cmp_lg_u32 s15, s2
	s_cselect_b32 s4, -1, 0
	s_cmp_eq_u32 s15, s2
	s_cselect_b32 s3, -1, 0
	s_lshl_b32 s12, s15, 8
	s_sub_i32 s2, s16, s12
	s_delay_alu instid0(SALU_CYCLE_1) | instskip(NEXT) | instid1(VALU_DEP_1)
	v_cmp_gt_u32_e64 s2, s2, v0
	s_or_b32 s4, s4, s2
	s_delay_alu instid0(SALU_CYCLE_1)
	s_and_saveexec_b32 s5, s4
	s_cbranch_execz .LBB115_26
; %bb.1:
	s_load_b256 s[4:11], s[0:1], 0x0
	s_mov_b32 s13, 0
	v_lshlrev_b32_e32 v3, 3, v0
	s_lshl_b64 s[0:1], s[12:13], 3
	v_add_nc_u32_e32 v7, s12, v0
	s_waitcnt lgkmcnt(0)
	s_add_u32 s18, s4, s0
	s_addc_u32 s19, s5, s1
	s_add_u32 s0, s8, s0
	s_addc_u32 s1, s9, s1
	s_clause 0x1
	global_load_b64 v[1:2], v3, s[0:1]
	global_load_b64 v[3:4], v3, s[18:19]
	s_lshr_b32 s0, s17, 8
	s_delay_alu instid0(SALU_CYCLE_1) | instskip(NEXT) | instid1(SALU_CYCLE_1)
	s_sub_i32 s1, 0, s0
	s_and_b32 s1, s15, s1
	s_delay_alu instid0(SALU_CYCLE_1) | instskip(SKIP_4) | instid1(SALU_CYCLE_1)
	s_and_b32 s0, s1, s0
	s_lshl_b32 s9, s1, 8
	s_sub_i32 s1, 0, s17
	s_cmp_eq_u32 s0, 0
	s_cselect_b32 s0, -1, 0
	s_and_b32 s8, s0, exec_lo
	s_cselect_b32 s1, s17, s1
	s_delay_alu instid0(SALU_CYCLE_1) | instskip(NEXT) | instid1(SALU_CYCLE_1)
	s_add_i32 s1, s1, s9
	s_cmp_lt_u32 s1, s16
	s_cbranch_scc1 .LBB115_6
; %bb.2:
	s_and_b32 vcc_lo, exec_lo, s3
	s_cbranch_vccz .LBB115_7
; %bb.3:
	s_mov_b32 s8, 0
	s_mov_b32 s12, exec_lo
                                        ; implicit-def: $vgpr5_vgpr6
	v_cmpx_gt_u32_e64 s16, v7
	s_cbranch_execz .LBB115_5
; %bb.4:
	v_mov_b32_e32 v8, 0
	s_mov_b32 s13, exec_lo
	s_delay_alu instid0(VALU_DEP_1) | instskip(NEXT) | instid1(VALU_DEP_1)
	v_lshlrev_b64 v[5:6], 3, v[7:8]
	v_add_co_u32 v8, vcc_lo, s6, v5
	s_delay_alu instid0(VALU_DEP_2)
	v_add_co_ci_u32_e32 v9, vcc_lo, s7, v6, vcc_lo
	v_add_co_u32 v5, vcc_lo, s10, v5
	v_add_co_ci_u32_e32 v6, vcc_lo, s11, v6, vcc_lo
	s_waitcnt vmcnt(0)
	global_store_b64 v[8:9], v[3:4], off
.LBB115_5:
	s_or_b32 exec_lo, exec_lo, s12
	s_delay_alu instid0(SALU_CYCLE_1)
	s_and_b32 vcc_lo, exec_lo, s8
	s_cbranch_vccnz .LBB115_8
	s_branch .LBB115_9
.LBB115_6:
                                        ; implicit-def: $vgpr5_vgpr6
	s_cbranch_execnz .LBB115_10
	s_branch .LBB115_24
.LBB115_7:
                                        ; implicit-def: $vgpr5_vgpr6
	s_cbranch_execz .LBB115_9
.LBB115_8:
	v_mov_b32_e32 v8, 0
	s_or_b32 s13, s13, exec_lo
	s_delay_alu instid0(VALU_DEP_1) | instskip(NEXT) | instid1(VALU_DEP_1)
	v_lshlrev_b64 v[5:6], 3, v[7:8]
	v_add_co_u32 v8, vcc_lo, s6, v5
	s_delay_alu instid0(VALU_DEP_2)
	v_add_co_ci_u32_e32 v9, vcc_lo, s7, v6, vcc_lo
	v_add_co_u32 v5, vcc_lo, s10, v5
	v_add_co_ci_u32_e32 v6, vcc_lo, s11, v6, vcc_lo
	s_waitcnt vmcnt(0)
	global_store_b64 v[8:9], v[3:4], off
.LBB115_9:
	s_branch .LBB115_24
.LBB115_10:
	s_min_u32 s8, s1, s16
	s_and_b32 vcc_lo, exec_lo, s3
	s_add_i32 s12, s9, s8
	s_min_u32 s9, s9, s8
	v_subrev_nc_u32_e32 v0, s12, v7
	s_add_i32 s12, s8, s17
	s_delay_alu instid0(SALU_CYCLE_1) | instskip(NEXT) | instid1(VALU_DEP_1)
	s_min_u32 s3, s12, s16
	v_add_nc_u32_e32 v0, s9, v0
	s_cbranch_vccz .LBB115_18
; %bb.11:
                                        ; implicit-def: $vgpr5_vgpr6
	s_and_saveexec_b32 s9, s2
	s_cbranch_execz .LBB115_17
; %bb.12:
	v_mov_b32_e32 v7, s8
	s_cmp_ge_u32 s1, s3
	s_cbranch_scc1 .LBB115_16
; %bb.13:
	v_dual_mov_b32 v8, s3 :: v_dual_mov_b32 v7, s8
	v_mov_b32_e32 v6, 0
	s_mov_b32 s2, 0
	.p2align	6
.LBB115_14:                             ; =>This Inner Loop Header: Depth=1
	s_delay_alu instid0(VALU_DEP_2) | instskip(NEXT) | instid1(VALU_DEP_1)
	v_add_nc_u32_e32 v5, v7, v8
	v_lshrrev_b32_e32 v5, 1, v5
	s_delay_alu instid0(VALU_DEP_1) | instskip(NEXT) | instid1(VALU_DEP_1)
	v_lshlrev_b64 v[9:10], 3, v[5:6]
	v_add_co_u32 v9, vcc_lo, s4, v9
	s_delay_alu instid0(VALU_DEP_2)
	v_add_co_ci_u32_e32 v10, vcc_lo, s5, v10, vcc_lo
	global_load_b64 v[9:10], v[9:10], off
	s_waitcnt vmcnt(0)
	v_cmp_gt_i64_e32 vcc_lo, v[3:4], v[9:10]
	v_cndmask_b32_e64 v11, 0, 1, vcc_lo
	v_cmp_le_i64_e32 vcc_lo, v[9:10], v[3:4]
	v_add_nc_u32_e32 v10, 1, v5
	v_cndmask_b32_e64 v9, 0, 1, vcc_lo
	s_delay_alu instid0(VALU_DEP_1) | instskip(NEXT) | instid1(VALU_DEP_1)
	v_cndmask_b32_e64 v9, v9, v11, s0
	v_and_b32_e32 v9, 1, v9
	s_delay_alu instid0(VALU_DEP_1) | instskip(SKIP_1) | instid1(VALU_DEP_1)
	v_cmp_eq_u32_e32 vcc_lo, 1, v9
	v_dual_cndmask_b32 v8, v5, v8 :: v_dual_cndmask_b32 v7, v7, v10
	v_cmp_ge_u32_e32 vcc_lo, v7, v8
	s_or_b32 s2, vcc_lo, s2
	s_delay_alu instid0(SALU_CYCLE_1)
	s_and_not1_b32 exec_lo, exec_lo, s2
	s_cbranch_execnz .LBB115_14
; %bb.15:
	s_or_b32 exec_lo, exec_lo, s2
.LBB115_16:
	s_delay_alu instid0(VALU_DEP_1) | instskip(SKIP_1) | instid1(VALU_DEP_1)
	v_dual_mov_b32 v6, 0 :: v_dual_add_nc_u32 v5, v7, v0
	s_or_b32 s13, s13, exec_lo
	v_lshlrev_b64 v[5:6], 3, v[5:6]
	s_delay_alu instid0(VALU_DEP_1) | instskip(NEXT) | instid1(VALU_DEP_2)
	v_add_co_u32 v7, vcc_lo, s6, v5
	v_add_co_ci_u32_e32 v8, vcc_lo, s7, v6, vcc_lo
	v_add_co_u32 v5, vcc_lo, s10, v5
	v_add_co_ci_u32_e32 v6, vcc_lo, s11, v6, vcc_lo
	s_waitcnt vmcnt(0)
	global_store_b64 v[7:8], v[3:4], off
.LBB115_17:
	s_or_b32 exec_lo, exec_lo, s9
	s_branch .LBB115_24
.LBB115_18:
                                        ; implicit-def: $vgpr5_vgpr6
	s_cbranch_execz .LBB115_24
; %bb.19:
	v_mov_b32_e32 v7, s8
	s_cmp_ge_u32 s1, s3
	s_cbranch_scc1 .LBB115_23
; %bb.20:
	v_dual_mov_b32 v8, s3 :: v_dual_mov_b32 v7, s8
	v_mov_b32_e32 v6, 0
	s_mov_b32 s1, 0
	.p2align	6
.LBB115_21:                             ; =>This Inner Loop Header: Depth=1
	s_delay_alu instid0(VALU_DEP_2) | instskip(NEXT) | instid1(VALU_DEP_1)
	v_add_nc_u32_e32 v5, v7, v8
	v_lshrrev_b32_e32 v5, 1, v5
	s_delay_alu instid0(VALU_DEP_1) | instskip(NEXT) | instid1(VALU_DEP_1)
	v_lshlrev_b64 v[9:10], 3, v[5:6]
	v_add_co_u32 v9, vcc_lo, s4, v9
	s_delay_alu instid0(VALU_DEP_2)
	v_add_co_ci_u32_e32 v10, vcc_lo, s5, v10, vcc_lo
	global_load_b64 v[9:10], v[9:10], off
	s_waitcnt vmcnt(0)
	v_cmp_gt_i64_e32 vcc_lo, v[3:4], v[9:10]
	v_cndmask_b32_e64 v11, 0, 1, vcc_lo
	v_cmp_le_i64_e32 vcc_lo, v[9:10], v[3:4]
	v_add_nc_u32_e32 v10, 1, v5
	v_cndmask_b32_e64 v9, 0, 1, vcc_lo
	s_delay_alu instid0(VALU_DEP_1) | instskip(NEXT) | instid1(VALU_DEP_1)
	v_cndmask_b32_e64 v9, v9, v11, s0
	v_and_b32_e32 v9, 1, v9
	s_delay_alu instid0(VALU_DEP_1) | instskip(SKIP_1) | instid1(VALU_DEP_1)
	v_cmp_eq_u32_e32 vcc_lo, 1, v9
	v_dual_cndmask_b32 v8, v5, v8 :: v_dual_cndmask_b32 v7, v7, v10
	v_cmp_ge_u32_e32 vcc_lo, v7, v8
	s_or_b32 s1, vcc_lo, s1
	s_delay_alu instid0(SALU_CYCLE_1)
	s_and_not1_b32 exec_lo, exec_lo, s1
	s_cbranch_execnz .LBB115_21
; %bb.22:
	s_or_b32 exec_lo, exec_lo, s1
.LBB115_23:
	s_delay_alu instid0(VALU_DEP_1) | instskip(SKIP_1) | instid1(VALU_DEP_1)
	v_dual_mov_b32 v6, 0 :: v_dual_add_nc_u32 v5, v7, v0
	s_mov_b32 s13, -1
	v_lshlrev_b64 v[5:6], 3, v[5:6]
	s_delay_alu instid0(VALU_DEP_1) | instskip(NEXT) | instid1(VALU_DEP_2)
	v_add_co_u32 v7, vcc_lo, s6, v5
	v_add_co_ci_u32_e32 v8, vcc_lo, s7, v6, vcc_lo
	v_add_co_u32 v5, vcc_lo, s10, v5
	v_add_co_ci_u32_e32 v6, vcc_lo, s11, v6, vcc_lo
	s_waitcnt vmcnt(0)
	global_store_b64 v[7:8], v[3:4], off
.LBB115_24:
	s_and_b32 exec_lo, exec_lo, s13
	s_cbranch_execz .LBB115_26
; %bb.25:
	s_waitcnt vmcnt(1)
	global_store_b64 v[5:6], v[1:2], off
.LBB115_26:
	s_nop 0
	s_sendmsg sendmsg(MSG_DEALLOC_VGPRS)
	s_endpgm
	.section	.rodata,"a",@progbits
	.p2align	6, 0x0
	.amdhsa_kernel _ZN7rocprim17ROCPRIM_304000_NS6detail33device_block_merge_oddeven_kernelINS1_37wrapped_merge_sort_block_merge_configINS0_14default_configElN2at4cuda3cub6detail10OpaqueTypeILi8EEEEEPlSC_PSA_SD_jNS1_19radix_merge_compareILb0ELb0ElNS0_19identity_decomposerEEEEEvT0_T1_T2_T3_T4_SL_T5_
		.amdhsa_group_segment_fixed_size 0
		.amdhsa_private_segment_fixed_size 0
		.amdhsa_kernarg_size 44
		.amdhsa_user_sgpr_count 15
		.amdhsa_user_sgpr_dispatch_ptr 0
		.amdhsa_user_sgpr_queue_ptr 0
		.amdhsa_user_sgpr_kernarg_segment_ptr 1
		.amdhsa_user_sgpr_dispatch_id 0
		.amdhsa_user_sgpr_private_segment_size 0
		.amdhsa_wavefront_size32 1
		.amdhsa_uses_dynamic_stack 0
		.amdhsa_enable_private_segment 0
		.amdhsa_system_sgpr_workgroup_id_x 1
		.amdhsa_system_sgpr_workgroup_id_y 0
		.amdhsa_system_sgpr_workgroup_id_z 0
		.amdhsa_system_sgpr_workgroup_info 0
		.amdhsa_system_vgpr_workitem_id 0
		.amdhsa_next_free_vgpr 12
		.amdhsa_next_free_sgpr 20
		.amdhsa_reserve_vcc 1
		.amdhsa_float_round_mode_32 0
		.amdhsa_float_round_mode_16_64 0
		.amdhsa_float_denorm_mode_32 3
		.amdhsa_float_denorm_mode_16_64 3
		.amdhsa_dx10_clamp 1
		.amdhsa_ieee_mode 1
		.amdhsa_fp16_overflow 0
		.amdhsa_workgroup_processor_mode 1
		.amdhsa_memory_ordered 1
		.amdhsa_forward_progress 0
		.amdhsa_shared_vgpr_count 0
		.amdhsa_exception_fp_ieee_invalid_op 0
		.amdhsa_exception_fp_denorm_src 0
		.amdhsa_exception_fp_ieee_div_zero 0
		.amdhsa_exception_fp_ieee_overflow 0
		.amdhsa_exception_fp_ieee_underflow 0
		.amdhsa_exception_fp_ieee_inexact 0
		.amdhsa_exception_int_div_zero 0
	.end_amdhsa_kernel
	.section	.text._ZN7rocprim17ROCPRIM_304000_NS6detail33device_block_merge_oddeven_kernelINS1_37wrapped_merge_sort_block_merge_configINS0_14default_configElN2at4cuda3cub6detail10OpaqueTypeILi8EEEEEPlSC_PSA_SD_jNS1_19radix_merge_compareILb0ELb0ElNS0_19identity_decomposerEEEEEvT0_T1_T2_T3_T4_SL_T5_,"axG",@progbits,_ZN7rocprim17ROCPRIM_304000_NS6detail33device_block_merge_oddeven_kernelINS1_37wrapped_merge_sort_block_merge_configINS0_14default_configElN2at4cuda3cub6detail10OpaqueTypeILi8EEEEEPlSC_PSA_SD_jNS1_19radix_merge_compareILb0ELb0ElNS0_19identity_decomposerEEEEEvT0_T1_T2_T3_T4_SL_T5_,comdat
.Lfunc_end115:
	.size	_ZN7rocprim17ROCPRIM_304000_NS6detail33device_block_merge_oddeven_kernelINS1_37wrapped_merge_sort_block_merge_configINS0_14default_configElN2at4cuda3cub6detail10OpaqueTypeILi8EEEEEPlSC_PSA_SD_jNS1_19radix_merge_compareILb0ELb0ElNS0_19identity_decomposerEEEEEvT0_T1_T2_T3_T4_SL_T5_, .Lfunc_end115-_ZN7rocprim17ROCPRIM_304000_NS6detail33device_block_merge_oddeven_kernelINS1_37wrapped_merge_sort_block_merge_configINS0_14default_configElN2at4cuda3cub6detail10OpaqueTypeILi8EEEEEPlSC_PSA_SD_jNS1_19radix_merge_compareILb0ELb0ElNS0_19identity_decomposerEEEEEvT0_T1_T2_T3_T4_SL_T5_
                                        ; -- End function
	.section	.AMDGPU.csdata,"",@progbits
; Kernel info:
; codeLenInByte = 932
; NumSgprs: 22
; NumVgprs: 12
; ScratchSize: 0
; MemoryBound: 0
; FloatMode: 240
; IeeeMode: 1
; LDSByteSize: 0 bytes/workgroup (compile time only)
; SGPRBlocks: 2
; VGPRBlocks: 1
; NumSGPRsForWavesPerEU: 22
; NumVGPRsForWavesPerEU: 12
; Occupancy: 16
; WaveLimiterHint : 0
; COMPUTE_PGM_RSRC2:SCRATCH_EN: 0
; COMPUTE_PGM_RSRC2:USER_SGPR: 15
; COMPUTE_PGM_RSRC2:TRAP_HANDLER: 0
; COMPUTE_PGM_RSRC2:TGID_X_EN: 1
; COMPUTE_PGM_RSRC2:TGID_Y_EN: 0
; COMPUTE_PGM_RSRC2:TGID_Z_EN: 0
; COMPUTE_PGM_RSRC2:TIDIG_COMP_CNT: 0
	.section	.text._ZN7rocprim17ROCPRIM_304000_NS6detail45device_block_merge_mergepath_partition_kernelINS1_37wrapped_merge_sort_block_merge_configINS0_14default_configElN2at4cuda3cub6detail10OpaqueTypeILi8EEEEEPljNS1_19radix_merge_compareILb0ELb1ElNS0_19identity_decomposerEEEEEvT0_T1_jPSH_T2_SH_,"axG",@progbits,_ZN7rocprim17ROCPRIM_304000_NS6detail45device_block_merge_mergepath_partition_kernelINS1_37wrapped_merge_sort_block_merge_configINS0_14default_configElN2at4cuda3cub6detail10OpaqueTypeILi8EEEEEPljNS1_19radix_merge_compareILb0ELb1ElNS0_19identity_decomposerEEEEEvT0_T1_jPSH_T2_SH_,comdat
	.protected	_ZN7rocprim17ROCPRIM_304000_NS6detail45device_block_merge_mergepath_partition_kernelINS1_37wrapped_merge_sort_block_merge_configINS0_14default_configElN2at4cuda3cub6detail10OpaqueTypeILi8EEEEEPljNS1_19radix_merge_compareILb0ELb1ElNS0_19identity_decomposerEEEEEvT0_T1_jPSH_T2_SH_ ; -- Begin function _ZN7rocprim17ROCPRIM_304000_NS6detail45device_block_merge_mergepath_partition_kernelINS1_37wrapped_merge_sort_block_merge_configINS0_14default_configElN2at4cuda3cub6detail10OpaqueTypeILi8EEEEEPljNS1_19radix_merge_compareILb0ELb1ElNS0_19identity_decomposerEEEEEvT0_T1_jPSH_T2_SH_
	.globl	_ZN7rocprim17ROCPRIM_304000_NS6detail45device_block_merge_mergepath_partition_kernelINS1_37wrapped_merge_sort_block_merge_configINS0_14default_configElN2at4cuda3cub6detail10OpaqueTypeILi8EEEEEPljNS1_19radix_merge_compareILb0ELb1ElNS0_19identity_decomposerEEEEEvT0_T1_jPSH_T2_SH_
	.p2align	8
	.type	_ZN7rocprim17ROCPRIM_304000_NS6detail45device_block_merge_mergepath_partition_kernelINS1_37wrapped_merge_sort_block_merge_configINS0_14default_configElN2at4cuda3cub6detail10OpaqueTypeILi8EEEEEPljNS1_19radix_merge_compareILb0ELb1ElNS0_19identity_decomposerEEEEEvT0_T1_jPSH_T2_SH_,@function
_ZN7rocprim17ROCPRIM_304000_NS6detail45device_block_merge_mergepath_partition_kernelINS1_37wrapped_merge_sort_block_merge_configINS0_14default_configElN2at4cuda3cub6detail10OpaqueTypeILi8EEEEEPljNS1_19radix_merge_compareILb0ELb1ElNS0_19identity_decomposerEEEEEvT0_T1_jPSH_T2_SH_: ; @_ZN7rocprim17ROCPRIM_304000_NS6detail45device_block_merge_mergepath_partition_kernelINS1_37wrapped_merge_sort_block_merge_configINS0_14default_configElN2at4cuda3cub6detail10OpaqueTypeILi8EEEEEPljNS1_19radix_merge_compareILb0ELb1ElNS0_19identity_decomposerEEEEEvT0_T1_jPSH_T2_SH_
; %bb.0:
	s_load_b64 s[2:3], s[0:1], 0x8
	v_lshl_or_b32 v0, s15, 7, v0
	s_waitcnt lgkmcnt(0)
	s_delay_alu instid0(VALU_DEP_1)
	v_cmp_gt_u32_e32 vcc_lo, s3, v0
	s_and_saveexec_b32 s3, vcc_lo
	s_cbranch_execz .LBB116_6
; %bb.1:
	s_load_b32 s3, s[0:1], 0x20
	s_waitcnt lgkmcnt(0)
	s_lshr_b32 s4, s3, 9
	s_delay_alu instid0(SALU_CYCLE_1) | instskip(NEXT) | instid1(SALU_CYCLE_1)
	s_and_b32 s4, s4, 0x7ffffe
	s_sub_i32 s5, 0, s4
	s_add_i32 s4, s4, -1
	v_and_b32_e32 v1, s5, v0
	v_and_b32_e32 v5, s4, v0
	s_load_b128 s[4:7], s[0:1], 0x10
	s_delay_alu instid0(VALU_DEP_2) | instskip(NEXT) | instid1(VALU_DEP_1)
	v_lshlrev_b32_e32 v1, 10, v1
	v_add_nc_u32_e32 v2, s3, v1
	s_delay_alu instid0(VALU_DEP_1) | instskip(SKIP_1) | instid1(VALU_DEP_2)
	v_min_u32_e32 v4, s2, v2
	v_min_u32_e32 v2, s2, v1
	v_add_nc_u32_e32 v3, s3, v4
	s_delay_alu instid0(VALU_DEP_1) | instskip(SKIP_2) | instid1(VALU_DEP_2)
	v_min_u32_e32 v1, s2, v3
	v_lshlrev_b32_e32 v3, 10, v5
	s_mov_b32 s2, exec_lo
	v_sub_nc_u32_e32 v5, v1, v2
	v_sub_nc_u32_e32 v6, v1, v4
	s_delay_alu instid0(VALU_DEP_2) | instskip(SKIP_1) | instid1(VALU_DEP_2)
	v_min_u32_e32 v1, v5, v3
	v_sub_nc_u32_e32 v3, v4, v2
	v_sub_nc_u32_e64 v6, v1, v6 clamp
	s_delay_alu instid0(VALU_DEP_2) | instskip(NEXT) | instid1(VALU_DEP_1)
	v_min_u32_e32 v7, v1, v3
	v_cmpx_lt_u32_e64 v6, v7
	s_cbranch_execz .LBB116_5
; %bb.2:
	s_load_b64 s[0:1], s[0:1], 0x0
	v_mov_b32_e32 v5, 0
	s_delay_alu instid0(VALU_DEP_1) | instskip(SKIP_1) | instid1(VALU_DEP_2)
	v_mov_b32_e32 v3, v5
	v_lshlrev_b64 v[10:11], 3, v[4:5]
	v_lshlrev_b64 v[8:9], 3, v[2:3]
	s_waitcnt lgkmcnt(0)
	s_delay_alu instid0(VALU_DEP_1) | instskip(NEXT) | instid1(VALU_DEP_2)
	v_add_co_u32 v3, vcc_lo, s0, v8
	v_add_co_ci_u32_e32 v8, vcc_lo, s1, v9, vcc_lo
	s_delay_alu instid0(VALU_DEP_4)
	v_add_co_u32 v9, vcc_lo, s0, v10
	v_add_co_ci_u32_e32 v10, vcc_lo, s1, v11, vcc_lo
	s_mov_b32 s0, 0
	.p2align	6
.LBB116_3:                              ; =>This Inner Loop Header: Depth=1
	v_add_nc_u32_e32 v4, v7, v6
	v_mov_b32_e32 v12, v5
	s_delay_alu instid0(VALU_DEP_2) | instskip(NEXT) | instid1(VALU_DEP_1)
	v_lshrrev_b32_e32 v4, 1, v4
	v_xad_u32 v11, v4, -1, v1
	v_lshlrev_b64 v[13:14], 3, v[4:5]
	s_delay_alu instid0(VALU_DEP_2) | instskip(NEXT) | instid1(VALU_DEP_2)
	v_lshlrev_b64 v[11:12], 3, v[11:12]
	v_add_co_u32 v13, vcc_lo, v3, v13
	s_delay_alu instid0(VALU_DEP_3) | instskip(NEXT) | instid1(VALU_DEP_3)
	v_add_co_ci_u32_e32 v14, vcc_lo, v8, v14, vcc_lo
	v_add_co_u32 v11, vcc_lo, v9, v11
	s_delay_alu instid0(VALU_DEP_4)
	v_add_co_ci_u32_e32 v12, vcc_lo, v10, v12, vcc_lo
	s_clause 0x1
	global_load_b64 v[13:14], v[13:14], off
	global_load_b64 v[11:12], v[11:12], off
	s_waitcnt vmcnt(1)
	v_and_b32_e32 v13, s6, v13
	v_and_b32_e32 v14, s7, v14
	s_waitcnt vmcnt(0)
	v_and_b32_e32 v12, s7, v12
	v_and_b32_e32 v11, s6, v11
	s_delay_alu instid0(VALU_DEP_1) | instskip(SKIP_2) | instid1(VALU_DEP_2)
	v_cmp_gt_i64_e32 vcc_lo, v[13:14], v[11:12]
	v_add_nc_u32_e32 v11, 1, v4
	v_cndmask_b32_e32 v7, v7, v4, vcc_lo
	v_cndmask_b32_e32 v6, v11, v6, vcc_lo
	s_delay_alu instid0(VALU_DEP_1) | instskip(SKIP_1) | instid1(SALU_CYCLE_1)
	v_cmp_ge_u32_e32 vcc_lo, v6, v7
	s_or_b32 s0, vcc_lo, s0
	s_and_not1_b32 exec_lo, exec_lo, s0
	s_cbranch_execnz .LBB116_3
; %bb.4:
	s_or_b32 exec_lo, exec_lo, s0
.LBB116_5:
	s_delay_alu instid0(SALU_CYCLE_1) | instskip(SKIP_1) | instid1(VALU_DEP_1)
	s_or_b32 exec_lo, exec_lo, s2
	v_dual_mov_b32 v1, 0 :: v_dual_add_nc_u32 v2, v6, v2
	v_lshlrev_b64 v[0:1], 2, v[0:1]
	s_waitcnt lgkmcnt(0)
	s_delay_alu instid0(VALU_DEP_1) | instskip(NEXT) | instid1(VALU_DEP_2)
	v_add_co_u32 v0, vcc_lo, s4, v0
	v_add_co_ci_u32_e32 v1, vcc_lo, s5, v1, vcc_lo
	global_store_b32 v[0:1], v2, off
.LBB116_6:
	s_nop 0
	s_sendmsg sendmsg(MSG_DEALLOC_VGPRS)
	s_endpgm
	.section	.rodata,"a",@progbits
	.p2align	6, 0x0
	.amdhsa_kernel _ZN7rocprim17ROCPRIM_304000_NS6detail45device_block_merge_mergepath_partition_kernelINS1_37wrapped_merge_sort_block_merge_configINS0_14default_configElN2at4cuda3cub6detail10OpaqueTypeILi8EEEEEPljNS1_19radix_merge_compareILb0ELb1ElNS0_19identity_decomposerEEEEEvT0_T1_jPSH_T2_SH_
		.amdhsa_group_segment_fixed_size 0
		.amdhsa_private_segment_fixed_size 0
		.amdhsa_kernarg_size 36
		.amdhsa_user_sgpr_count 15
		.amdhsa_user_sgpr_dispatch_ptr 0
		.amdhsa_user_sgpr_queue_ptr 0
		.amdhsa_user_sgpr_kernarg_segment_ptr 1
		.amdhsa_user_sgpr_dispatch_id 0
		.amdhsa_user_sgpr_private_segment_size 0
		.amdhsa_wavefront_size32 1
		.amdhsa_uses_dynamic_stack 0
		.amdhsa_enable_private_segment 0
		.amdhsa_system_sgpr_workgroup_id_x 1
		.amdhsa_system_sgpr_workgroup_id_y 0
		.amdhsa_system_sgpr_workgroup_id_z 0
		.amdhsa_system_sgpr_workgroup_info 0
		.amdhsa_system_vgpr_workitem_id 0
		.amdhsa_next_free_vgpr 15
		.amdhsa_next_free_sgpr 16
		.amdhsa_reserve_vcc 1
		.amdhsa_float_round_mode_32 0
		.amdhsa_float_round_mode_16_64 0
		.amdhsa_float_denorm_mode_32 3
		.amdhsa_float_denorm_mode_16_64 3
		.amdhsa_dx10_clamp 1
		.amdhsa_ieee_mode 1
		.amdhsa_fp16_overflow 0
		.amdhsa_workgroup_processor_mode 1
		.amdhsa_memory_ordered 1
		.amdhsa_forward_progress 0
		.amdhsa_shared_vgpr_count 0
		.amdhsa_exception_fp_ieee_invalid_op 0
		.amdhsa_exception_fp_denorm_src 0
		.amdhsa_exception_fp_ieee_div_zero 0
		.amdhsa_exception_fp_ieee_overflow 0
		.amdhsa_exception_fp_ieee_underflow 0
		.amdhsa_exception_fp_ieee_inexact 0
		.amdhsa_exception_int_div_zero 0
	.end_amdhsa_kernel
	.section	.text._ZN7rocprim17ROCPRIM_304000_NS6detail45device_block_merge_mergepath_partition_kernelINS1_37wrapped_merge_sort_block_merge_configINS0_14default_configElN2at4cuda3cub6detail10OpaqueTypeILi8EEEEEPljNS1_19radix_merge_compareILb0ELb1ElNS0_19identity_decomposerEEEEEvT0_T1_jPSH_T2_SH_,"axG",@progbits,_ZN7rocprim17ROCPRIM_304000_NS6detail45device_block_merge_mergepath_partition_kernelINS1_37wrapped_merge_sort_block_merge_configINS0_14default_configElN2at4cuda3cub6detail10OpaqueTypeILi8EEEEEPljNS1_19radix_merge_compareILb0ELb1ElNS0_19identity_decomposerEEEEEvT0_T1_jPSH_T2_SH_,comdat
.Lfunc_end116:
	.size	_ZN7rocprim17ROCPRIM_304000_NS6detail45device_block_merge_mergepath_partition_kernelINS1_37wrapped_merge_sort_block_merge_configINS0_14default_configElN2at4cuda3cub6detail10OpaqueTypeILi8EEEEEPljNS1_19radix_merge_compareILb0ELb1ElNS0_19identity_decomposerEEEEEvT0_T1_jPSH_T2_SH_, .Lfunc_end116-_ZN7rocprim17ROCPRIM_304000_NS6detail45device_block_merge_mergepath_partition_kernelINS1_37wrapped_merge_sort_block_merge_configINS0_14default_configElN2at4cuda3cub6detail10OpaqueTypeILi8EEEEEPljNS1_19radix_merge_compareILb0ELb1ElNS0_19identity_decomposerEEEEEvT0_T1_jPSH_T2_SH_
                                        ; -- End function
	.section	.AMDGPU.csdata,"",@progbits
; Kernel info:
; codeLenInByte = 484
; NumSgprs: 18
; NumVgprs: 15
; ScratchSize: 0
; MemoryBound: 0
; FloatMode: 240
; IeeeMode: 1
; LDSByteSize: 0 bytes/workgroup (compile time only)
; SGPRBlocks: 2
; VGPRBlocks: 1
; NumSGPRsForWavesPerEU: 18
; NumVGPRsForWavesPerEU: 15
; Occupancy: 16
; WaveLimiterHint : 0
; COMPUTE_PGM_RSRC2:SCRATCH_EN: 0
; COMPUTE_PGM_RSRC2:USER_SGPR: 15
; COMPUTE_PGM_RSRC2:TRAP_HANDLER: 0
; COMPUTE_PGM_RSRC2:TGID_X_EN: 1
; COMPUTE_PGM_RSRC2:TGID_Y_EN: 0
; COMPUTE_PGM_RSRC2:TGID_Z_EN: 0
; COMPUTE_PGM_RSRC2:TIDIG_COMP_CNT: 0
	.section	.text._ZN7rocprim17ROCPRIM_304000_NS6detail35device_block_merge_mergepath_kernelINS1_37wrapped_merge_sort_block_merge_configINS0_14default_configElN2at4cuda3cub6detail10OpaqueTypeILi8EEEEEPlSC_PSA_SD_jNS1_19radix_merge_compareILb0ELb1ElNS0_19identity_decomposerEEEEEvT0_T1_T2_T3_T4_SL_jT5_PKSL_NS1_7vsmem_tE,"axG",@progbits,_ZN7rocprim17ROCPRIM_304000_NS6detail35device_block_merge_mergepath_kernelINS1_37wrapped_merge_sort_block_merge_configINS0_14default_configElN2at4cuda3cub6detail10OpaqueTypeILi8EEEEEPlSC_PSA_SD_jNS1_19radix_merge_compareILb0ELb1ElNS0_19identity_decomposerEEEEEvT0_T1_T2_T3_T4_SL_jT5_PKSL_NS1_7vsmem_tE,comdat
	.protected	_ZN7rocprim17ROCPRIM_304000_NS6detail35device_block_merge_mergepath_kernelINS1_37wrapped_merge_sort_block_merge_configINS0_14default_configElN2at4cuda3cub6detail10OpaqueTypeILi8EEEEEPlSC_PSA_SD_jNS1_19radix_merge_compareILb0ELb1ElNS0_19identity_decomposerEEEEEvT0_T1_T2_T3_T4_SL_jT5_PKSL_NS1_7vsmem_tE ; -- Begin function _ZN7rocprim17ROCPRIM_304000_NS6detail35device_block_merge_mergepath_kernelINS1_37wrapped_merge_sort_block_merge_configINS0_14default_configElN2at4cuda3cub6detail10OpaqueTypeILi8EEEEEPlSC_PSA_SD_jNS1_19radix_merge_compareILb0ELb1ElNS0_19identity_decomposerEEEEEvT0_T1_T2_T3_T4_SL_jT5_PKSL_NS1_7vsmem_tE
	.globl	_ZN7rocprim17ROCPRIM_304000_NS6detail35device_block_merge_mergepath_kernelINS1_37wrapped_merge_sort_block_merge_configINS0_14default_configElN2at4cuda3cub6detail10OpaqueTypeILi8EEEEEPlSC_PSA_SD_jNS1_19radix_merge_compareILb0ELb1ElNS0_19identity_decomposerEEEEEvT0_T1_T2_T3_T4_SL_jT5_PKSL_NS1_7vsmem_tE
	.p2align	8
	.type	_ZN7rocprim17ROCPRIM_304000_NS6detail35device_block_merge_mergepath_kernelINS1_37wrapped_merge_sort_block_merge_configINS0_14default_configElN2at4cuda3cub6detail10OpaqueTypeILi8EEEEEPlSC_PSA_SD_jNS1_19radix_merge_compareILb0ELb1ElNS0_19identity_decomposerEEEEEvT0_T1_T2_T3_T4_SL_jT5_PKSL_NS1_7vsmem_tE,@function
_ZN7rocprim17ROCPRIM_304000_NS6detail35device_block_merge_mergepath_kernelINS1_37wrapped_merge_sort_block_merge_configINS0_14default_configElN2at4cuda3cub6detail10OpaqueTypeILi8EEEEEPlSC_PSA_SD_jNS1_19radix_merge_compareILb0ELb1ElNS0_19identity_decomposerEEEEEvT0_T1_T2_T3_T4_SL_jT5_PKSL_NS1_7vsmem_tE: ; @_ZN7rocprim17ROCPRIM_304000_NS6detail35device_block_merge_mergepath_kernelINS1_37wrapped_merge_sort_block_merge_configINS0_14default_configElN2at4cuda3cub6detail10OpaqueTypeILi8EEEEEPlSC_PSA_SD_jNS1_19radix_merge_compareILb0ELb1ElNS0_19identity_decomposerEEEEEvT0_T1_T2_T3_T4_SL_jT5_PKSL_NS1_7vsmem_tE
; %bb.0:
	s_clause 0x1
	s_load_b64 s[2:3], s[0:1], 0x48
	s_load_b128 s[8:11], s[0:1], 0x20
	s_waitcnt lgkmcnt(0)
	s_mul_i32 s3, s3, s15
	s_delay_alu instid0(SALU_CYCLE_1) | instskip(NEXT) | instid1(SALU_CYCLE_1)
	s_add_i32 s3, s3, s14
	s_mul_i32 s2, s3, s2
	s_delay_alu instid0(SALU_CYCLE_1) | instskip(NEXT) | instid1(SALU_CYCLE_1)
	s_add_i32 s16, s2, s13
	s_cmp_ge_u32 s16, s10
	s_cbranch_scc1 .LBB117_38
; %bb.1:
	s_load_b128 s[12:15], s[0:1], 0x30
	s_lshr_b32 s2, s8, 10
	s_mov_b32 s17, 0
	s_cmp_lg_u32 s16, s2
                                        ; implicit-def: $vgpr2_vgpr3
	s_cselect_b32 s11, -1, 0
	s_lshl_b64 s[2:3], s[16:17], 2
	s_waitcnt lgkmcnt(0)
	s_add_u32 s2, s14, s2
	s_addc_u32 s3, s15, s3
	s_load_b64 s[14:15], s[2:3], 0x0
	s_lshr_b32 s2, s9, 9
	s_delay_alu instid0(SALU_CYCLE_1)
	s_and_b32 s10, s2, 0x7ffffe
	s_load_b256 s[0:7], s[0:1], 0x0
	s_sub_i32 s18, 0, s10
	s_lshl_b32 s10, s16, 10
	s_and_b32 s19, s16, s18
	s_or_b32 s18, s16, s18
	s_lshl_b32 s16, s19, 11
	s_lshl_b32 s19, s19, 10
	s_add_i32 s16, s16, s9
	s_sub_i32 s20, s10, s19
	s_sub_i32 s19, s16, s19
	s_add_i32 s16, s16, s20
	s_min_u32 s20, s8, s19
	s_add_i32 s19, s19, s9
	s_waitcnt lgkmcnt(0)
	s_sub_i32 s21, s16, s14
	s_sub_i32 s22, s16, s15
	s_min_u32 s16, s8, s21
	s_addk_i32 s22, 0x400
	s_cmp_eq_u32 s18, -1
	s_cselect_b32 s9, s19, s22
	s_cselect_b32 s15, s20, s15
	s_min_u32 s9, s9, s8
	s_sub_i32 s18, s15, s14
	s_sub_i32 s19, s9, s16
	s_mov_b32 s15, s17
	s_add_i32 s20, s19, s18
	s_delay_alu instid0(SALU_CYCLE_1) | instskip(SKIP_1) | instid1(SALU_CYCLE_1)
	v_cmp_gt_u32_e32 vcc_lo, s20, v0
	s_or_b32 s9, s11, vcc_lo
	s_and_saveexec_b32 s21, s9
	s_delay_alu instid0(SALU_CYCLE_1)
	s_xor_b32 s21, exec_lo, s21
	s_cbranch_execz .LBB117_3
; %bb.2:
	v_dual_mov_b32 v1, 0 :: v_dual_lshlrev_b32 v4, 3, v0
	s_lshl_b64 s[22:23], s[14:15], 3
	v_subrev_nc_u32_e32 v2, s18, v0
	s_add_u32 s24, s0, s22
	s_addc_u32 s25, s1, s23
	v_add_co_u32 v4, s24, s24, v4
	v_mov_b32_e32 v3, v1
	s_lshl_b64 s[22:23], s[16:17], 3
	v_add_co_ci_u32_e64 v5, null, s25, 0, s24
	s_add_u32 s0, s0, s22
	s_delay_alu instid0(VALU_DEP_2) | instskip(SKIP_1) | instid1(VALU_DEP_1)
	v_lshlrev_b64 v[2:3], 3, v[2:3]
	s_addc_u32 s1, s1, s23
	v_add_co_u32 v2, vcc_lo, s0, v2
	s_delay_alu instid0(VALU_DEP_2) | instskip(SKIP_1) | instid1(VALU_DEP_2)
	v_add_co_ci_u32_e32 v3, vcc_lo, s1, v3, vcc_lo
	v_cmp_gt_u32_e32 vcc_lo, s18, v0
	v_dual_cndmask_b32 v2, v2, v4 :: v_dual_cndmask_b32 v3, v3, v5
	global_load_b64 v[2:3], v[2:3], off
.LBB117_3:
	s_and_not1_saveexec_b32 s0, s21
; %bb.4:
	v_mov_b32_e32 v1, 0
                                        ; implicit-def: $vgpr2_vgpr3
; %bb.5:
	s_or_b32 exec_lo, exec_lo, s0
	v_min_u32_e32 v4, s20, v0
	v_lshlrev_b32_e32 v8, 3, v0
	s_mov_b32 s0, exec_lo
	s_delay_alu instid0(VALU_DEP_2)
	v_sub_nc_u32_e64 v6, v4, s19 clamp
	v_min_u32_e32 v5, s18, v4
	s_waitcnt vmcnt(0)
	ds_store_b64 v8, v[2:3]
	s_waitcnt lgkmcnt(0)
	s_barrier
	buffer_gl0_inv
	v_cmpx_lt_u32_e64 v6, v5
	s_cbranch_execz .LBB117_9
; %bb.6:
	v_lshlrev_b32_e32 v7, 3, v4
	s_mov_b32 s1, 0
	s_delay_alu instid0(VALU_DEP_1)
	v_lshl_add_u32 v7, s18, 3, v7
	.p2align	6
.LBB117_7:                              ; =>This Inner Loop Header: Depth=1
	v_add_nc_u32_e32 v9, v5, v6
	s_delay_alu instid0(VALU_DEP_1) | instskip(NEXT) | instid1(VALU_DEP_1)
	v_lshrrev_b32_e32 v13, 1, v9
	v_not_b32_e32 v9, v13
	v_lshlrev_b32_e32 v10, 3, v13
	s_delay_alu instid0(VALU_DEP_2)
	v_lshl_add_u32 v11, v9, 3, v7
	ds_load_b64 v[9:10], v10
	ds_load_b64 v[11:12], v11
	s_waitcnt lgkmcnt(1)
	v_and_b32_e32 v10, s13, v10
	v_and_b32_e32 v9, s12, v9
	s_waitcnt lgkmcnt(0)
	v_and_b32_e32 v12, s13, v12
	v_and_b32_e32 v11, s12, v11
	s_delay_alu instid0(VALU_DEP_1) | instskip(SKIP_1) | instid1(VALU_DEP_1)
	v_cmp_gt_i64_e32 vcc_lo, v[9:10], v[11:12]
	v_add_nc_u32_e32 v9, 1, v13
	v_cndmask_b32_e32 v6, v9, v6, vcc_lo
	v_cndmask_b32_e32 v5, v5, v13, vcc_lo
	s_delay_alu instid0(VALU_DEP_1) | instskip(SKIP_1) | instid1(SALU_CYCLE_1)
	v_cmp_ge_u32_e32 vcc_lo, v6, v5
	s_or_b32 s1, vcc_lo, s1
	s_and_not1_b32 exec_lo, exec_lo, s1
	s_cbranch_execnz .LBB117_7
; %bb.8:
	s_or_b32 exec_lo, exec_lo, s1
.LBB117_9:
	s_delay_alu instid0(SALU_CYCLE_1) | instskip(SKIP_3) | instid1(VALU_DEP_3)
	s_or_b32 exec_lo, exec_lo, s0
	v_sub_nc_u32_e32 v4, v4, v6
	v_cmp_ge_u32_e32 vcc_lo, s18, v6
	v_mov_b32_e32 v9, 0
	v_add_nc_u32_e32 v7, s18, v4
	s_delay_alu instid0(VALU_DEP_1) | instskip(NEXT) | instid1(VALU_DEP_1)
	v_cmp_ge_u32_e64 s0, s20, v7
	s_or_b32 s0, vcc_lo, s0
	s_delay_alu instid0(SALU_CYCLE_1)
	s_and_saveexec_b32 s21, s0
	s_cbranch_execz .LBB117_15
; %bb.10:
	v_cmp_gt_u32_e32 vcc_lo, s18, v6
                                        ; implicit-def: $vgpr2_vgpr3
	s_and_saveexec_b32 s0, vcc_lo
	s_cbranch_execz .LBB117_12
; %bb.11:
	v_lshlrev_b32_e32 v2, 3, v6
	ds_load_b64 v[2:3], v2
.LBB117_12:
	s_or_b32 exec_lo, exec_lo, s0
	v_cmp_le_u32_e64 s0, s20, v7
	v_cmp_gt_u32_e64 s1, s20, v7
                                        ; implicit-def: $vgpr4_vgpr5
	s_delay_alu instid0(VALU_DEP_1)
	s_and_saveexec_b32 s20, s1
	s_cbranch_execz .LBB117_14
; %bb.13:
	v_lshlrev_b32_e32 v4, 3, v7
	ds_load_b64 v[4:5], v4
.LBB117_14:
	s_or_b32 exec_lo, exec_lo, s20
	s_waitcnt lgkmcnt(0)
	v_and_b32_e32 v10, s13, v5
	v_and_b32_e32 v9, s12, v4
	;; [unrolled: 1-line block ×4, first 2 shown]
	s_delay_alu instid0(VALU_DEP_1) | instskip(NEXT) | instid1(VALU_DEP_1)
	v_cmp_le_i64_e64 s1, v[11:12], v[9:10]
	s_and_b32 s1, vcc_lo, s1
	s_delay_alu instid0(SALU_CYCLE_1)
	s_or_b32 vcc_lo, s0, s1
	v_cndmask_b32_e32 v2, v4, v2, vcc_lo
	v_cndmask_b32_e32 v9, v7, v6, vcc_lo
	;; [unrolled: 1-line block ×3, first 2 shown]
.LBB117_15:
	s_or_b32 exec_lo, exec_lo, s21
	s_lshl_b64 s[12:13], s[14:15], 3
	v_cmp_le_u32_e64 s0, s18, v0
	s_add_u32 s1, s4, s12
	s_addc_u32 s12, s5, s13
	s_lshl_b64 s[14:15], s[16:17], 3
	s_delay_alu instid0(SALU_CYCLE_1)
	s_add_u32 s13, s4, s14
	s_addc_u32 s5, s5, s15
	s_and_b32 vcc_lo, exec_lo, s11
	s_barrier
	buffer_gl0_inv
	s_cbranch_vccz .LBB117_21
; %bb.16:
                                        ; implicit-def: $vgpr4_vgpr5
	s_and_saveexec_b32 s4, s0
	s_delay_alu instid0(SALU_CYCLE_1)
	s_xor_b32 s4, exec_lo, s4
; %bb.17:
	v_subrev_nc_u32_e32 v4, s18, v0
	v_mov_b32_e32 v5, 0
	s_delay_alu instid0(VALU_DEP_1) | instskip(NEXT) | instid1(VALU_DEP_1)
	v_lshlrev_b64 v[4:5], 3, v[4:5]
	v_add_co_u32 v4, vcc_lo, s13, v4
	s_delay_alu instid0(VALU_DEP_2)
	v_add_co_ci_u32_e32 v5, vcc_lo, s5, v5, vcc_lo
; %bb.18:
	s_and_not1_saveexec_b32 s4, s4
; %bb.19:
	v_lshlrev_b64 v[4:5], 3, v[0:1]
	s_delay_alu instid0(VALU_DEP_1) | instskip(NEXT) | instid1(VALU_DEP_2)
	v_add_co_u32 v4, vcc_lo, s1, v4
	v_add_co_ci_u32_e32 v5, vcc_lo, s12, v5, vcc_lo
; %bb.20:
	s_or_b32 exec_lo, exec_lo, s4
	s_mov_b32 s4, -1
	s_cbranch_execz .LBB117_22
	s_branch .LBB117_29
.LBB117_21:
	s_mov_b32 s4, 0
                                        ; implicit-def: $vgpr4_vgpr5
.LBB117_22:
                                        ; implicit-def: $vgpr4_vgpr5
	s_and_saveexec_b32 s14, s0
	s_delay_alu instid0(SALU_CYCLE_1)
	s_xor_b32 s0, exec_lo, s14
	s_cbranch_execz .LBB117_26
; %bb.23:
	v_subrev_nc_u32_e32 v6, s18, v0
	s_mov_b32 s15, s4
	s_mov_b32 s14, exec_lo
                                        ; implicit-def: $vgpr4_vgpr5
	s_delay_alu instid0(VALU_DEP_1)
	v_cmpx_gt_u32_e64 s19, v6
	s_xor_b32 s14, exec_lo, s14
; %bb.24:
	v_mov_b32_e32 v7, 0
	s_or_b32 s15, s4, exec_lo
	s_delay_alu instid0(VALU_DEP_1) | instskip(NEXT) | instid1(VALU_DEP_1)
	v_lshlrev_b64 v[4:5], 3, v[6:7]
	v_add_co_u32 v4, vcc_lo, s13, v4
	s_delay_alu instid0(VALU_DEP_2)
	v_add_co_ci_u32_e32 v5, vcc_lo, s5, v5, vcc_lo
; %bb.25:
	s_or_b32 exec_lo, exec_lo, s14
	s_delay_alu instid0(SALU_CYCLE_1) | instskip(SKIP_1) | instid1(SALU_CYCLE_1)
	s_and_not1_b32 s4, s4, exec_lo
	s_and_b32 s5, s15, exec_lo
	s_or_b32 s4, s4, s5
.LBB117_26:
	s_and_not1_saveexec_b32 s0, s0
; %bb.27:
	v_lshlrev_b64 v[4:5], 3, v[0:1]
	s_or_b32 s4, s4, exec_lo
	s_delay_alu instid0(VALU_DEP_1) | instskip(NEXT) | instid1(VALU_DEP_2)
	v_add_co_u32 v4, vcc_lo, s1, v4
	v_add_co_ci_u32_e32 v5, vcc_lo, s12, v5, vcc_lo
; %bb.28:
	s_or_b32 exec_lo, exec_lo, s0
.LBB117_29:
	s_and_saveexec_b32 s0, s4
	s_cbranch_execz .LBB117_31
; %bb.30:
	global_load_b64 v[4:5], v[4:5], off
	s_waitcnt vmcnt(0)
	ds_store_b64 v8, v[4:5]
.LBB117_31:
	s_or_b32 exec_lo, exec_lo, s0
	s_waitcnt lgkmcnt(0)
	s_barrier
	buffer_gl0_inv
	s_and_saveexec_b32 s0, s9
	s_cbranch_execz .LBB117_33
; %bb.32:
	v_dual_mov_b32 v7, 0 :: v_dual_lshlrev_b32 v4, 3, v9
	v_or_b32_e32 v6, s10, v0
	ds_load_b64 v[4:5], v4
	v_lshlrev_b64 v[6:7], 3, v[6:7]
	s_delay_alu instid0(VALU_DEP_1) | instskip(NEXT) | instid1(VALU_DEP_2)
	v_add_co_u32 v6, vcc_lo, s6, v6
	v_add_co_ci_u32_e32 v7, vcc_lo, s7, v7, vcc_lo
	s_waitcnt lgkmcnt(0)
	global_store_b64 v[6:7], v[4:5], off
.LBB117_33:
	s_or_b32 exec_lo, exec_lo, s0
	s_delay_alu instid0(SALU_CYCLE_1)
	s_and_b32 vcc_lo, exec_lo, s11
	s_mov_b32 s11, -1
	s_waitcnt_vscnt null, 0x0
	s_barrier
	buffer_gl0_inv
	s_barrier
	buffer_gl0_inv
	s_cbranch_vccz .LBB117_35
; %bb.34:
	ds_store_b64 v8, v[2:3]
	s_waitcnt lgkmcnt(0)
	s_barrier
	buffer_gl0_inv
	ds_load_b64 v[4:5], v8
	s_mov_b32 s11, 0
	v_lshlrev_b64 v[6:7], 3, v[0:1]
	s_lshl_b64 s[0:1], s[10:11], 3
	s_delay_alu instid0(SALU_CYCLE_1) | instskip(SKIP_1) | instid1(VALU_DEP_1)
	s_add_u32 s0, s2, s0
	s_addc_u32 s1, s3, s1
	v_add_co_u32 v6, vcc_lo, s0, v6
	s_delay_alu instid0(VALU_DEP_2)
	v_add_co_ci_u32_e32 v7, vcc_lo, s1, v7, vcc_lo
	s_waitcnt lgkmcnt(0)
	global_store_b64 v[6:7], v[4:5], off
.LBB117_35:
	s_and_not1_b32 vcc_lo, exec_lo, s11
	s_cbranch_vccnz .LBB117_38
; %bb.36:
	s_sub_i32 s0, s8, s10
	ds_store_b64 v8, v[2:3]
	v_cmp_gt_u32_e32 vcc_lo, s0, v0
	s_waitcnt lgkmcnt(0)
	s_waitcnt_vscnt null, 0x0
	s_barrier
	buffer_gl0_inv
	s_and_saveexec_b32 s0, vcc_lo
	s_cbranch_execz .LBB117_38
; %bb.37:
	ds_load_b64 v[2:3], v8
	s_mov_b32 s11, 0
	v_lshlrev_b64 v[0:1], 3, v[0:1]
	s_lshl_b64 s[0:1], s[10:11], 3
	s_delay_alu instid0(SALU_CYCLE_1) | instskip(SKIP_1) | instid1(VALU_DEP_1)
	s_add_u32 s0, s2, s0
	s_addc_u32 s1, s3, s1
	v_add_co_u32 v0, vcc_lo, s0, v0
	s_delay_alu instid0(VALU_DEP_2)
	v_add_co_ci_u32_e32 v1, vcc_lo, s1, v1, vcc_lo
	s_waitcnt lgkmcnt(0)
	global_store_b64 v[0:1], v[2:3], off
.LBB117_38:
	s_nop 0
	s_sendmsg sendmsg(MSG_DEALLOC_VGPRS)
	s_endpgm
	.section	.rodata,"a",@progbits
	.p2align	6, 0x0
	.amdhsa_kernel _ZN7rocprim17ROCPRIM_304000_NS6detail35device_block_merge_mergepath_kernelINS1_37wrapped_merge_sort_block_merge_configINS0_14default_configElN2at4cuda3cub6detail10OpaqueTypeILi8EEEEEPlSC_PSA_SD_jNS1_19radix_merge_compareILb0ELb1ElNS0_19identity_decomposerEEEEEvT0_T1_T2_T3_T4_SL_jT5_PKSL_NS1_7vsmem_tE
		.amdhsa_group_segment_fixed_size 8208
		.amdhsa_private_segment_fixed_size 0
		.amdhsa_kernarg_size 328
		.amdhsa_user_sgpr_count 13
		.amdhsa_user_sgpr_dispatch_ptr 0
		.amdhsa_user_sgpr_queue_ptr 0
		.amdhsa_user_sgpr_kernarg_segment_ptr 1
		.amdhsa_user_sgpr_dispatch_id 0
		.amdhsa_user_sgpr_private_segment_size 0
		.amdhsa_wavefront_size32 1
		.amdhsa_uses_dynamic_stack 0
		.amdhsa_enable_private_segment 0
		.amdhsa_system_sgpr_workgroup_id_x 1
		.amdhsa_system_sgpr_workgroup_id_y 1
		.amdhsa_system_sgpr_workgroup_id_z 1
		.amdhsa_system_sgpr_workgroup_info 0
		.amdhsa_system_vgpr_workitem_id 0
		.amdhsa_next_free_vgpr 14
		.amdhsa_next_free_sgpr 26
		.amdhsa_reserve_vcc 1
		.amdhsa_float_round_mode_32 0
		.amdhsa_float_round_mode_16_64 0
		.amdhsa_float_denorm_mode_32 3
		.amdhsa_float_denorm_mode_16_64 3
		.amdhsa_dx10_clamp 1
		.amdhsa_ieee_mode 1
		.amdhsa_fp16_overflow 0
		.amdhsa_workgroup_processor_mode 1
		.amdhsa_memory_ordered 1
		.amdhsa_forward_progress 0
		.amdhsa_shared_vgpr_count 0
		.amdhsa_exception_fp_ieee_invalid_op 0
		.amdhsa_exception_fp_denorm_src 0
		.amdhsa_exception_fp_ieee_div_zero 0
		.amdhsa_exception_fp_ieee_overflow 0
		.amdhsa_exception_fp_ieee_underflow 0
		.amdhsa_exception_fp_ieee_inexact 0
		.amdhsa_exception_int_div_zero 0
	.end_amdhsa_kernel
	.section	.text._ZN7rocprim17ROCPRIM_304000_NS6detail35device_block_merge_mergepath_kernelINS1_37wrapped_merge_sort_block_merge_configINS0_14default_configElN2at4cuda3cub6detail10OpaqueTypeILi8EEEEEPlSC_PSA_SD_jNS1_19radix_merge_compareILb0ELb1ElNS0_19identity_decomposerEEEEEvT0_T1_T2_T3_T4_SL_jT5_PKSL_NS1_7vsmem_tE,"axG",@progbits,_ZN7rocprim17ROCPRIM_304000_NS6detail35device_block_merge_mergepath_kernelINS1_37wrapped_merge_sort_block_merge_configINS0_14default_configElN2at4cuda3cub6detail10OpaqueTypeILi8EEEEEPlSC_PSA_SD_jNS1_19radix_merge_compareILb0ELb1ElNS0_19identity_decomposerEEEEEvT0_T1_T2_T3_T4_SL_jT5_PKSL_NS1_7vsmem_tE,comdat
.Lfunc_end117:
	.size	_ZN7rocprim17ROCPRIM_304000_NS6detail35device_block_merge_mergepath_kernelINS1_37wrapped_merge_sort_block_merge_configINS0_14default_configElN2at4cuda3cub6detail10OpaqueTypeILi8EEEEEPlSC_PSA_SD_jNS1_19radix_merge_compareILb0ELb1ElNS0_19identity_decomposerEEEEEvT0_T1_T2_T3_T4_SL_jT5_PKSL_NS1_7vsmem_tE, .Lfunc_end117-_ZN7rocprim17ROCPRIM_304000_NS6detail35device_block_merge_mergepath_kernelINS1_37wrapped_merge_sort_block_merge_configINS0_14default_configElN2at4cuda3cub6detail10OpaqueTypeILi8EEEEEPlSC_PSA_SD_jNS1_19radix_merge_compareILb0ELb1ElNS0_19identity_decomposerEEEEEvT0_T1_T2_T3_T4_SL_jT5_PKSL_NS1_7vsmem_tE
                                        ; -- End function
	.section	.AMDGPU.csdata,"",@progbits
; Kernel info:
; codeLenInByte = 1424
; NumSgprs: 28
; NumVgprs: 14
; ScratchSize: 0
; MemoryBound: 1
; FloatMode: 240
; IeeeMode: 1
; LDSByteSize: 8208 bytes/workgroup (compile time only)
; SGPRBlocks: 3
; VGPRBlocks: 1
; NumSGPRsForWavesPerEU: 28
; NumVGPRsForWavesPerEU: 14
; Occupancy: 16
; WaveLimiterHint : 1
; COMPUTE_PGM_RSRC2:SCRATCH_EN: 0
; COMPUTE_PGM_RSRC2:USER_SGPR: 13
; COMPUTE_PGM_RSRC2:TRAP_HANDLER: 0
; COMPUTE_PGM_RSRC2:TGID_X_EN: 1
; COMPUTE_PGM_RSRC2:TGID_Y_EN: 1
; COMPUTE_PGM_RSRC2:TGID_Z_EN: 1
; COMPUTE_PGM_RSRC2:TIDIG_COMP_CNT: 0
	.section	.text._ZN7rocprim17ROCPRIM_304000_NS6detail33device_block_merge_oddeven_kernelINS1_37wrapped_merge_sort_block_merge_configINS0_14default_configElN2at4cuda3cub6detail10OpaqueTypeILi8EEEEEPlSC_PSA_SD_jNS1_19radix_merge_compareILb0ELb1ElNS0_19identity_decomposerEEEEEvT0_T1_T2_T3_T4_SL_T5_,"axG",@progbits,_ZN7rocprim17ROCPRIM_304000_NS6detail33device_block_merge_oddeven_kernelINS1_37wrapped_merge_sort_block_merge_configINS0_14default_configElN2at4cuda3cub6detail10OpaqueTypeILi8EEEEEPlSC_PSA_SD_jNS1_19radix_merge_compareILb0ELb1ElNS0_19identity_decomposerEEEEEvT0_T1_T2_T3_T4_SL_T5_,comdat
	.protected	_ZN7rocprim17ROCPRIM_304000_NS6detail33device_block_merge_oddeven_kernelINS1_37wrapped_merge_sort_block_merge_configINS0_14default_configElN2at4cuda3cub6detail10OpaqueTypeILi8EEEEEPlSC_PSA_SD_jNS1_19radix_merge_compareILb0ELb1ElNS0_19identity_decomposerEEEEEvT0_T1_T2_T3_T4_SL_T5_ ; -- Begin function _ZN7rocprim17ROCPRIM_304000_NS6detail33device_block_merge_oddeven_kernelINS1_37wrapped_merge_sort_block_merge_configINS0_14default_configElN2at4cuda3cub6detail10OpaqueTypeILi8EEEEEPlSC_PSA_SD_jNS1_19radix_merge_compareILb0ELb1ElNS0_19identity_decomposerEEEEEvT0_T1_T2_T3_T4_SL_T5_
	.globl	_ZN7rocprim17ROCPRIM_304000_NS6detail33device_block_merge_oddeven_kernelINS1_37wrapped_merge_sort_block_merge_configINS0_14default_configElN2at4cuda3cub6detail10OpaqueTypeILi8EEEEEPlSC_PSA_SD_jNS1_19radix_merge_compareILb0ELb1ElNS0_19identity_decomposerEEEEEvT0_T1_T2_T3_T4_SL_T5_
	.p2align	8
	.type	_ZN7rocprim17ROCPRIM_304000_NS6detail33device_block_merge_oddeven_kernelINS1_37wrapped_merge_sort_block_merge_configINS0_14default_configElN2at4cuda3cub6detail10OpaqueTypeILi8EEEEEPlSC_PSA_SD_jNS1_19radix_merge_compareILb0ELb1ElNS0_19identity_decomposerEEEEEvT0_T1_T2_T3_T4_SL_T5_,@function
_ZN7rocprim17ROCPRIM_304000_NS6detail33device_block_merge_oddeven_kernelINS1_37wrapped_merge_sort_block_merge_configINS0_14default_configElN2at4cuda3cub6detail10OpaqueTypeILi8EEEEEPlSC_PSA_SD_jNS1_19radix_merge_compareILb0ELb1ElNS0_19identity_decomposerEEEEEvT0_T1_T2_T3_T4_SL_T5_: ; @_ZN7rocprim17ROCPRIM_304000_NS6detail33device_block_merge_oddeven_kernelINS1_37wrapped_merge_sort_block_merge_configINS0_14default_configElN2at4cuda3cub6detail10OpaqueTypeILi8EEEEEPlSC_PSA_SD_jNS1_19radix_merge_compareILb0ELb1ElNS0_19identity_decomposerEEEEEvT0_T1_T2_T3_T4_SL_T5_
; %bb.0:
	s_load_b64 s[16:17], s[0:1], 0x20
	s_waitcnt lgkmcnt(0)
	s_lshr_b32 s2, s16, 8
	s_delay_alu instid0(SALU_CYCLE_1) | instskip(SKIP_4) | instid1(SALU_CYCLE_1)
	s_cmp_lg_u32 s15, s2
	s_cselect_b32 s4, -1, 0
	s_cmp_eq_u32 s15, s2
	s_cselect_b32 s14, -1, 0
	s_lshl_b32 s12, s15, 8
	s_sub_i32 s2, s16, s12
	s_delay_alu instid0(SALU_CYCLE_1) | instskip(NEXT) | instid1(VALU_DEP_1)
	v_cmp_gt_u32_e64 s3, s2, v0
	s_or_b32 s2, s4, s3
	s_delay_alu instid0(SALU_CYCLE_1)
	s_and_saveexec_b32 s4, s2
	s_cbranch_execz .LBB118_26
; %bb.1:
	s_load_b256 s[4:11], s[0:1], 0x0
	s_mov_b32 s13, 0
	v_lshlrev_b32_e32 v3, 3, v0
	s_lshl_b64 s[18:19], s[12:13], 3
	v_add_nc_u32_e32 v7, s12, v0
	s_waitcnt lgkmcnt(0)
	s_add_u32 s20, s4, s18
	s_addc_u32 s21, s5, s19
	s_add_u32 s8, s8, s18
	s_addc_u32 s9, s9, s19
	s_lshr_b32 s2, s17, 8
	s_clause 0x1
	global_load_b64 v[1:2], v3, s[8:9]
	global_load_b64 v[3:4], v3, s[20:21]
	s_sub_i32 s8, 0, s2
	s_delay_alu instid0(SALU_CYCLE_1) | instskip(NEXT) | instid1(SALU_CYCLE_1)
	s_and_b32 s8, s15, s8
	s_and_b32 s2, s8, s2
	s_lshl_b32 s15, s8, 8
	s_sub_i32 s8, 0, s17
	s_cmp_eq_u32 s2, 0
	s_cselect_b32 s2, -1, 0
	s_delay_alu instid0(SALU_CYCLE_1) | instskip(SKIP_1) | instid1(SALU_CYCLE_1)
	s_and_b32 s9, s2, exec_lo
	s_cselect_b32 s8, s17, s8
	s_add_i32 s8, s8, s15
	s_delay_alu instid0(SALU_CYCLE_1)
	s_cmp_lt_u32 s8, s16
	s_cbranch_scc1 .LBB118_6
; %bb.2:
	s_and_b32 vcc_lo, exec_lo, s14
	s_cbranch_vccz .LBB118_7
; %bb.3:
	s_mov_b32 s9, 0
	s_mov_b32 s12, exec_lo
                                        ; implicit-def: $vgpr5_vgpr6
	v_cmpx_gt_u32_e64 s16, v7
	s_cbranch_execz .LBB118_5
; %bb.4:
	v_mov_b32_e32 v8, 0
	s_mov_b32 s13, exec_lo
	s_delay_alu instid0(VALU_DEP_1) | instskip(NEXT) | instid1(VALU_DEP_1)
	v_lshlrev_b64 v[5:6], 3, v[7:8]
	v_add_co_u32 v8, vcc_lo, s6, v5
	s_delay_alu instid0(VALU_DEP_2)
	v_add_co_ci_u32_e32 v9, vcc_lo, s7, v6, vcc_lo
	v_add_co_u32 v5, vcc_lo, s10, v5
	v_add_co_ci_u32_e32 v6, vcc_lo, s11, v6, vcc_lo
	s_waitcnt vmcnt(0)
	global_store_b64 v[8:9], v[3:4], off
.LBB118_5:
	s_or_b32 exec_lo, exec_lo, s12
	s_delay_alu instid0(SALU_CYCLE_1)
	s_and_b32 vcc_lo, exec_lo, s9
	s_cbranch_vccnz .LBB118_8
	s_branch .LBB118_9
.LBB118_6:
                                        ; implicit-def: $vgpr5_vgpr6
	s_cbranch_execnz .LBB118_10
	s_branch .LBB118_24
.LBB118_7:
                                        ; implicit-def: $vgpr5_vgpr6
	s_cbranch_execz .LBB118_9
.LBB118_8:
	v_mov_b32_e32 v8, 0
	s_or_b32 s13, s13, exec_lo
	s_delay_alu instid0(VALU_DEP_1) | instskip(NEXT) | instid1(VALU_DEP_1)
	v_lshlrev_b64 v[5:6], 3, v[7:8]
	v_add_co_u32 v8, vcc_lo, s6, v5
	s_delay_alu instid0(VALU_DEP_2)
	v_add_co_ci_u32_e32 v9, vcc_lo, s7, v6, vcc_lo
	v_add_co_u32 v5, vcc_lo, s10, v5
	v_add_co_ci_u32_e32 v6, vcc_lo, s11, v6, vcc_lo
	s_waitcnt vmcnt(0)
	global_store_b64 v[8:9], v[3:4], off
.LBB118_9:
	s_branch .LBB118_24
.LBB118_10:
	s_load_b64 s[0:1], s[0:1], 0x28
	s_min_u32 s9, s8, s16
	s_and_b32 vcc_lo, exec_lo, s14
	s_add_i32 s12, s15, s9
	s_delay_alu instid0(SALU_CYCLE_1) | instskip(SKIP_2) | instid1(VALU_DEP_1)
	v_subrev_nc_u32_e32 v0, s12, v7
	s_min_u32 s12, s15, s9
	s_add_i32 s15, s9, s17
	v_add_nc_u32_e32 v0, s12, v0
	s_min_u32 s12, s15, s16
	s_cbranch_vccz .LBB118_18
; %bb.11:
                                        ; implicit-def: $vgpr5_vgpr6
	s_and_saveexec_b32 s14, s3
	s_cbranch_execz .LBB118_17
; %bb.12:
	v_mov_b32_e32 v9, s9
	s_cmp_ge_u32 s8, s12
	s_cbranch_scc1 .LBB118_16
; %bb.13:
	s_waitcnt vmcnt(0) lgkmcnt(0)
	v_dual_mov_b32 v9, s9 :: v_dual_and_b32 v6, s1, v4
	v_dual_mov_b32 v10, s12 :: v_dual_and_b32 v5, s0, v3
	v_mov_b32_e32 v8, 0
	s_mov_b32 s3, 0
	.p2align	6
.LBB118_14:                             ; =>This Inner Loop Header: Depth=1
	s_delay_alu instid0(VALU_DEP_2) | instskip(NEXT) | instid1(VALU_DEP_1)
	v_add_nc_u32_e32 v7, v9, v10
	v_lshrrev_b32_e32 v7, 1, v7
	s_delay_alu instid0(VALU_DEP_1) | instskip(NEXT) | instid1(VALU_DEP_1)
	v_lshlrev_b64 v[11:12], 3, v[7:8]
	v_add_co_u32 v11, vcc_lo, s4, v11
	s_delay_alu instid0(VALU_DEP_2) | instskip(SKIP_4) | instid1(VALU_DEP_1)
	v_add_co_ci_u32_e32 v12, vcc_lo, s5, v12, vcc_lo
	global_load_b64 v[11:12], v[11:12], off
	s_waitcnt vmcnt(0)
	v_and_b32_e32 v12, s1, v12
	v_and_b32_e32 v11, s0, v11
	v_cmp_gt_i64_e32 vcc_lo, v[5:6], v[11:12]
	v_cndmask_b32_e64 v13, 0, 1, vcc_lo
	v_cmp_le_i64_e32 vcc_lo, v[11:12], v[5:6]
	v_add_nc_u32_e32 v12, 1, v7
	v_cndmask_b32_e64 v11, 0, 1, vcc_lo
	s_delay_alu instid0(VALU_DEP_1) | instskip(NEXT) | instid1(VALU_DEP_1)
	v_cndmask_b32_e64 v11, v11, v13, s2
	v_and_b32_e32 v11, 1, v11
	s_delay_alu instid0(VALU_DEP_1) | instskip(SKIP_1) | instid1(VALU_DEP_1)
	v_cmp_eq_u32_e32 vcc_lo, 1, v11
	v_dual_cndmask_b32 v10, v7, v10 :: v_dual_cndmask_b32 v9, v9, v12
	v_cmp_ge_u32_e32 vcc_lo, v9, v10
	s_or_b32 s3, vcc_lo, s3
	s_delay_alu instid0(SALU_CYCLE_1)
	s_and_not1_b32 exec_lo, exec_lo, s3
	s_cbranch_execnz .LBB118_14
; %bb.15:
	s_or_b32 exec_lo, exec_lo, s3
.LBB118_16:
	s_delay_alu instid0(VALU_DEP_1) | instskip(SKIP_1) | instid1(VALU_DEP_1)
	v_dual_mov_b32 v6, 0 :: v_dual_add_nc_u32 v5, v9, v0
	s_or_b32 s13, s13, exec_lo
	v_lshlrev_b64 v[5:6], 3, v[5:6]
	s_delay_alu instid0(VALU_DEP_1) | instskip(NEXT) | instid1(VALU_DEP_2)
	v_add_co_u32 v7, vcc_lo, s6, v5
	v_add_co_ci_u32_e32 v8, vcc_lo, s7, v6, vcc_lo
	v_add_co_u32 v5, vcc_lo, s10, v5
	v_add_co_ci_u32_e32 v6, vcc_lo, s11, v6, vcc_lo
	s_waitcnt vmcnt(0)
	global_store_b64 v[7:8], v[3:4], off
.LBB118_17:
	s_or_b32 exec_lo, exec_lo, s14
	s_branch .LBB118_24
.LBB118_18:
                                        ; implicit-def: $vgpr5_vgpr6
	s_cbranch_execz .LBB118_24
; %bb.19:
	v_mov_b32_e32 v9, s9
	s_cmp_ge_u32 s8, s12
	s_cbranch_scc1 .LBB118_23
; %bb.20:
	s_waitcnt vmcnt(0) lgkmcnt(0)
	v_dual_mov_b32 v9, s9 :: v_dual_and_b32 v6, s1, v4
	v_dual_mov_b32 v10, s12 :: v_dual_and_b32 v5, s0, v3
	v_mov_b32_e32 v8, 0
	s_mov_b32 s3, 0
	.p2align	6
.LBB118_21:                             ; =>This Inner Loop Header: Depth=1
	s_delay_alu instid0(VALU_DEP_2) | instskip(NEXT) | instid1(VALU_DEP_1)
	v_add_nc_u32_e32 v7, v9, v10
	v_lshrrev_b32_e32 v7, 1, v7
	s_delay_alu instid0(VALU_DEP_1) | instskip(NEXT) | instid1(VALU_DEP_1)
	v_lshlrev_b64 v[11:12], 3, v[7:8]
	v_add_co_u32 v11, vcc_lo, s4, v11
	s_delay_alu instid0(VALU_DEP_2) | instskip(SKIP_4) | instid1(VALU_DEP_1)
	v_add_co_ci_u32_e32 v12, vcc_lo, s5, v12, vcc_lo
	global_load_b64 v[11:12], v[11:12], off
	s_waitcnt vmcnt(0)
	v_and_b32_e32 v12, s1, v12
	v_and_b32_e32 v11, s0, v11
	v_cmp_gt_i64_e32 vcc_lo, v[5:6], v[11:12]
	v_cndmask_b32_e64 v13, 0, 1, vcc_lo
	v_cmp_le_i64_e32 vcc_lo, v[11:12], v[5:6]
	v_add_nc_u32_e32 v12, 1, v7
	v_cndmask_b32_e64 v11, 0, 1, vcc_lo
	s_delay_alu instid0(VALU_DEP_1) | instskip(NEXT) | instid1(VALU_DEP_1)
	v_cndmask_b32_e64 v11, v11, v13, s2
	v_and_b32_e32 v11, 1, v11
	s_delay_alu instid0(VALU_DEP_1) | instskip(SKIP_1) | instid1(VALU_DEP_1)
	v_cmp_eq_u32_e32 vcc_lo, 1, v11
	v_dual_cndmask_b32 v10, v7, v10 :: v_dual_cndmask_b32 v9, v9, v12
	v_cmp_ge_u32_e32 vcc_lo, v9, v10
	s_or_b32 s3, vcc_lo, s3
	s_delay_alu instid0(SALU_CYCLE_1)
	s_and_not1_b32 exec_lo, exec_lo, s3
	s_cbranch_execnz .LBB118_21
; %bb.22:
	s_or_b32 exec_lo, exec_lo, s3
.LBB118_23:
	s_delay_alu instid0(VALU_DEP_1) | instskip(SKIP_1) | instid1(VALU_DEP_1)
	v_dual_mov_b32 v6, 0 :: v_dual_add_nc_u32 v5, v9, v0
	s_mov_b32 s13, -1
	v_lshlrev_b64 v[5:6], 3, v[5:6]
	s_delay_alu instid0(VALU_DEP_1) | instskip(NEXT) | instid1(VALU_DEP_2)
	v_add_co_u32 v7, vcc_lo, s6, v5
	v_add_co_ci_u32_e32 v8, vcc_lo, s7, v6, vcc_lo
	v_add_co_u32 v5, vcc_lo, s10, v5
	v_add_co_ci_u32_e32 v6, vcc_lo, s11, v6, vcc_lo
	s_waitcnt vmcnt(0)
	global_store_b64 v[7:8], v[3:4], off
.LBB118_24:
	s_and_b32 exec_lo, exec_lo, s13
	s_cbranch_execz .LBB118_26
; %bb.25:
	s_waitcnt vmcnt(1)
	global_store_b64 v[5:6], v[1:2], off
.LBB118_26:
	s_nop 0
	s_sendmsg sendmsg(MSG_DEALLOC_VGPRS)
	s_endpgm
	.section	.rodata,"a",@progbits
	.p2align	6, 0x0
	.amdhsa_kernel _ZN7rocprim17ROCPRIM_304000_NS6detail33device_block_merge_oddeven_kernelINS1_37wrapped_merge_sort_block_merge_configINS0_14default_configElN2at4cuda3cub6detail10OpaqueTypeILi8EEEEEPlSC_PSA_SD_jNS1_19radix_merge_compareILb0ELb1ElNS0_19identity_decomposerEEEEEvT0_T1_T2_T3_T4_SL_T5_
		.amdhsa_group_segment_fixed_size 0
		.amdhsa_private_segment_fixed_size 0
		.amdhsa_kernarg_size 48
		.amdhsa_user_sgpr_count 15
		.amdhsa_user_sgpr_dispatch_ptr 0
		.amdhsa_user_sgpr_queue_ptr 0
		.amdhsa_user_sgpr_kernarg_segment_ptr 1
		.amdhsa_user_sgpr_dispatch_id 0
		.amdhsa_user_sgpr_private_segment_size 0
		.amdhsa_wavefront_size32 1
		.amdhsa_uses_dynamic_stack 0
		.amdhsa_enable_private_segment 0
		.amdhsa_system_sgpr_workgroup_id_x 1
		.amdhsa_system_sgpr_workgroup_id_y 0
		.amdhsa_system_sgpr_workgroup_id_z 0
		.amdhsa_system_sgpr_workgroup_info 0
		.amdhsa_system_vgpr_workitem_id 0
		.amdhsa_next_free_vgpr 14
		.amdhsa_next_free_sgpr 22
		.amdhsa_reserve_vcc 1
		.amdhsa_float_round_mode_32 0
		.amdhsa_float_round_mode_16_64 0
		.amdhsa_float_denorm_mode_32 3
		.amdhsa_float_denorm_mode_16_64 3
		.amdhsa_dx10_clamp 1
		.amdhsa_ieee_mode 1
		.amdhsa_fp16_overflow 0
		.amdhsa_workgroup_processor_mode 1
		.amdhsa_memory_ordered 1
		.amdhsa_forward_progress 0
		.amdhsa_shared_vgpr_count 0
		.amdhsa_exception_fp_ieee_invalid_op 0
		.amdhsa_exception_fp_denorm_src 0
		.amdhsa_exception_fp_ieee_div_zero 0
		.amdhsa_exception_fp_ieee_overflow 0
		.amdhsa_exception_fp_ieee_underflow 0
		.amdhsa_exception_fp_ieee_inexact 0
		.amdhsa_exception_int_div_zero 0
	.end_amdhsa_kernel
	.section	.text._ZN7rocprim17ROCPRIM_304000_NS6detail33device_block_merge_oddeven_kernelINS1_37wrapped_merge_sort_block_merge_configINS0_14default_configElN2at4cuda3cub6detail10OpaqueTypeILi8EEEEEPlSC_PSA_SD_jNS1_19radix_merge_compareILb0ELb1ElNS0_19identity_decomposerEEEEEvT0_T1_T2_T3_T4_SL_T5_,"axG",@progbits,_ZN7rocprim17ROCPRIM_304000_NS6detail33device_block_merge_oddeven_kernelINS1_37wrapped_merge_sort_block_merge_configINS0_14default_configElN2at4cuda3cub6detail10OpaqueTypeILi8EEEEEPlSC_PSA_SD_jNS1_19radix_merge_compareILb0ELb1ElNS0_19identity_decomposerEEEEEvT0_T1_T2_T3_T4_SL_T5_,comdat
.Lfunc_end118:
	.size	_ZN7rocprim17ROCPRIM_304000_NS6detail33device_block_merge_oddeven_kernelINS1_37wrapped_merge_sort_block_merge_configINS0_14default_configElN2at4cuda3cub6detail10OpaqueTypeILi8EEEEEPlSC_PSA_SD_jNS1_19radix_merge_compareILb0ELb1ElNS0_19identity_decomposerEEEEEvT0_T1_T2_T3_T4_SL_T5_, .Lfunc_end118-_ZN7rocprim17ROCPRIM_304000_NS6detail33device_block_merge_oddeven_kernelINS1_37wrapped_merge_sort_block_merge_configINS0_14default_configElN2at4cuda3cub6detail10OpaqueTypeILi8EEEEEPlSC_PSA_SD_jNS1_19radix_merge_compareILb0ELb1ElNS0_19identity_decomposerEEEEEvT0_T1_T2_T3_T4_SL_T5_
                                        ; -- End function
	.section	.AMDGPU.csdata,"",@progbits
; Kernel info:
; codeLenInByte = 980
; NumSgprs: 24
; NumVgprs: 14
; ScratchSize: 0
; MemoryBound: 0
; FloatMode: 240
; IeeeMode: 1
; LDSByteSize: 0 bytes/workgroup (compile time only)
; SGPRBlocks: 2
; VGPRBlocks: 1
; NumSGPRsForWavesPerEU: 24
; NumVGPRsForWavesPerEU: 14
; Occupancy: 16
; WaveLimiterHint : 0
; COMPUTE_PGM_RSRC2:SCRATCH_EN: 0
; COMPUTE_PGM_RSRC2:USER_SGPR: 15
; COMPUTE_PGM_RSRC2:TRAP_HANDLER: 0
; COMPUTE_PGM_RSRC2:TGID_X_EN: 1
; COMPUTE_PGM_RSRC2:TGID_Y_EN: 0
; COMPUTE_PGM_RSRC2:TGID_Z_EN: 0
; COMPUTE_PGM_RSRC2:TIDIG_COMP_CNT: 0
	.section	.text._ZN7rocprim17ROCPRIM_304000_NS6detail26onesweep_histograms_kernelINS1_34wrapped_radix_sort_onesweep_configINS0_14default_configElN2at4cuda3cub6detail10OpaqueTypeILi8EEEEELb0EPKlmNS0_19identity_decomposerEEEvT1_PT2_SG_SG_T3_jj,"axG",@progbits,_ZN7rocprim17ROCPRIM_304000_NS6detail26onesweep_histograms_kernelINS1_34wrapped_radix_sort_onesweep_configINS0_14default_configElN2at4cuda3cub6detail10OpaqueTypeILi8EEEEELb0EPKlmNS0_19identity_decomposerEEEvT1_PT2_SG_SG_T3_jj,comdat
	.protected	_ZN7rocprim17ROCPRIM_304000_NS6detail26onesweep_histograms_kernelINS1_34wrapped_radix_sort_onesweep_configINS0_14default_configElN2at4cuda3cub6detail10OpaqueTypeILi8EEEEELb0EPKlmNS0_19identity_decomposerEEEvT1_PT2_SG_SG_T3_jj ; -- Begin function _ZN7rocprim17ROCPRIM_304000_NS6detail26onesweep_histograms_kernelINS1_34wrapped_radix_sort_onesweep_configINS0_14default_configElN2at4cuda3cub6detail10OpaqueTypeILi8EEEEELb0EPKlmNS0_19identity_decomposerEEEvT1_PT2_SG_SG_T3_jj
	.globl	_ZN7rocprim17ROCPRIM_304000_NS6detail26onesweep_histograms_kernelINS1_34wrapped_radix_sort_onesweep_configINS0_14default_configElN2at4cuda3cub6detail10OpaqueTypeILi8EEEEELb0EPKlmNS0_19identity_decomposerEEEvT1_PT2_SG_SG_T3_jj
	.p2align	8
	.type	_ZN7rocprim17ROCPRIM_304000_NS6detail26onesweep_histograms_kernelINS1_34wrapped_radix_sort_onesweep_configINS0_14default_configElN2at4cuda3cub6detail10OpaqueTypeILi8EEEEELb0EPKlmNS0_19identity_decomposerEEEvT1_PT2_SG_SG_T3_jj,@function
_ZN7rocprim17ROCPRIM_304000_NS6detail26onesweep_histograms_kernelINS1_34wrapped_radix_sort_onesweep_configINS0_14default_configElN2at4cuda3cub6detail10OpaqueTypeILi8EEEEELb0EPKlmNS0_19identity_decomposerEEEvT1_PT2_SG_SG_T3_jj: ; @_ZN7rocprim17ROCPRIM_304000_NS6detail26onesweep_histograms_kernelINS1_34wrapped_radix_sort_onesweep_configINS0_14default_configElN2at4cuda3cub6detail10OpaqueTypeILi8EEEEELb0EPKlmNS0_19identity_decomposerEEEvT1_PT2_SG_SG_T3_jj
; %bb.0:
	s_clause 0x1
	s_load_b256 s[4:11], s[0:1], 0x0
	s_load_b64 s[12:13], s[0:1], 0x24
	s_mov_b32 s2, s15
	s_mov_b32 s3, 0
	v_lshlrev_b32_e32 v12, 3, v0
	s_lshl_b64 s[0:1], s[2:3], 15
	s_waitcnt lgkmcnt(0)
	v_cmp_ge_u64_e64 s9, s[2:3], s[10:11]
	s_add_u32 s4, s4, s0
	s_addc_u32 s5, s5, s1
	s_mov_b32 s0, -1
	s_delay_alu instid0(VALU_DEP_1)
	s_and_b32 vcc_lo, exec_lo, s9
	s_cbranch_vccz .LBB119_32
; %bb.1:
	s_lshl_b32 s0, s10, 12
                                        ; implicit-def: $vgpr1_vgpr2_vgpr3_vgpr4_vgpr5_vgpr6_vgpr7_vgpr8
	s_delay_alu instid0(SALU_CYCLE_1) | instskip(SKIP_1) | instid1(VALU_DEP_1)
	s_sub_i32 s3, s8, s0
	v_add_co_u32 v9, s0, s4, v12
	v_add_co_ci_u32_e64 v10, null, s5, 0, s0
	v_cmp_gt_u32_e64 s2, s3, v0
	s_delay_alu instid0(VALU_DEP_1)
	s_and_saveexec_b32 s0, s2
	s_cbranch_execz .LBB119_3
; %bb.2:
	global_load_b64 v[1:2], v[9:10], off
.LBB119_3:
	s_or_b32 exec_lo, exec_lo, s0
	v_or_b32_e32 v11, 0x400, v0
	s_delay_alu instid0(VALU_DEP_1) | instskip(NEXT) | instid1(VALU_DEP_1)
	v_cmp_gt_u32_e64 s1, s3, v11
	s_and_saveexec_b32 s0, s1
	s_cbranch_execz .LBB119_5
; %bb.4:
	v_add_co_u32 v3, vcc_lo, 0x2000, v9
	v_add_co_ci_u32_e32 v4, vcc_lo, 0, v10, vcc_lo
	global_load_b64 v[3:4], v[3:4], off
.LBB119_5:
	s_or_b32 exec_lo, exec_lo, s0
	v_or_b32_e32 v11, 0x800, v0
	s_delay_alu instid0(VALU_DEP_1) | instskip(NEXT) | instid1(VALU_DEP_1)
	v_cmp_gt_u32_e64 s0, s3, v11
	s_and_saveexec_b32 s8, s0
	s_cbranch_execz .LBB119_7
; %bb.6:
	v_add_co_u32 v5, vcc_lo, 0x4000, v9
	v_add_co_ci_u32_e32 v6, vcc_lo, 0, v10, vcc_lo
	global_load_b64 v[5:6], v[5:6], off
.LBB119_7:
	s_or_b32 exec_lo, exec_lo, s8
	v_or_b32_e32 v11, 0xc00, v0
	s_delay_alu instid0(VALU_DEP_1)
	v_cmp_gt_u32_e32 vcc_lo, s3, v11
	s_and_saveexec_b32 s8, vcc_lo
	s_cbranch_execz .LBB119_9
; %bb.8:
	v_add_co_u32 v7, s3, 0x6000, v9
	s_delay_alu instid0(VALU_DEP_1)
	v_add_co_ci_u32_e64 v8, s3, 0, v10, s3
	global_load_b64 v[7:8], v[7:8], off
.LBB119_9:
	s_or_b32 exec_lo, exec_lo, s8
	v_dual_mov_b32 v10, 0 :: v_dual_lshlrev_b32 v9, 2, v0
	s_cmp_gt_u32 s13, s12
	ds_store_2addr_stride64_b32 v9, v10, v10 offset1:16
	ds_store_2addr_stride64_b32 v9, v10, v10 offset0:32 offset1:48
	ds_store_2addr_stride64_b32 v9, v10, v10 offset0:64 offset1:80
	;; [unrolled: 1-line block ×3, first 2 shown]
	s_cselect_b32 s3, -1, 0
	s_cmp_le_u32 s13, s12
	s_waitcnt vmcnt(0) lgkmcnt(0)
	s_barrier
	buffer_gl0_inv
	s_cbranch_scc1 .LBB119_26
; %bb.10:
	v_dual_mov_b32 v10, 1 :: v_dual_and_b32 v9, 3, v0
	v_xor_b32_e32 v2, 0x80000000, v2
	s_sub_i32 s8, s13, s12
	s_mov_b32 s10, s12
	s_delay_alu instid0(VALU_DEP_2) | instskip(SKIP_1) | instid1(VALU_DEP_1)
	v_lshlrev_b32_e32 v9, 2, v9
	s_mov_b32 s9, s8
	v_mov_b32_e32 v11, v9
	s_branch .LBB119_12
	.p2align	6
.LBB119_11:                             ;   in Loop: Header=BB119_12 Depth=1
	s_or_b32 exec_lo, exec_lo, s11
	v_add_nc_u32_e32 v11, 0x1000, v11
	s_add_i32 s10, s10, 8
	s_add_i32 s9, s9, -8
	s_cmp_lt_u32 s10, s13
	s_cbranch_scc0 .LBB119_14
.LBB119_12:                             ; =>This Inner Loop Header: Depth=1
	s_and_saveexec_b32 s11, s2
	s_cbranch_execz .LBB119_11
; %bb.13:                               ;   in Loop: Header=BB119_12 Depth=1
	v_lshrrev_b64 v[13:14], s10, v[1:2]
	s_min_u32 s14, s9, 8
	s_delay_alu instid0(VALU_DEP_1) | instid1(SALU_CYCLE_1)
	v_bfe_u32 v13, v13, 0, s14
	s_delay_alu instid0(VALU_DEP_1)
	v_lshl_add_u32 v13, v13, 4, v11
	ds_add_u32 v13, v10
	s_branch .LBB119_11
.LBB119_14:
	v_xor_b32_e32 v4, 0x80000000, v4
	v_dual_mov_b32 v1, 1 :: v_dual_mov_b32 v2, v9
	s_mov_b32 s2, s8
	s_mov_b32 s9, s12
	s_branch .LBB119_16
	.p2align	6
.LBB119_15:                             ;   in Loop: Header=BB119_16 Depth=1
	s_or_b32 exec_lo, exec_lo, s10
	v_add_nc_u32_e32 v2, 0x1000, v2
	s_add_i32 s9, s9, 8
	s_add_i32 s2, s2, -8
	s_cmp_lt_u32 s9, s13
	s_cbranch_scc0 .LBB119_18
.LBB119_16:                             ; =>This Inner Loop Header: Depth=1
	s_and_saveexec_b32 s10, s1
	s_cbranch_execz .LBB119_15
; %bb.17:                               ;   in Loop: Header=BB119_16 Depth=1
	v_lshrrev_b64 v[10:11], s9, v[3:4]
	s_min_u32 s11, s2, 8
	s_delay_alu instid0(VALU_DEP_1) | instid1(SALU_CYCLE_1)
	v_bfe_u32 v10, v10, 0, s11
	s_delay_alu instid0(VALU_DEP_1)
	v_lshl_add_u32 v10, v10, 4, v2
	ds_add_u32 v10, v1
	s_branch .LBB119_15
.LBB119_18:
	v_xor_b32_e32 v6, 0x80000000, v6
	v_dual_mov_b32 v1, 1 :: v_dual_mov_b32 v2, v9
	s_mov_b32 s1, s8
	s_mov_b32 s2, s12
	s_branch .LBB119_20
	.p2align	6
.LBB119_19:                             ;   in Loop: Header=BB119_20 Depth=1
	s_or_b32 exec_lo, exec_lo, s9
	v_add_nc_u32_e32 v2, 0x1000, v2
	s_add_i32 s2, s2, 8
	s_add_i32 s1, s1, -8
	s_cmp_lt_u32 s2, s13
	s_cbranch_scc0 .LBB119_22
.LBB119_20:                             ; =>This Inner Loop Header: Depth=1
	s_and_saveexec_b32 s9, s0
	s_cbranch_execz .LBB119_19
; %bb.21:                               ;   in Loop: Header=BB119_20 Depth=1
	v_lshrrev_b64 v[3:4], s2, v[5:6]
	s_min_u32 s10, s1, 8
	s_delay_alu instid0(VALU_DEP_1) | instid1(SALU_CYCLE_1)
	v_bfe_u32 v3, v3, 0, s10
	s_delay_alu instid0(VALU_DEP_1)
	v_lshl_add_u32 v3, v3, 4, v2
	ds_add_u32 v3, v1
	s_branch .LBB119_19
.LBB119_22:
	v_xor_b32_e32 v8, 0x80000000, v8
	v_mov_b32_e32 v1, 1
	s_mov_b32 s0, s12
	s_branch .LBB119_24
	.p2align	6
.LBB119_23:                             ;   in Loop: Header=BB119_24 Depth=1
	s_or_b32 exec_lo, exec_lo, s1
	v_add_nc_u32_e32 v9, 0x1000, v9
	s_add_i32 s0, s0, 8
	s_add_i32 s8, s8, -8
	s_cmp_lt_u32 s0, s13
	s_cbranch_scc0 .LBB119_26
.LBB119_24:                             ; =>This Inner Loop Header: Depth=1
	s_and_saveexec_b32 s1, vcc_lo
	s_cbranch_execz .LBB119_23
; %bb.25:                               ;   in Loop: Header=BB119_24 Depth=1
	v_lshrrev_b64 v[2:3], s0, v[7:8]
	s_min_u32 s2, s8, 8
	s_delay_alu instid0(VALU_DEP_1) | instid1(SALU_CYCLE_1)
	v_bfe_u32 v2, v2, 0, s2
	s_delay_alu instid0(VALU_DEP_1)
	v_lshl_add_u32 v2, v2, 4, v9
	ds_add_u32 v2, v1
	s_branch .LBB119_23
.LBB119_26:
	s_and_b32 vcc_lo, exec_lo, s3
	s_waitcnt lgkmcnt(0)
	s_barrier
	buffer_gl0_inv
	s_cbranch_vccz .LBB119_31
; %bb.27:
	v_cmp_gt_u32_e32 vcc_lo, 0x100, v0
	v_dual_mov_b32 v2, 0 :: v_dual_lshlrev_b32 v3, 4, v0
	v_mov_b32_e32 v1, v0
	s_mov_b32 s1, s12
	s_set_inst_prefetch_distance 0x1
	s_branch .LBB119_29
	.p2align	6
.LBB119_28:                             ;   in Loop: Header=BB119_29 Depth=1
	s_or_b32 exec_lo, exec_lo, s2
	v_add_nc_u32_e32 v1, 0x100, v1
	v_add_nc_u32_e32 v3, 0x1000, v3
	s_add_i32 s1, s1, 8
	s_delay_alu instid0(SALU_CYCLE_1)
	s_cmp_lt_u32 s1, s13
	s_cbranch_scc0 .LBB119_31
.LBB119_29:                             ; =>This Inner Loop Header: Depth=1
	s_and_saveexec_b32 s2, vcc_lo
	s_cbranch_execz .LBB119_28
; %bb.30:                               ;   in Loop: Header=BB119_29 Depth=1
	ds_load_2addr_b32 v[4:5], v3 offset1:1
	ds_load_2addr_b32 v[6:7], v3 offset0:2 offset1:3
	v_lshlrev_b64 v[8:9], 3, v[1:2]
	s_waitcnt lgkmcnt(1)
	v_add_nc_u32_e32 v10, v5, v4
	s_delay_alu instid0(VALU_DEP_2) | instskip(NEXT) | instid1(VALU_DEP_1)
	v_add_co_u32 v4, s0, s6, v8
	v_add_co_ci_u32_e64 v5, s0, s7, v9, s0
	s_waitcnt lgkmcnt(0)
	s_delay_alu instid0(VALU_DEP_3)
	v_add3_u32 v6, v10, v6, v7
	v_mov_b32_e32 v7, v2
	global_atomic_add_u64 v[4:5], v[6:7], off
	s_branch .LBB119_28
.LBB119_31:
	s_set_inst_prefetch_distance 0x2
	s_mov_b32 s0, 0
.LBB119_32:
	s_delay_alu instid0(SALU_CYCLE_1)
	s_and_b32 vcc_lo, exec_lo, s0
	s_cbranch_vccz .LBB119_52
; %bb.33:
	v_add_co_u32 v5, s0, s4, v12
	s_delay_alu instid0(VALU_DEP_1) | instskip(SKIP_1) | instid1(VALU_DEP_2)
	v_add_co_ci_u32_e64 v6, null, s5, 0, s0
	s_cmp_lg_u32 s12, 0
	v_add_co_u32 v1, vcc_lo, 0x2000, v5
	s_delay_alu instid0(VALU_DEP_2)
	v_add_co_ci_u32_e32 v2, vcc_lo, 0, v6, vcc_lo
	v_add_co_u32 v3, vcc_lo, 0x4000, v5
	v_add_co_ci_u32_e32 v4, vcc_lo, 0, v6, vcc_lo
	v_add_co_u32 v10, vcc_lo, 0x6000, v5
	v_add_co_ci_u32_e32 v11, vcc_lo, 0, v6, vcc_lo
	s_clause 0x3
	global_load_b64 v[6:7], v[1:2], off
	global_load_b64 v[3:4], v[3:4], off
	global_load_b64 v[8:9], v12, s[4:5]
	global_load_b64 v[1:2], v[10:11], off
	s_cselect_b32 s0, -1, 0
	s_cmp_lg_u32 s13, 64
	v_lshlrev_b32_e32 v13, 2, v0
	s_cselect_b32 s1, -1, 0
	s_delay_alu instid0(SALU_CYCLE_1) | instskip(NEXT) | instid1(SALU_CYCLE_1)
	s_or_b32 s0, s0, s1
	s_and_b32 vcc_lo, exec_lo, s0
	s_mov_b32 s0, -1
	s_cbranch_vccz .LBB119_49
; %bb.34:
	v_mov_b32_e32 v5, 0
	s_cmp_gt_u32 s13, s12
	ds_store_2addr_stride64_b32 v13, v5, v5 offset1:16
	ds_store_2addr_stride64_b32 v13, v5, v5 offset0:32 offset1:48
	ds_store_2addr_stride64_b32 v13, v5, v5 offset0:64 offset1:80
	;; [unrolled: 1-line block ×3, first 2 shown]
	s_cselect_b32 s0, -1, 0
	s_cmp_le_u32 s13, s12
	s_waitcnt vmcnt(0) lgkmcnt(0)
	s_waitcnt_vscnt null, 0x0
	s_barrier
	buffer_gl0_inv
	s_cbranch_scc1 .LBB119_43
; %bb.35:
	v_dual_mov_b32 v10, v8 :: v_dual_and_b32 v5, 3, v0
	v_xor_b32_e32 v11, 0x80000000, v9
	s_sub_i32 s1, s13, s12
	s_mov_b32 s3, s12
	s_delay_alu instid0(VALU_DEP_2) | instskip(SKIP_1) | instid1(VALU_DEP_1)
	v_dual_mov_b32 v14, 1 :: v_dual_lshlrev_b32 v5, 2, v5
	s_mov_b32 s2, s1
	v_mov_b32_e32 v15, v5
.LBB119_36:                             ; =>This Inner Loop Header: Depth=1
	v_lshrrev_b64 v[16:17], s3, v[10:11]
	s_min_u32 s4, s2, 8
	s_add_i32 s3, s3, 8
	s_add_i32 s2, s2, -8
	s_cmp_lt_u32 s3, s13
	s_delay_alu instid0(VALU_DEP_1) | instskip(NEXT) | instid1(VALU_DEP_1)
	v_bfe_u32 v16, v16, 0, s4
	v_lshl_add_u32 v16, v16, 4, v15
	v_add_nc_u32_e32 v15, 0x1000, v15
	ds_add_u32 v16, v14
	s_cbranch_scc1 .LBB119_36
; %bb.37:
	v_xor_b32_e32 v11, 0x80000000, v7
	v_dual_mov_b32 v10, v6 :: v_dual_mov_b32 v15, v5
	v_mov_b32_e32 v14, 1
	s_mov_b32 s2, s1
	s_mov_b32 s3, s12
.LBB119_38:                             ; =>This Inner Loop Header: Depth=1
	s_delay_alu instid0(VALU_DEP_2) | instid1(SALU_CYCLE_1)
	v_lshrrev_b64 v[16:17], s3, v[10:11]
	s_min_u32 s4, s2, 8
	s_add_i32 s3, s3, 8
	s_add_i32 s2, s2, -8
	s_cmp_lt_u32 s3, s13
	s_delay_alu instid0(VALU_DEP_1) | instskip(NEXT) | instid1(VALU_DEP_1)
	v_bfe_u32 v16, v16, 0, s4
	v_lshl_add_u32 v16, v16, 4, v15
	v_add_nc_u32_e32 v15, 0x1000, v15
	ds_add_u32 v16, v14
	s_cbranch_scc1 .LBB119_38
; %bb.39:
	v_xor_b32_e32 v11, 0x80000000, v4
	v_dual_mov_b32 v10, v3 :: v_dual_mov_b32 v15, v5
	v_mov_b32_e32 v14, 1
	s_mov_b32 s2, s1
	s_mov_b32 s3, s12
.LBB119_40:                             ; =>This Inner Loop Header: Depth=1
	s_delay_alu instid0(VALU_DEP_2) | instid1(SALU_CYCLE_1)
	v_lshrrev_b64 v[16:17], s3, v[10:11]
	s_min_u32 s4, s2, 8
	s_add_i32 s3, s3, 8
	s_add_i32 s2, s2, -8
	s_cmp_lt_u32 s3, s13
	s_delay_alu instid0(VALU_DEP_1) | instskip(NEXT) | instid1(VALU_DEP_1)
	v_bfe_u32 v16, v16, 0, s4
	v_lshl_add_u32 v16, v16, 4, v15
	v_add_nc_u32_e32 v15, 0x1000, v15
	ds_add_u32 v16, v14
	s_cbranch_scc1 .LBB119_40
; %bb.41:
	v_xor_b32_e32 v11, 0x80000000, v2
	v_mov_b32_e32 v10, v1
	v_mov_b32_e32 v14, 1
	s_mov_b32 s2, s12
.LBB119_42:                             ; =>This Inner Loop Header: Depth=1
	s_delay_alu instid0(VALU_DEP_2) | instid1(SALU_CYCLE_1)
	v_lshrrev_b64 v[15:16], s2, v[10:11]
	s_min_u32 s3, s1, 8
	s_add_i32 s2, s2, 8
	s_add_i32 s1, s1, -8
	s_cmp_lt_u32 s2, s13
	s_delay_alu instid0(VALU_DEP_1) | instskip(NEXT) | instid1(VALU_DEP_1)
	v_bfe_u32 v15, v15, 0, s3
	v_lshl_add_u32 v15, v15, 4, v5
	v_add_nc_u32_e32 v5, 0x1000, v5
	ds_add_u32 v15, v14
	s_cbranch_scc1 .LBB119_42
.LBB119_43:
	s_and_b32 vcc_lo, exec_lo, s0
	s_waitcnt lgkmcnt(0)
	s_barrier
	buffer_gl0_inv
	s_cbranch_vccz .LBB119_48
; %bb.44:
	v_cmp_gt_u32_e32 vcc_lo, 0x100, v0
	v_dual_mov_b32 v10, v0 :: v_dual_lshlrev_b32 v5, 4, v0
	v_mov_b32_e32 v11, 0
	s_set_inst_prefetch_distance 0x1
	s_branch .LBB119_46
	.p2align	6
.LBB119_45:                             ;   in Loop: Header=BB119_46 Depth=1
	s_or_b32 exec_lo, exec_lo, s1
	v_add_nc_u32_e32 v10, 0x100, v10
	v_add_nc_u32_e32 v5, 0x1000, v5
	s_add_i32 s12, s12, 8
	s_delay_alu instid0(SALU_CYCLE_1)
	s_cmp_ge_u32 s12, s13
	s_cbranch_scc1 .LBB119_48
.LBB119_46:                             ; =>This Inner Loop Header: Depth=1
	s_and_saveexec_b32 s1, vcc_lo
	s_cbranch_execz .LBB119_45
; %bb.47:                               ;   in Loop: Header=BB119_46 Depth=1
	ds_load_2addr_b32 v[14:15], v5 offset1:1
	ds_load_2addr_b32 v[16:17], v5 offset0:2 offset1:3
	v_lshlrev_b64 v[18:19], 3, v[10:11]
	s_waitcnt lgkmcnt(1)
	v_add_nc_u32_e32 v20, v15, v14
	s_delay_alu instid0(VALU_DEP_2) | instskip(NEXT) | instid1(VALU_DEP_1)
	v_add_co_u32 v14, s0, s6, v18
	v_add_co_ci_u32_e64 v15, s0, s7, v19, s0
	s_waitcnt lgkmcnt(0)
	s_delay_alu instid0(VALU_DEP_3)
	v_add3_u32 v16, v20, v16, v17
	v_mov_b32_e32 v17, v11
	global_atomic_add_u64 v[14:15], v[16:17], off
	s_branch .LBB119_45
.LBB119_48:
	s_set_inst_prefetch_distance 0x2
	s_mov_b32 s0, 0
.LBB119_49:
	s_delay_alu instid0(SALU_CYCLE_1)
	s_and_b32 vcc_lo, exec_lo, s0
	s_cbranch_vccz .LBB119_52
; %bb.50:
	v_dual_mov_b32 v5, 0 :: v_dual_and_b32 v10, 3, v0
	s_waitcnt vmcnt(1)
	v_lshlrev_b32_e32 v11, 2, v8
	v_lshrrev_b32_e32 v14, 6, v8
	v_lshrrev_b32_e32 v16, 22, v8
	ds_store_2addr_stride64_b32 v13, v5, v5 offset1:16
	ds_store_2addr_stride64_b32 v13, v5, v5 offset0:32 offset1:48
	ds_store_2addr_stride64_b32 v13, v5, v5 offset0:64 offset1:80
	;; [unrolled: 1-line block ×3, first 2 shown]
	v_and_or_b32 v11, 0x3fc, v11, v10
	v_and_or_b32 v13, 0x3fc, v14, v10
	v_lshrrev_b32_e32 v14, 14, v8
	v_alignbit_b32 v8, v9, v8, 30
	s_waitcnt vmcnt(0) lgkmcnt(0)
	s_waitcnt_vscnt null, 0x0
	v_lshlrev_b32_e32 v11, 2, v11
	v_lshlrev_b32_e32 v13, 2, v13
	v_and_or_b32 v14, 0x3fc, v14, v10
	v_and_or_b32 v8, 0x3fc, v8, v10
	v_mov_b32_e32 v15, 1
	s_barrier
	buffer_gl0_inv
	s_mov_b32 s0, exec_lo
	v_lshlrev_b32_e32 v8, 2, v8
	ds_add_u32 v11, v15
	ds_add_u32 v13, v15 offset:4096
	v_lshlrev_b32_e32 v11, 2, v14
	v_and_or_b32 v13, 0x3fc, v16, v10
	v_lshrrev_b32_e32 v14, 6, v9
	v_lshrrev_b32_e32 v16, 14, v9
	;; [unrolled: 1-line block ×3, first 2 shown]
	ds_add_u32 v11, v15 offset:8192
	v_lshlrev_b32_e32 v11, 2, v13
	v_and_or_b32 v13, 0x3fc, v14, v10
	v_and_or_b32 v14, 0x3fc, v16, v10
	v_or_b32_e32 v16, 0x1c00, v10
	ds_add_u32 v11, v15 offset:12288
	v_lshlrev_b32_e32 v13, 2, v13
	v_lshlrev_b32_e32 v11, 2, v14
	ds_add_u32 v8, v15 offset:16384
	v_and_or_b32 v8, 0x3fc, v9, v16
	v_lshlrev_b32_e32 v9, 2, v6
	ds_add_u32 v13, v15 offset:20480
	ds_add_u32 v11, v15 offset:24576
	v_lshrrev_b32_e32 v11, 6, v6
	v_xor_b32_e32 v8, 0x200, v8
	v_lshrrev_b32_e32 v13, 14, v6
	v_and_or_b32 v9, 0x3fc, v9, v10
	v_lshrrev_b32_e32 v14, 22, v6
	v_and_or_b32 v11, 0x3fc, v11, v10
	v_lshlrev_b32_e32 v8, 2, v8
	v_and_or_b32 v13, 0x3fc, v13, v10
	v_lshlrev_b32_e32 v9, 2, v9
	;; [unrolled: 2-line block ×3, first 2 shown]
	ds_add_u32 v8, v15
	v_lshlrev_b32_e32 v8, 2, v13
	ds_add_u32 v9, v15
	v_lshlrev_b32_e32 v9, 2, v14
	ds_add_u32 v11, v15 offset:4096
	v_alignbit_b32 v6, v7, v6, 30
	ds_add_u32 v8, v15 offset:8192
	v_lshrrev_b32_e32 v8, 22, v7
	ds_add_u32 v9, v15 offset:12288
	v_lshrrev_b32_e32 v9, 6, v7
	v_and_or_b32 v6, 0x3fc, v6, v10
	v_lshrrev_b32_e32 v7, 14, v7
	v_and_or_b32 v8, 0x3fc, v8, v16
	v_lshlrev_b32_e32 v11, 2, v3
	v_and_or_b32 v9, 0x3fc, v9, v10
	v_lshlrev_b32_e32 v6, 2, v6
	v_and_or_b32 v7, 0x3fc, v7, v10
	v_xor_b32_e32 v8, 0x200, v8
	v_and_or_b32 v11, 0x3fc, v11, v10
	v_lshlrev_b32_e32 v9, 2, v9
	ds_add_u32 v6, v15 offset:16384
	v_lshlrev_b32_e32 v6, 2, v7
	v_lshlrev_b32_e32 v7, 2, v8
	;; [unrolled: 1-line block ×3, first 2 shown]
	ds_add_u32 v9, v15 offset:20480
	v_lshrrev_b32_e32 v9, 6, v3
	ds_add_u32 v6, v15 offset:24576
	ds_add_u32 v7, v15
	ds_add_u32 v8, v15
	v_lshrrev_b32_e32 v6, 14, v3
	v_lshrrev_b32_e32 v8, 22, v3
	v_alignbit_b32 v3, v4, v3, 30
	v_and_or_b32 v7, 0x3fc, v9, v10
	v_lshrrev_b32_e32 v9, 6, v4
	v_and_or_b32 v6, 0x3fc, v6, v10
	v_and_or_b32 v8, 0x3fc, v8, v10
	;; [unrolled: 1-line block ×3, first 2 shown]
	v_lshlrev_b32_e32 v7, 2, v7
	v_and_or_b32 v9, 0x3fc, v9, v10
	v_lshlrev_b32_e32 v6, 2, v6
	s_delay_alu instid0(VALU_DEP_4)
	v_lshlrev_b32_e32 v3, 2, v3
	ds_add_u32 v7, v15 offset:4096
	v_lshlrev_b32_e32 v7, 2, v8
	ds_add_u32 v6, v15 offset:8192
	v_lshrrev_b32_e32 v6, 22, v4
	v_lshlrev_b32_e32 v8, 2, v9
	ds_add_u32 v7, v15 offset:12288
	ds_add_u32 v3, v15 offset:16384
	;; [unrolled: 1-line block ×3, first 2 shown]
	v_lshrrev_b32_e32 v3, 14, v4
	v_and_or_b32 v4, 0x3fc, v6, v16
	v_lshlrev_b32_e32 v6, 2, v1
	v_lshrrev_b32_e32 v7, 6, v1
	v_lshrrev_b32_e32 v8, 14, v1
	v_and_or_b32 v3, 0x3fc, v3, v10
	v_xor_b32_e32 v4, 0x200, v4
	v_and_or_b32 v6, 0x3fc, v6, v10
	v_and_or_b32 v7, 0x3fc, v7, v10
	;; [unrolled: 1-line block ×3, first 2 shown]
	v_lshlrev_b32_e32 v3, 2, v3
	v_lshlrev_b32_e32 v4, 2, v4
	v_lshlrev_b32_e32 v6, 2, v6
	v_lshlrev_b32_e32 v7, 2, v7
	v_lshlrev_b32_e32 v8, 2, v8
	ds_add_u32 v3, v15 offset:24576
	ds_add_u32 v4, v15
	ds_add_u32 v6, v15
	ds_add_u32 v7, v15 offset:4096
	ds_add_u32 v8, v15 offset:8192
	v_lshrrev_b32_e32 v3, 22, v2
	v_lshrrev_b32_e32 v4, 22, v1
	v_alignbit_b32 v1, v2, v1, 30
	v_lshrrev_b32_e32 v6, 6, v2
	v_lshrrev_b32_e32 v2, 14, v2
	v_and_or_b32 v3, 0x3fc, v3, v16
	v_and_or_b32 v4, 0x3fc, v4, v10
	;; [unrolled: 1-line block ×5, first 2 shown]
	v_xor_b32_e32 v3, 0x200, v3
	v_lshlrev_b32_e32 v4, 2, v4
	v_lshlrev_b32_e32 v1, 2, v1
	;; [unrolled: 1-line block ×5, first 2 shown]
	ds_add_u32 v4, v15 offset:12288
	ds_add_u32 v1, v15 offset:16384
	ds_add_u32 v6, v15 offset:20480
	ds_add_u32 v2, v15 offset:24576
	ds_add_u32 v3, v15
	s_waitcnt lgkmcnt(0)
	s_barrier
	buffer_gl0_inv
	v_cmpx_gt_u32_e32 0x100, v0
	s_cbranch_execz .LBB119_52
; %bb.51:
	v_lshlrev_b32_e32 v6, 4, v0
	ds_load_2addr_b32 v[0:1], v6 offset1:1
	ds_load_2addr_b32 v[2:3], v6 offset0:2 offset1:3
	s_waitcnt lgkmcnt(1)
	v_add_nc_u32_e32 v0, v1, v0
	s_waitcnt lgkmcnt(0)
	s_delay_alu instid0(VALU_DEP_1)
	v_add3_u32 v4, v0, v2, v3
	v_add_nc_u32_e32 v0, 0x1000, v6
	v_add_nc_u32_e32 v2, 0x1008, v6
	global_atomic_add_u64 v12, v[4:5], s[6:7]
	ds_load_2addr_b32 v[0:1], v0 offset1:1
	ds_load_2addr_b32 v[2:3], v2 offset1:1
	s_waitcnt lgkmcnt(1)
	v_add_nc_u32_e32 v0, v1, v0
	s_waitcnt lgkmcnt(0)
	s_delay_alu instid0(VALU_DEP_1)
	v_add3_u32 v4, v0, v2, v3
	v_add_nc_u32_e32 v0, 0x2000, v6
	v_add_nc_u32_e32 v2, 0x2008, v6
	global_atomic_add_u64 v12, v[4:5], s[6:7] offset:2048
	ds_load_2addr_b32 v[0:1], v0 offset1:1
	ds_load_2addr_b32 v[2:3], v2 offset1:1
	s_waitcnt lgkmcnt(1)
	v_add_nc_u32_e32 v0, v1, v0
	v_or_b32_e32 v1, 0x1000, v12
	s_waitcnt lgkmcnt(0)
	s_delay_alu instid0(VALU_DEP_2)
	v_add3_u32 v4, v0, v2, v3
	v_add_nc_u32_e32 v0, 0x3000, v6
	v_add_nc_u32_e32 v2, 0x3008, v6
	global_atomic_add_u64 v1, v[4:5], s[6:7]
	ds_load_2addr_b32 v[0:1], v0 offset1:1
	ds_load_2addr_b32 v[2:3], v2 offset1:1
	s_waitcnt lgkmcnt(1)
	v_add_nc_u32_e32 v0, v1, v0
	v_or_b32_e32 v1, 0x1800, v12
	s_waitcnt lgkmcnt(0)
	s_delay_alu instid0(VALU_DEP_2)
	v_add3_u32 v4, v0, v2, v3
	v_or_b32_e32 v0, 0x4000, v6
	v_or_b32_e32 v2, 0x4008, v6
	global_atomic_add_u64 v1, v[4:5], s[6:7]
	ds_load_2addr_b32 v[0:1], v0 offset1:1
	ds_load_2addr_b32 v[2:3], v2 offset1:1
	s_waitcnt lgkmcnt(1)
	v_add_nc_u32_e32 v0, v1, v0
	v_or_b32_e32 v1, 0x2000, v12
	s_waitcnt lgkmcnt(0)
	s_delay_alu instid0(VALU_DEP_2)
	v_add3_u32 v4, v0, v2, v3
	v_add_nc_u32_e32 v0, 0x5000, v6
	v_add_nc_u32_e32 v2, 0x5008, v6
	global_atomic_add_u64 v1, v[4:5], s[6:7]
	ds_load_2addr_b32 v[0:1], v0 offset1:1
	ds_load_2addr_b32 v[2:3], v2 offset1:1
	s_waitcnt lgkmcnt(1)
	v_add_nc_u32_e32 v0, v1, v0
	v_or_b32_e32 v1, 0x2800, v12
	s_waitcnt lgkmcnt(0)
	s_delay_alu instid0(VALU_DEP_2)
	v_add3_u32 v4, v0, v2, v3
	v_add_nc_u32_e32 v0, 0x6000, v6
	v_add_nc_u32_e32 v2, 0x6008, v6
	;; [unrolled: 11-line block ×3, first 2 shown]
	global_atomic_add_u64 v1, v[4:5], s[6:7]
	ds_load_2addr_b32 v[0:1], v0 offset1:1
	ds_load_2addr_b32 v[2:3], v2 offset1:1
	s_waitcnt lgkmcnt(1)
	v_add_nc_u32_e32 v0, v1, v0
	s_waitcnt lgkmcnt(0)
	s_delay_alu instid0(VALU_DEP_1)
	v_add3_u32 v4, v0, v2, v3
	v_or_b32_e32 v0, 0x3800, v12
	global_atomic_add_u64 v0, v[4:5], s[6:7]
.LBB119_52:
	s_nop 0
	s_sendmsg sendmsg(MSG_DEALLOC_VGPRS)
	s_endpgm
	.section	.rodata,"a",@progbits
	.p2align	6, 0x0
	.amdhsa_kernel _ZN7rocprim17ROCPRIM_304000_NS6detail26onesweep_histograms_kernelINS1_34wrapped_radix_sort_onesweep_configINS0_14default_configElN2at4cuda3cub6detail10OpaqueTypeILi8EEEEELb0EPKlmNS0_19identity_decomposerEEEvT1_PT2_SG_SG_T3_jj
		.amdhsa_group_segment_fixed_size 32768
		.amdhsa_private_segment_fixed_size 0
		.amdhsa_kernarg_size 44
		.amdhsa_user_sgpr_count 15
		.amdhsa_user_sgpr_dispatch_ptr 0
		.amdhsa_user_sgpr_queue_ptr 0
		.amdhsa_user_sgpr_kernarg_segment_ptr 1
		.amdhsa_user_sgpr_dispatch_id 0
		.amdhsa_user_sgpr_private_segment_size 0
		.amdhsa_wavefront_size32 1
		.amdhsa_uses_dynamic_stack 0
		.amdhsa_enable_private_segment 0
		.amdhsa_system_sgpr_workgroup_id_x 1
		.amdhsa_system_sgpr_workgroup_id_y 0
		.amdhsa_system_sgpr_workgroup_id_z 0
		.amdhsa_system_sgpr_workgroup_info 0
		.amdhsa_system_vgpr_workitem_id 0
		.amdhsa_next_free_vgpr 21
		.amdhsa_next_free_sgpr 16
		.amdhsa_reserve_vcc 1
		.amdhsa_float_round_mode_32 0
		.amdhsa_float_round_mode_16_64 0
		.amdhsa_float_denorm_mode_32 3
		.amdhsa_float_denorm_mode_16_64 3
		.amdhsa_dx10_clamp 1
		.amdhsa_ieee_mode 1
		.amdhsa_fp16_overflow 0
		.amdhsa_workgroup_processor_mode 1
		.amdhsa_memory_ordered 1
		.amdhsa_forward_progress 0
		.amdhsa_shared_vgpr_count 0
		.amdhsa_exception_fp_ieee_invalid_op 0
		.amdhsa_exception_fp_denorm_src 0
		.amdhsa_exception_fp_ieee_div_zero 0
		.amdhsa_exception_fp_ieee_overflow 0
		.amdhsa_exception_fp_ieee_underflow 0
		.amdhsa_exception_fp_ieee_inexact 0
		.amdhsa_exception_int_div_zero 0
	.end_amdhsa_kernel
	.section	.text._ZN7rocprim17ROCPRIM_304000_NS6detail26onesweep_histograms_kernelINS1_34wrapped_radix_sort_onesweep_configINS0_14default_configElN2at4cuda3cub6detail10OpaqueTypeILi8EEEEELb0EPKlmNS0_19identity_decomposerEEEvT1_PT2_SG_SG_T3_jj,"axG",@progbits,_ZN7rocprim17ROCPRIM_304000_NS6detail26onesweep_histograms_kernelINS1_34wrapped_radix_sort_onesweep_configINS0_14default_configElN2at4cuda3cub6detail10OpaqueTypeILi8EEEEELb0EPKlmNS0_19identity_decomposerEEEvT1_PT2_SG_SG_T3_jj,comdat
.Lfunc_end119:
	.size	_ZN7rocprim17ROCPRIM_304000_NS6detail26onesweep_histograms_kernelINS1_34wrapped_radix_sort_onesweep_configINS0_14default_configElN2at4cuda3cub6detail10OpaqueTypeILi8EEEEELb0EPKlmNS0_19identity_decomposerEEEvT1_PT2_SG_SG_T3_jj, .Lfunc_end119-_ZN7rocprim17ROCPRIM_304000_NS6detail26onesweep_histograms_kernelINS1_34wrapped_radix_sort_onesweep_configINS0_14default_configElN2at4cuda3cub6detail10OpaqueTypeILi8EEEEELb0EPKlmNS0_19identity_decomposerEEEvT1_PT2_SG_SG_T3_jj
                                        ; -- End function
	.section	.AMDGPU.csdata,"",@progbits
; Kernel info:
; codeLenInByte = 3460
; NumSgprs: 18
; NumVgprs: 21
; ScratchSize: 0
; MemoryBound: 1
; FloatMode: 240
; IeeeMode: 1
; LDSByteSize: 32768 bytes/workgroup (compile time only)
; SGPRBlocks: 2
; VGPRBlocks: 2
; NumSGPRsForWavesPerEU: 18
; NumVGPRsForWavesPerEU: 21
; Occupancy: 16
; WaveLimiterHint : 1
; COMPUTE_PGM_RSRC2:SCRATCH_EN: 0
; COMPUTE_PGM_RSRC2:USER_SGPR: 15
; COMPUTE_PGM_RSRC2:TRAP_HANDLER: 0
; COMPUTE_PGM_RSRC2:TGID_X_EN: 1
; COMPUTE_PGM_RSRC2:TGID_Y_EN: 0
; COMPUTE_PGM_RSRC2:TGID_Z_EN: 0
; COMPUTE_PGM_RSRC2:TIDIG_COMP_CNT: 0
	.section	.text._ZN7rocprim17ROCPRIM_304000_NS6detail25onesweep_iteration_kernelINS1_34wrapped_radix_sort_onesweep_configINS0_14default_configElN2at4cuda3cub6detail10OpaqueTypeILi8EEEEELb0EPKlPlPKSA_PSA_mNS0_19identity_decomposerEEEvT1_T2_T3_T4_jPT5_SO_PNS1_23onesweep_lookback_stateET6_jjj,"axG",@progbits,_ZN7rocprim17ROCPRIM_304000_NS6detail25onesweep_iteration_kernelINS1_34wrapped_radix_sort_onesweep_configINS0_14default_configElN2at4cuda3cub6detail10OpaqueTypeILi8EEEEELb0EPKlPlPKSA_PSA_mNS0_19identity_decomposerEEEvT1_T2_T3_T4_jPT5_SO_PNS1_23onesweep_lookback_stateET6_jjj,comdat
	.protected	_ZN7rocprim17ROCPRIM_304000_NS6detail25onesweep_iteration_kernelINS1_34wrapped_radix_sort_onesweep_configINS0_14default_configElN2at4cuda3cub6detail10OpaqueTypeILi8EEEEELb0EPKlPlPKSA_PSA_mNS0_19identity_decomposerEEEvT1_T2_T3_T4_jPT5_SO_PNS1_23onesweep_lookback_stateET6_jjj ; -- Begin function _ZN7rocprim17ROCPRIM_304000_NS6detail25onesweep_iteration_kernelINS1_34wrapped_radix_sort_onesweep_configINS0_14default_configElN2at4cuda3cub6detail10OpaqueTypeILi8EEEEELb0EPKlPlPKSA_PSA_mNS0_19identity_decomposerEEEvT1_T2_T3_T4_jPT5_SO_PNS1_23onesweep_lookback_stateET6_jjj
	.globl	_ZN7rocprim17ROCPRIM_304000_NS6detail25onesweep_iteration_kernelINS1_34wrapped_radix_sort_onesweep_configINS0_14default_configElN2at4cuda3cub6detail10OpaqueTypeILi8EEEEELb0EPKlPlPKSA_PSA_mNS0_19identity_decomposerEEEvT1_T2_T3_T4_jPT5_SO_PNS1_23onesweep_lookback_stateET6_jjj
	.p2align	8
	.type	_ZN7rocprim17ROCPRIM_304000_NS6detail25onesweep_iteration_kernelINS1_34wrapped_radix_sort_onesweep_configINS0_14default_configElN2at4cuda3cub6detail10OpaqueTypeILi8EEEEELb0EPKlPlPKSA_PSA_mNS0_19identity_decomposerEEEvT1_T2_T3_T4_jPT5_SO_PNS1_23onesweep_lookback_stateET6_jjj,@function
_ZN7rocprim17ROCPRIM_304000_NS6detail25onesweep_iteration_kernelINS1_34wrapped_radix_sort_onesweep_configINS0_14default_configElN2at4cuda3cub6detail10OpaqueTypeILi8EEEEELb0EPKlPlPKSA_PSA_mNS0_19identity_decomposerEEEvT1_T2_T3_T4_jPT5_SO_PNS1_23onesweep_lookback_stateET6_jjj: ; @_ZN7rocprim17ROCPRIM_304000_NS6detail25onesweep_iteration_kernelINS1_34wrapped_radix_sort_onesweep_configINS0_14default_configElN2at4cuda3cub6detail10OpaqueTypeILi8EEEEELb0EPKlPlPKSA_PSA_mNS0_19identity_decomposerEEEvT1_T2_T3_T4_jPT5_SO_PNS1_23onesweep_lookback_stateET6_jjj
; %bb.0:
	s_clause 0x3
	s_load_b128 s[28:31], s[0:1], 0x44
	s_load_b256 s[16:23], s[0:1], 0x0
	s_load_b128 s[24:27], s[0:1], 0x28
	s_load_b64 s[12:13], s[0:1], 0x38
	v_and_b32_e32 v9, 0x3ff, v0
	v_mbcnt_lo_u32_b32 v18, -1, 0
	s_waitcnt lgkmcnt(0)
	s_cmp_ge_u32 s15, s30
	s_cbranch_scc0 .LBB120_66
; %bb.1:
	s_load_b32 s14, s[0:1], 0x20
	s_mov_b32 s4, -1
	s_brev_b32 s5, -2
	s_mov_b32 s6, s4
	s_mov_b32 s7, s5
	;; [unrolled: 1-line block ×6, first 2 shown]
	v_lshlrev_b32_e32 v21, 2, v9
	s_lshl_b32 s2, s15, 12
	s_mov_b32 s3, 0
	s_lshl_b32 s33, s30, 12
	v_lshlrev_b32_e32 v19, 3, v18
	v_and_b32_e32 v1, 0xf80, v21
	s_lshl_b64 s[30:31], s[2:3], 3
	s_delay_alu instid0(VALU_DEP_1)
	v_lshlrev_b32_e32 v20, 3, v1
	s_waitcnt lgkmcnt(0)
	s_sub_i32 s33, s14, s33
	s_add_u32 s2, s16, s30
	v_or_b32_e32 v12, v18, v1
	s_addc_u32 s3, s17, s31
	v_add_co_u32 v1, s2, s2, v19
	s_delay_alu instid0(VALU_DEP_1) | instskip(NEXT) | instid1(VALU_DEP_3)
	v_add_co_ci_u32_e64 v2, null, s3, 0, s2
	v_cmp_gt_u32_e32 vcc_lo, s33, v12
	s_delay_alu instid0(VALU_DEP_3) | instskip(NEXT) | instid1(VALU_DEP_1)
	v_add_co_u32 v10, s2, v1, v20
	v_add_co_ci_u32_e64 v11, s2, 0, v2, s2
	v_dual_mov_b32 v1, s4 :: v_dual_mov_b32 v2, s5
	v_dual_mov_b32 v3, s6 :: v_dual_mov_b32 v8, s11
	;; [unrolled: 1-line block ×4, first 2 shown]
	s_and_saveexec_b32 s2, vcc_lo
	s_cbranch_execz .LBB120_3
; %bb.2:
	global_load_b64 v[1:2], v[10:11], off
	v_bfrev_b32_e32 v4, -2
	s_delay_alu instid0(VALU_DEP_1) | instskip(NEXT) | instid1(VALU_DEP_1)
	v_dual_mov_b32 v3, -1 :: v_dual_mov_b32 v6, v4
	v_dual_mov_b32 v5, v3 :: v_dual_mov_b32 v8, v4
	v_mov_b32_e32 v7, v3
.LBB120_3:
	s_or_b32 exec_lo, exec_lo, s2
	v_add_nc_u32_e32 v13, 32, v12
	s_delay_alu instid0(VALU_DEP_1) | instskip(NEXT) | instid1(VALU_DEP_1)
	v_cmp_gt_u32_e64 s2, s33, v13
	s_and_saveexec_b32 s3, s2
	s_cbranch_execz .LBB120_5
; %bb.4:
	global_load_b64 v[3:4], v[10:11], off offset:256
.LBB120_5:
	s_or_b32 exec_lo, exec_lo, s3
	v_add_nc_u32_e32 v13, 64, v12
	s_delay_alu instid0(VALU_DEP_1) | instskip(NEXT) | instid1(VALU_DEP_1)
	v_cmp_gt_u32_e64 s3, s33, v13
	s_and_saveexec_b32 s4, s3
	s_cbranch_execz .LBB120_7
; %bb.6:
	global_load_b64 v[5:6], v[10:11], off offset:512
.LBB120_7:
	;; [unrolled: 9-line block ×3, first 2 shown]
	s_or_b32 exec_lo, exec_lo, s5
	s_clause 0x1
	s_load_b32 s5, s[0:1], 0x5c
	s_load_b32 s14, s[0:1], 0x50
	s_add_u32 s6, s0, 0x50
	s_waitcnt vmcnt(0)
	v_xor_b32_e32 v2, 0x80000000, v2
	s_addc_u32 s7, s1, 0
	s_delay_alu instid0(VALU_DEP_1) | instskip(SKIP_4) | instid1(SALU_CYCLE_1)
	v_lshrrev_b64 v[10:11], s28, v[1:2]
	s_waitcnt lgkmcnt(0)
	s_lshr_b32 s8, s5, 16
	s_cmp_lt_u32 s15, s14
	s_cselect_b32 s5, 12, 18
	s_add_u32 s6, s6, s5
	s_addc_u32 s7, s7, 0
	s_lshl_b32 s5, -1, s29
	s_delay_alu instid0(SALU_CYCLE_1) | instskip(NEXT) | instid1(SALU_CYCLE_1)
	s_not_b32 s34, s5
	v_and_b32_e32 v14, s34, v10
	v_mov_b32_e32 v12, 0
	v_bfe_u32 v10, v0, 10, 10
	s_delay_alu instid0(VALU_DEP_3)
	v_and_b32_e32 v11, 1, v14
	global_load_u16 v13, v12, s[6:7]
	v_lshlrev_b32_e32 v15, 30, v14
	v_lshlrev_b32_e32 v16, 29, v14
	;; [unrolled: 1-line block ×3, first 2 shown]
	v_add_co_u32 v11, s5, v11, -1
	s_delay_alu instid0(VALU_DEP_1)
	v_cndmask_b32_e64 v22, 0, 1, s5
	v_not_b32_e32 v26, v15
	v_cmp_gt_i32_e64 s6, 0, v15
	v_not_b32_e32 v15, v16
	v_lshlrev_b32_e32 v23, 27, v14
	v_cmp_ne_u32_e64 s5, 0, v22
	v_ashrrev_i32_e32 v26, 31, v26
	v_lshlrev_b32_e32 v24, 26, v14
	v_ashrrev_i32_e32 v15, 31, v15
	v_lshlrev_b32_e32 v25, 25, v14
	v_xor_b32_e32 v11, s5, v11
	v_cmp_gt_i32_e64 s5, 0, v16
	v_not_b32_e32 v16, v17
	v_xor_b32_e32 v26, s6, v26
	v_cmp_gt_i32_e64 s6, 0, v17
	v_and_b32_e32 v11, exec_lo, v11
	v_not_b32_e32 v17, v23
	v_ashrrev_i32_e32 v16, 31, v16
	v_xor_b32_e32 v15, s5, v15
	v_cmp_gt_i32_e64 s5, 0, v23
	v_and_b32_e32 v11, v11, v26
	v_not_b32_e32 v23, v24
	v_ashrrev_i32_e32 v17, 31, v17
	v_xor_b32_e32 v16, s6, v16
	v_lshlrev_b32_e32 v22, 24, v14
	v_and_b32_e32 v11, v11, v15
	v_cmp_gt_i32_e64 s6, 0, v24
	v_not_b32_e32 v15, v25
	v_ashrrev_i32_e32 v23, 31, v23
	v_xor_b32_e32 v17, s5, v17
	v_and_b32_e32 v11, v11, v16
	v_cmp_gt_i32_e64 s5, 0, v25
	v_not_b32_e32 v16, v22
	v_ashrrev_i32_e32 v15, 31, v15
	v_xor_b32_e32 v23, s6, v23
	v_and_b32_e32 v11, v11, v17
	v_bfe_u32 v17, v0, 20, 10
	v_cmp_gt_i32_e64 s6, 0, v22
	v_ashrrev_i32_e32 v16, 31, v16
	v_xor_b32_e32 v15, s5, v15
	v_and_b32_e32 v11, v11, v23
	v_mad_u32_u24 v17, v17, s8, v10
	v_mul_u32_u24_e32 v22, 9, v9
	v_xor_b32_e32 v16, s6, v16
	s_delay_alu instid0(VALU_DEP_4) | instskip(NEXT) | instid1(VALU_DEP_3)
	v_and_b32_e32 v15, v11, v15
	v_lshlrev_b32_e32 v23, 2, v22
	ds_store_2addr_b32 v23, v12, v12 offset0:32 offset1:33
	ds_store_2addr_b32 v23, v12, v12 offset0:34 offset1:35
	;; [unrolled: 1-line block ×4, first 2 shown]
	ds_store_b32 v23, v12 offset:160
	v_lshl_add_u32 v12, v14, 5, v14
	s_waitcnt vmcnt(0) lgkmcnt(0)
	s_barrier
	buffer_gl0_inv
	; wave barrier
	v_mad_u64_u32 v[10:11], null, v17, v13, v[9:10]
	v_and_b32_e32 v11, v15, v16
	s_delay_alu instid0(VALU_DEP_1) | instskip(NEXT) | instid1(VALU_DEP_3)
	v_mbcnt_lo_u32_b32 v22, v11, 0
	v_lshrrev_b32_e32 v10, 5, v10
	v_cmp_ne_u32_e64 s6, 0, v11
	s_delay_alu instid0(VALU_DEP_3) | instskip(NEXT) | instid1(VALU_DEP_3)
	v_cmp_eq_u32_e64 s5, 0, v22
	v_add_lshl_u32 v24, v10, v12, 2
	s_delay_alu instid0(VALU_DEP_2) | instskip(NEXT) | instid1(SALU_CYCLE_1)
	s_and_b32 s6, s6, s5
	s_and_saveexec_b32 s5, s6
	s_cbranch_execz .LBB120_11
; %bb.10:
	v_bcnt_u32_b32 v11, v11, 0
	ds_store_b32 v24, v11 offset:128
.LBB120_11:
	s_or_b32 exec_lo, exec_lo, s5
	v_xor_b32_e32 v4, 0x80000000, v4
	; wave barrier
	s_delay_alu instid0(VALU_DEP_1) | instskip(NEXT) | instid1(VALU_DEP_1)
	v_lshrrev_b64 v[11:12], s28, v[3:4]
	v_and_b32_e32 v11, s34, v11
	s_delay_alu instid0(VALU_DEP_1)
	v_and_b32_e32 v12, 1, v11
	v_lshlrev_b32_e32 v13, 30, v11
	v_lshlrev_b32_e32 v14, 29, v11
	;; [unrolled: 1-line block ×4, first 2 shown]
	v_add_co_u32 v12, s5, v12, -1
	s_delay_alu instid0(VALU_DEP_1)
	v_cndmask_b32_e64 v16, 0, 1, s5
	v_not_b32_e32 v27, v13
	v_cmp_gt_i32_e64 s6, 0, v13
	v_not_b32_e32 v13, v14
	v_lshlrev_b32_e32 v25, 26, v11
	v_cmp_ne_u32_e64 s5, 0, v16
	v_ashrrev_i32_e32 v27, 31, v27
	v_lshlrev_b32_e32 v26, 25, v11
	v_ashrrev_i32_e32 v13, 31, v13
	v_lshlrev_b32_e32 v16, 24, v11
	v_xor_b32_e32 v12, s5, v12
	v_cmp_gt_i32_e64 s5, 0, v14
	v_not_b32_e32 v14, v15
	v_xor_b32_e32 v27, s6, v27
	v_cmp_gt_i32_e64 s6, 0, v15
	v_and_b32_e32 v12, exec_lo, v12
	v_not_b32_e32 v15, v17
	v_ashrrev_i32_e32 v14, 31, v14
	v_xor_b32_e32 v13, s5, v13
	v_cmp_gt_i32_e64 s5, 0, v17
	v_and_b32_e32 v12, v12, v27
	v_not_b32_e32 v17, v25
	v_ashrrev_i32_e32 v15, 31, v15
	v_xor_b32_e32 v14, s6, v14
	v_cmp_gt_i32_e64 s6, 0, v25
	v_and_b32_e32 v12, v12, v13
	;; [unrolled: 5-line block ×3, first 2 shown]
	v_not_b32_e32 v14, v16
	v_ashrrev_i32_e32 v13, 31, v13
	v_xor_b32_e32 v17, s6, v17
	v_lshl_add_u32 v11, v11, 5, v11
	v_and_b32_e32 v12, v12, v15
	v_cmp_gt_i32_e64 s6, 0, v16
	v_ashrrev_i32_e32 v14, 31, v14
	v_xor_b32_e32 v13, s5, v13
	v_add_lshl_u32 v27, v10, v11, 2
	v_and_b32_e32 v12, v12, v17
	s_delay_alu instid0(VALU_DEP_4) | instskip(SKIP_2) | instid1(VALU_DEP_1)
	v_xor_b32_e32 v11, s6, v14
	ds_load_b32 v25, v27 offset:128
	v_and_b32_e32 v12, v12, v13
	; wave barrier
	v_and_b32_e32 v11, v12, v11
	s_delay_alu instid0(VALU_DEP_1) | instskip(SKIP_1) | instid1(VALU_DEP_2)
	v_mbcnt_lo_u32_b32 v26, v11, 0
	v_cmp_ne_u32_e64 s6, 0, v11
	v_cmp_eq_u32_e64 s5, 0, v26
	s_delay_alu instid0(VALU_DEP_1) | instskip(NEXT) | instid1(SALU_CYCLE_1)
	s_and_b32 s6, s6, s5
	s_and_saveexec_b32 s5, s6
	s_cbranch_execz .LBB120_13
; %bb.12:
	s_waitcnt lgkmcnt(0)
	v_bcnt_u32_b32 v11, v11, v25
	ds_store_b32 v27, v11 offset:128
.LBB120_13:
	s_or_b32 exec_lo, exec_lo, s5
	v_xor_b32_e32 v6, 0x80000000, v6
	; wave barrier
	s_delay_alu instid0(VALU_DEP_1) | instskip(NEXT) | instid1(VALU_DEP_1)
	v_lshrrev_b64 v[11:12], s28, v[5:6]
	v_and_b32_e32 v11, s34, v11
	s_delay_alu instid0(VALU_DEP_1)
	v_and_b32_e32 v12, 1, v11
	v_lshlrev_b32_e32 v13, 30, v11
	v_lshlrev_b32_e32 v14, 29, v11
	;; [unrolled: 1-line block ×4, first 2 shown]
	v_add_co_u32 v12, s5, v12, -1
	s_delay_alu instid0(VALU_DEP_1)
	v_cndmask_b32_e64 v16, 0, 1, s5
	v_not_b32_e32 v30, v13
	v_cmp_gt_i32_e64 s6, 0, v13
	v_not_b32_e32 v13, v14
	v_lshlrev_b32_e32 v28, 26, v11
	v_cmp_ne_u32_e64 s5, 0, v16
	v_ashrrev_i32_e32 v30, 31, v30
	v_lshlrev_b32_e32 v29, 25, v11
	v_ashrrev_i32_e32 v13, 31, v13
	v_lshlrev_b32_e32 v16, 24, v11
	v_xor_b32_e32 v12, s5, v12
	v_cmp_gt_i32_e64 s5, 0, v14
	v_not_b32_e32 v14, v15
	v_xor_b32_e32 v30, s6, v30
	v_cmp_gt_i32_e64 s6, 0, v15
	v_and_b32_e32 v12, exec_lo, v12
	v_not_b32_e32 v15, v17
	v_ashrrev_i32_e32 v14, 31, v14
	v_xor_b32_e32 v13, s5, v13
	v_cmp_gt_i32_e64 s5, 0, v17
	v_and_b32_e32 v12, v12, v30
	v_not_b32_e32 v17, v28
	v_ashrrev_i32_e32 v15, 31, v15
	v_xor_b32_e32 v14, s6, v14
	v_cmp_gt_i32_e64 s6, 0, v28
	v_and_b32_e32 v12, v12, v13
	;; [unrolled: 5-line block ×3, first 2 shown]
	v_not_b32_e32 v14, v16
	v_ashrrev_i32_e32 v13, 31, v13
	v_xor_b32_e32 v17, s6, v17
	v_lshl_add_u32 v11, v11, 5, v11
	v_and_b32_e32 v12, v12, v15
	v_cmp_gt_i32_e64 s6, 0, v16
	v_ashrrev_i32_e32 v14, 31, v14
	v_xor_b32_e32 v13, s5, v13
	v_add_lshl_u32 v30, v10, v11, 2
	v_and_b32_e32 v12, v12, v17
	s_delay_alu instid0(VALU_DEP_4) | instskip(SKIP_2) | instid1(VALU_DEP_1)
	v_xor_b32_e32 v11, s6, v14
	ds_load_b32 v28, v30 offset:128
	v_and_b32_e32 v12, v12, v13
	; wave barrier
	v_and_b32_e32 v11, v12, v11
	s_delay_alu instid0(VALU_DEP_1) | instskip(SKIP_1) | instid1(VALU_DEP_2)
	v_mbcnt_lo_u32_b32 v29, v11, 0
	v_cmp_ne_u32_e64 s6, 0, v11
	v_cmp_eq_u32_e64 s5, 0, v29
	s_delay_alu instid0(VALU_DEP_1) | instskip(NEXT) | instid1(SALU_CYCLE_1)
	s_and_b32 s6, s6, s5
	s_and_saveexec_b32 s5, s6
	s_cbranch_execz .LBB120_15
; %bb.14:
	s_waitcnt lgkmcnt(0)
	v_bcnt_u32_b32 v11, v11, v28
	ds_store_b32 v30, v11 offset:128
.LBB120_15:
	s_or_b32 exec_lo, exec_lo, s5
	v_xor_b32_e32 v8, 0x80000000, v8
	; wave barrier
	v_add_nc_u32_e32 v34, 0x80, v23
	s_delay_alu instid0(VALU_DEP_2) | instskip(NEXT) | instid1(VALU_DEP_1)
	v_lshrrev_b64 v[11:12], s28, v[7:8]
	v_and_b32_e32 v11, s34, v11
	s_delay_alu instid0(VALU_DEP_1)
	v_and_b32_e32 v12, 1, v11
	v_lshlrev_b32_e32 v13, 30, v11
	v_lshlrev_b32_e32 v14, 29, v11
	;; [unrolled: 1-line block ×4, first 2 shown]
	v_add_co_u32 v12, s5, v12, -1
	s_delay_alu instid0(VALU_DEP_1)
	v_cndmask_b32_e64 v16, 0, 1, s5
	v_not_b32_e32 v33, v13
	v_cmp_gt_i32_e64 s6, 0, v13
	v_not_b32_e32 v13, v14
	v_lshlrev_b32_e32 v31, 26, v11
	v_cmp_ne_u32_e64 s5, 0, v16
	v_ashrrev_i32_e32 v33, 31, v33
	v_lshlrev_b32_e32 v32, 25, v11
	v_ashrrev_i32_e32 v13, 31, v13
	v_lshlrev_b32_e32 v16, 24, v11
	v_xor_b32_e32 v12, s5, v12
	v_cmp_gt_i32_e64 s5, 0, v14
	v_not_b32_e32 v14, v15
	v_xor_b32_e32 v33, s6, v33
	v_cmp_gt_i32_e64 s6, 0, v15
	v_and_b32_e32 v12, exec_lo, v12
	v_not_b32_e32 v15, v17
	v_ashrrev_i32_e32 v14, 31, v14
	v_xor_b32_e32 v13, s5, v13
	v_cmp_gt_i32_e64 s5, 0, v17
	v_and_b32_e32 v12, v12, v33
	v_not_b32_e32 v17, v31
	v_ashrrev_i32_e32 v15, 31, v15
	v_xor_b32_e32 v14, s6, v14
	v_cmp_gt_i32_e64 s6, 0, v31
	v_and_b32_e32 v12, v12, v13
	;; [unrolled: 5-line block ×3, first 2 shown]
	v_not_b32_e32 v14, v16
	v_ashrrev_i32_e32 v13, 31, v13
	v_xor_b32_e32 v17, s6, v17
	v_lshl_add_u32 v11, v11, 5, v11
	v_and_b32_e32 v12, v12, v15
	v_cmp_gt_i32_e64 s6, 0, v16
	v_ashrrev_i32_e32 v14, 31, v14
	v_xor_b32_e32 v13, s5, v13
	v_add_lshl_u32 v33, v10, v11, 2
	v_and_b32_e32 v12, v12, v17
	s_delay_alu instid0(VALU_DEP_4) | instskip(SKIP_2) | instid1(VALU_DEP_1)
	v_xor_b32_e32 v10, s6, v14
	ds_load_b32 v31, v33 offset:128
	v_and_b32_e32 v11, v12, v13
	; wave barrier
	v_and_b32_e32 v10, v11, v10
	s_delay_alu instid0(VALU_DEP_1) | instskip(SKIP_1) | instid1(VALU_DEP_2)
	v_mbcnt_lo_u32_b32 v32, v10, 0
	v_cmp_ne_u32_e64 s6, 0, v10
	v_cmp_eq_u32_e64 s5, 0, v32
	s_delay_alu instid0(VALU_DEP_1) | instskip(NEXT) | instid1(SALU_CYCLE_1)
	s_and_b32 s6, s6, s5
	s_and_saveexec_b32 s5, s6
	s_cbranch_execz .LBB120_17
; %bb.16:
	s_waitcnt lgkmcnt(0)
	v_bcnt_u32_b32 v10, v10, v31
	ds_store_b32 v33, v10 offset:128
.LBB120_17:
	s_or_b32 exec_lo, exec_lo, s5
	; wave barrier
	s_waitcnt lgkmcnt(0)
	s_barrier
	buffer_gl0_inv
	ds_load_2addr_b32 v[16:17], v23 offset0:32 offset1:33
	ds_load_2addr_b32 v[14:15], v34 offset0:2 offset1:3
	;; [unrolled: 1-line block ×4, first 2 shown]
	ds_load_b32 v35, v34 offset:32
	v_and_b32_e32 v38, 16, v18
	v_and_b32_e32 v39, 31, v9
	s_mov_b32 s11, exec_lo
	s_delay_alu instid0(VALU_DEP_2) | instskip(SKIP_3) | instid1(VALU_DEP_1)
	v_cmp_eq_u32_e64 s9, 0, v38
	s_waitcnt lgkmcnt(3)
	v_add3_u32 v36, v17, v16, v14
	s_waitcnt lgkmcnt(2)
	v_add3_u32 v36, v36, v15, v12
	s_waitcnt lgkmcnt(1)
	s_delay_alu instid0(VALU_DEP_1) | instskip(SKIP_1) | instid1(VALU_DEP_1)
	v_add3_u32 v36, v36, v13, v10
	s_waitcnt lgkmcnt(0)
	v_add3_u32 v35, v36, v11, v35
	v_and_b32_e32 v36, 15, v18
	s_delay_alu instid0(VALU_DEP_2) | instskip(NEXT) | instid1(VALU_DEP_2)
	v_mov_b32_dpp v37, v35 row_shr:1 row_mask:0xf bank_mask:0xf
	v_cmp_eq_u32_e64 s5, 0, v36
	v_cmp_lt_u32_e64 s6, 1, v36
	v_cmp_lt_u32_e64 s7, 3, v36
	;; [unrolled: 1-line block ×3, first 2 shown]
	s_delay_alu instid0(VALU_DEP_4) | instskip(NEXT) | instid1(VALU_DEP_1)
	v_cndmask_b32_e64 v37, v37, 0, s5
	v_add_nc_u32_e32 v35, v37, v35
	s_delay_alu instid0(VALU_DEP_1) | instskip(NEXT) | instid1(VALU_DEP_1)
	v_mov_b32_dpp v37, v35 row_shr:2 row_mask:0xf bank_mask:0xf
	v_cndmask_b32_e64 v37, 0, v37, s6
	s_delay_alu instid0(VALU_DEP_1) | instskip(NEXT) | instid1(VALU_DEP_1)
	v_add_nc_u32_e32 v35, v35, v37
	v_mov_b32_dpp v37, v35 row_shr:4 row_mask:0xf bank_mask:0xf
	s_delay_alu instid0(VALU_DEP_1) | instskip(NEXT) | instid1(VALU_DEP_1)
	v_cndmask_b32_e64 v37, 0, v37, s7
	v_add_nc_u32_e32 v35, v35, v37
	s_delay_alu instid0(VALU_DEP_1) | instskip(NEXT) | instid1(VALU_DEP_1)
	v_mov_b32_dpp v37, v35 row_shr:8 row_mask:0xf bank_mask:0xf
	v_cndmask_b32_e64 v36, 0, v37, s8
	v_bfe_i32 v37, v18, 4, 1
	s_delay_alu instid0(VALU_DEP_2) | instskip(SKIP_4) | instid1(VALU_DEP_2)
	v_add_nc_u32_e32 v35, v35, v36
	ds_swizzle_b32 v36, v35 offset:swizzle(BROADCAST,32,15)
	s_waitcnt lgkmcnt(0)
	v_and_b32_e32 v37, v37, v36
	v_lshrrev_b32_e32 v36, 5, v9
	v_add_nc_u32_e32 v35, v35, v37
	v_cmpx_eq_u32_e32 31, v39
	s_cbranch_execz .LBB120_19
; %bb.18:
	s_delay_alu instid0(VALU_DEP_3)
	v_lshlrev_b32_e32 v37, 2, v36
	ds_store_b32 v37, v35
.LBB120_19:
	s_or_b32 exec_lo, exec_lo, s11
	v_cmp_lt_u32_e64 s10, 31, v9
	s_mov_b32 s35, exec_lo
	s_waitcnt lgkmcnt(0)
	s_barrier
	buffer_gl0_inv
	v_cmpx_gt_u32_e32 32, v9
	s_cbranch_execz .LBB120_21
; %bb.20:
	ds_load_b32 v37, v21
	s_waitcnt lgkmcnt(0)
	v_mov_b32_dpp v38, v37 row_shr:1 row_mask:0xf bank_mask:0xf
	s_delay_alu instid0(VALU_DEP_1) | instskip(NEXT) | instid1(VALU_DEP_1)
	v_cndmask_b32_e64 v38, v38, 0, s5
	v_add_nc_u32_e32 v37, v38, v37
	s_delay_alu instid0(VALU_DEP_1) | instskip(NEXT) | instid1(VALU_DEP_1)
	v_mov_b32_dpp v38, v37 row_shr:2 row_mask:0xf bank_mask:0xf
	v_cndmask_b32_e64 v38, 0, v38, s6
	s_delay_alu instid0(VALU_DEP_1) | instskip(NEXT) | instid1(VALU_DEP_1)
	v_add_nc_u32_e32 v37, v37, v38
	v_mov_b32_dpp v38, v37 row_shr:4 row_mask:0xf bank_mask:0xf
	s_delay_alu instid0(VALU_DEP_1) | instskip(NEXT) | instid1(VALU_DEP_1)
	v_cndmask_b32_e64 v38, 0, v38, s7
	v_add_nc_u32_e32 v37, v37, v38
	s_delay_alu instid0(VALU_DEP_1) | instskip(NEXT) | instid1(VALU_DEP_1)
	v_mov_b32_dpp v38, v37 row_shr:8 row_mask:0xf bank_mask:0xf
	v_cndmask_b32_e64 v38, 0, v38, s8
	s_delay_alu instid0(VALU_DEP_1) | instskip(SKIP_3) | instid1(VALU_DEP_1)
	v_add_nc_u32_e32 v37, v37, v38
	ds_swizzle_b32 v38, v37 offset:swizzle(BROADCAST,32,15)
	s_waitcnt lgkmcnt(0)
	v_cndmask_b32_e64 v38, v38, 0, s9
	v_add_nc_u32_e32 v37, v37, v38
	ds_store_b32 v21, v37
.LBB120_21:
	s_or_b32 exec_lo, exec_lo, s35
	v_mov_b32_e32 v21, 0
	s_waitcnt lgkmcnt(0)
	s_barrier
	buffer_gl0_inv
	s_and_saveexec_b32 s5, s10
	s_cbranch_execz .LBB120_23
; %bb.22:
	v_lshl_add_u32 v21, v36, 2, -4
	ds_load_b32 v21, v21
.LBB120_23:
	s_or_b32 exec_lo, exec_lo, s5
	v_add_nc_u32_e32 v36, -1, v18
	s_waitcnt lgkmcnt(0)
	v_add_nc_u32_e32 v35, v21, v35
	s_delay_alu instid0(VALU_DEP_2) | instskip(NEXT) | instid1(VALU_DEP_1)
	v_cmp_gt_i32_e64 s5, 0, v36
	v_cndmask_b32_e64 v36, v36, v18, s5
	v_cmp_eq_u32_e64 s5, 0, v18
	s_delay_alu instid0(VALU_DEP_2) | instskip(SKIP_4) | instid1(VALU_DEP_1)
	v_lshlrev_b32_e32 v36, 2, v36
	ds_bpermute_b32 v35, v36, v35
	s_waitcnt lgkmcnt(0)
	v_cndmask_b32_e64 v21, v35, v21, s5
	v_cmp_ne_u32_e64 s5, 0, v9
	v_cndmask_b32_e64 v21, 0, v21, s5
	v_cmp_gt_u32_e64 s5, 0x100, v9
	s_delay_alu instid0(VALU_DEP_2) | instskip(NEXT) | instid1(VALU_DEP_1)
	v_add_nc_u32_e32 v16, v21, v16
	v_add_nc_u32_e32 v17, v16, v17
	s_delay_alu instid0(VALU_DEP_1) | instskip(NEXT) | instid1(VALU_DEP_1)
	v_add_nc_u32_e32 v14, v17, v14
	v_add_nc_u32_e32 v15, v14, v15
	s_delay_alu instid0(VALU_DEP_1) | instskip(NEXT) | instid1(VALU_DEP_1)
	;; [unrolled: 3-line block ×3, first 2 shown]
	v_add_nc_u32_e32 v10, v13, v10
	v_add_nc_u32_e32 v11, v10, v11
	ds_store_2addr_b32 v23, v21, v16 offset0:32 offset1:33
	ds_store_2addr_b32 v34, v17, v14 offset0:2 offset1:3
	;; [unrolled: 1-line block ×4, first 2 shown]
	ds_store_b32 v34, v11 offset:32
	s_waitcnt lgkmcnt(0)
	s_barrier
	buffer_gl0_inv
	ds_load_b32 v14, v24 offset:128
	ds_load_b32 v15, v27 offset:128
	;; [unrolled: 1-line block ×4, first 2 shown]
                                        ; implicit-def: $vgpr12
                                        ; implicit-def: $vgpr13
	s_and_saveexec_b32 s7, s5
	s_cbranch_execz .LBB120_27
; %bb.24:
	v_mul_u32_u24_e32 v12, 33, v9
	s_mov_b32 s8, exec_lo
	s_delay_alu instid0(VALU_DEP_1)
	v_dual_mov_b32 v13, 0x1000 :: v_dual_lshlrev_b32 v16, 2, v12
	ds_load_b32 v12, v16 offset:128
	v_cmpx_ne_u32_e32 0xff, v9
	s_cbranch_execz .LBB120_26
; %bb.25:
	ds_load_b32 v13, v16 offset:260
.LBB120_26:
	s_or_b32 exec_lo, exec_lo, s8
	s_waitcnt lgkmcnt(0)
	v_sub_nc_u32_e32 v13, v13, v12
.LBB120_27:
	s_or_b32 exec_lo, exec_lo, s7
	v_add_nc_u32_e32 v17, v32, v31
	v_add_nc_u32_e32 v16, v26, v25
	;; [unrolled: 1-line block ×3, first 2 shown]
	s_waitcnt lgkmcnt(3)
	v_add_lshl_u32 v14, v14, v22, 3
	s_waitcnt lgkmcnt(0)
	v_add_lshl_u32 v17, v17, v10, 3
	v_add_lshl_u32 v15, v16, v15, 3
	;; [unrolled: 1-line block ×3, first 2 shown]
	s_barrier
	buffer_gl0_inv
	ds_store_b64 v14, v[1:2] offset:2048
	ds_store_b64 v15, v[3:4] offset:2048
	;; [unrolled: 1-line block ×4, first 2 shown]
	s_waitcnt lgkmcnt(0)
	s_barrier
	buffer_gl0_inv
	s_and_saveexec_b32 s7, s5
	s_cbranch_execz .LBB120_37
; %bb.28:
	v_lshl_or_b32 v3, s15, 8, v9
	v_dual_mov_b32 v4, 0 :: v_dual_mov_b32 v7, 0
	s_mov_b32 s8, 0
	s_mov_b32 s9, s15
	s_delay_alu instid0(VALU_DEP_1) | instskip(SKIP_1) | instid1(VALU_DEP_2)
	v_lshlrev_b64 v[1:2], 2, v[3:4]
	v_or_b32_e32 v3, 2.0, v13
	v_add_co_u32 v1, s6, s12, v1
	s_delay_alu instid0(VALU_DEP_1)
	v_add_co_ci_u32_e64 v2, s6, s13, v2, s6
                                        ; implicit-def: $sgpr6
	global_store_b32 v[1:2], v3, off
	s_branch .LBB120_30
	.p2align	6
.LBB120_29:                             ;   in Loop: Header=BB120_30 Depth=1
	s_or_b32 exec_lo, exec_lo, s10
	v_and_b32_e32 v5, 0x3fffffff, v8
	v_cmp_eq_u32_e64 s6, 0x80000000, v3
	s_delay_alu instid0(VALU_DEP_2) | instskip(NEXT) | instid1(VALU_DEP_2)
	v_add_nc_u32_e32 v7, v5, v7
	s_and_b32 s10, exec_lo, s6
	s_delay_alu instid0(SALU_CYCLE_1) | instskip(NEXT) | instid1(SALU_CYCLE_1)
	s_or_b32 s8, s10, s8
	s_and_not1_b32 exec_lo, exec_lo, s8
	s_cbranch_execz .LBB120_36
.LBB120_30:                             ; =>This Loop Header: Depth=1
                                        ;     Child Loop BB120_33 Depth 2
	s_or_b32 s6, s6, exec_lo
	s_cmp_eq_u32 s9, 0
	s_cbranch_scc1 .LBB120_35
; %bb.31:                               ;   in Loop: Header=BB120_30 Depth=1
	s_add_i32 s9, s9, -1
	s_mov_b32 s10, exec_lo
	v_lshl_or_b32 v3, s9, 8, v9
	s_delay_alu instid0(VALU_DEP_1) | instskip(NEXT) | instid1(VALU_DEP_1)
	v_lshlrev_b64 v[5:6], 2, v[3:4]
	v_add_co_u32 v5, s6, s12, v5
	s_delay_alu instid0(VALU_DEP_1) | instskip(SKIP_3) | instid1(VALU_DEP_1)
	v_add_co_ci_u32_e64 v6, s6, s13, v6, s6
	global_load_b32 v8, v[5:6], off glc
	s_waitcnt vmcnt(0)
	v_and_b32_e32 v3, -2.0, v8
	v_cmpx_eq_u32_e32 0, v3
	s_cbranch_execz .LBB120_29
; %bb.32:                               ;   in Loop: Header=BB120_30 Depth=1
	s_mov_b32 s11, 0
.LBB120_33:                             ;   Parent Loop BB120_30 Depth=1
                                        ; =>  This Inner Loop Header: Depth=2
	global_load_b32 v8, v[5:6], off glc
	s_waitcnt vmcnt(0)
	v_and_b32_e32 v3, -2.0, v8
	s_delay_alu instid0(VALU_DEP_1) | instskip(NEXT) | instid1(VALU_DEP_1)
	v_cmp_ne_u32_e64 s6, 0, v3
	s_or_b32 s11, s6, s11
	s_delay_alu instid0(SALU_CYCLE_1)
	s_and_not1_b32 exec_lo, exec_lo, s11
	s_cbranch_execnz .LBB120_33
; %bb.34:                               ;   in Loop: Header=BB120_30 Depth=1
	s_or_b32 exec_lo, exec_lo, s11
	s_branch .LBB120_29
.LBB120_35:                             ;   in Loop: Header=BB120_30 Depth=1
                                        ; implicit-def: $sgpr9
	s_and_b32 s10, exec_lo, s6
	s_delay_alu instid0(SALU_CYCLE_1) | instskip(NEXT) | instid1(SALU_CYCLE_1)
	s_or_b32 s8, s10, s8
	s_and_not1_b32 exec_lo, exec_lo, s8
	s_cbranch_execnz .LBB120_30
.LBB120_36:
	s_or_b32 exec_lo, exec_lo, s8
	v_add_nc_u32_e32 v3, v7, v13
	v_lshlrev_b32_e32 v4, 3, v9
	s_delay_alu instid0(VALU_DEP_2) | instskip(SKIP_3) | instid1(VALU_DEP_1)
	v_or_b32_e32 v3, 0x80000000, v3
	global_store_b32 v[1:2], v3, off
	global_load_b64 v[1:2], v4, s[24:25]
	v_sub_co_u32 v3, s6, v7, v12
	v_sub_co_ci_u32_e64 v5, null, 0, 0, s6
	s_waitcnt vmcnt(0)
	s_delay_alu instid0(VALU_DEP_2) | instskip(NEXT) | instid1(VALU_DEP_1)
	v_add_co_u32 v1, s6, v3, v1
	v_add_co_ci_u32_e64 v2, s6, v5, v2, s6
	ds_store_b64 v4, v[1:2]
.LBB120_37:
	s_or_b32 exec_lo, exec_lo, s7
	v_cmp_gt_u32_e64 s6, s33, v9
	v_lshlrev_b32_e32 v21, 3, v9
	s_waitcnt lgkmcnt(0)
	s_waitcnt_vscnt null, 0x0
	s_barrier
	buffer_gl0_inv
	s_and_saveexec_b32 s8, s6
	s_cbranch_execz .LBB120_39
; %bb.38:
	ds_load_b64 v[1:2], v21 offset:2048
	s_waitcnt lgkmcnt(0)
	v_lshrrev_b64 v[3:4], s28, v[1:2]
	v_xor_b32_e32 v2, 0x80000000, v2
	s_delay_alu instid0(VALU_DEP_2) | instskip(NEXT) | instid1(VALU_DEP_1)
	v_and_b32_e32 v3, s34, v3
	v_lshlrev_b32_e32 v3, 3, v3
	ds_load_b64 v[3:4], v3
	s_waitcnt lgkmcnt(0)
	v_lshlrev_b64 v[3:4], 3, v[3:4]
	s_delay_alu instid0(VALU_DEP_1) | instskip(NEXT) | instid1(VALU_DEP_1)
	v_add_co_u32 v3, s7, s18, v3
	v_add_co_ci_u32_e64 v4, s7, s19, v4, s7
	s_delay_alu instid0(VALU_DEP_2) | instskip(NEXT) | instid1(VALU_DEP_1)
	v_add_co_u32 v3, s7, v3, v21
	v_add_co_ci_u32_e64 v4, s7, 0, v4, s7
	global_store_b64 v[3:4], v[1:2], off
.LBB120_39:
	s_or_b32 exec_lo, exec_lo, s8
	v_or_b32_e32 v1, 0x400, v9
	s_delay_alu instid0(VALU_DEP_1) | instskip(SKIP_1) | instid1(VALU_DEP_2)
	v_cmp_gt_u32_e64 s7, s33, v1
	v_lshlrev_b32_e32 v22, 3, v1
	s_and_saveexec_b32 s9, s7
	s_cbranch_execz .LBB120_41
; %bb.40:
	ds_load_b64 v[1:2], v21 offset:10240
	s_waitcnt lgkmcnt(0)
	v_lshrrev_b64 v[3:4], s28, v[1:2]
	v_xor_b32_e32 v2, 0x80000000, v2
	s_delay_alu instid0(VALU_DEP_2) | instskip(NEXT) | instid1(VALU_DEP_1)
	v_and_b32_e32 v3, s34, v3
	v_lshlrev_b32_e32 v3, 3, v3
	ds_load_b64 v[3:4], v3
	s_waitcnt lgkmcnt(0)
	v_lshlrev_b64 v[3:4], 3, v[3:4]
	s_delay_alu instid0(VALU_DEP_1) | instskip(NEXT) | instid1(VALU_DEP_1)
	v_add_co_u32 v3, s8, s18, v3
	v_add_co_ci_u32_e64 v4, s8, s19, v4, s8
	s_delay_alu instid0(VALU_DEP_2) | instskip(NEXT) | instid1(VALU_DEP_1)
	v_add_co_u32 v3, s8, v3, v22
	v_add_co_ci_u32_e64 v4, s8, 0, v4, s8
	global_store_b64 v[3:4], v[1:2], off
.LBB120_41:
	s_or_b32 exec_lo, exec_lo, s9
	v_or_b32_e32 v1, 0x800, v9
	s_delay_alu instid0(VALU_DEP_1) | instskip(SKIP_1) | instid1(VALU_DEP_2)
	v_cmp_gt_u32_e64 s8, s33, v1
	v_lshlrev_b32_e32 v23, 3, v1
	;; [unrolled: 26-line block ×3, first 2 shown]
	s_and_saveexec_b32 s11, s9
	s_cbranch_execz .LBB120_45
; %bb.44:
	ds_load_b64 v[1:2], v21 offset:26624
	s_waitcnt lgkmcnt(0)
	v_lshrrev_b64 v[3:4], s28, v[1:2]
	v_xor_b32_e32 v2, 0x80000000, v2
	s_delay_alu instid0(VALU_DEP_2) | instskip(NEXT) | instid1(VALU_DEP_1)
	v_and_b32_e32 v3, s34, v3
	v_lshlrev_b32_e32 v3, 3, v3
	ds_load_b64 v[3:4], v3
	s_waitcnt lgkmcnt(0)
	v_lshlrev_b64 v[3:4], 3, v[3:4]
	s_delay_alu instid0(VALU_DEP_1) | instskip(NEXT) | instid1(VALU_DEP_1)
	v_add_co_u32 v3, s10, s18, v3
	v_add_co_ci_u32_e64 v4, s10, s19, v4, s10
	s_delay_alu instid0(VALU_DEP_2) | instskip(NEXT) | instid1(VALU_DEP_1)
	v_add_co_u32 v3, s10, v3, v24
	v_add_co_ci_u32_e64 v4, s10, 0, v4, s10
	global_store_b64 v[3:4], v[1:2], off
.LBB120_45:
	s_or_b32 exec_lo, exec_lo, s11
	s_add_u32 s10, s20, s30
	s_addc_u32 s11, s21, s31
	v_add_co_u32 v1, s10, s10, v19
	s_delay_alu instid0(VALU_DEP_1) | instskip(NEXT) | instid1(VALU_DEP_2)
	v_add_co_ci_u32_e64 v2, null, s11, 0, s10
	v_add_co_u32 v10, s10, v1, v20
	s_delay_alu instid0(VALU_DEP_1) | instskip(SKIP_1) | instid1(SALU_CYCLE_1)
	v_add_co_ci_u32_e64 v11, s10, 0, v2, s10
                                        ; implicit-def: $vgpr1_vgpr2
	s_and_saveexec_b32 s10, vcc_lo
	s_xor_b32 s10, exec_lo, s10
	s_cbranch_execnz .LBB120_103
; %bb.46:
	s_or_b32 exec_lo, exec_lo, s10
                                        ; implicit-def: $vgpr3_vgpr4
	s_and_saveexec_b32 s10, s2
	s_cbranch_execnz .LBB120_104
.LBB120_47:
	s_or_b32 exec_lo, exec_lo, s10
                                        ; implicit-def: $vgpr5_vgpr6
	s_and_saveexec_b32 s2, s3
	s_cbranch_execnz .LBB120_105
.LBB120_48:
	s_or_b32 exec_lo, exec_lo, s2
                                        ; implicit-def: $vgpr7_vgpr8
	s_and_saveexec_b32 s2, s4
	s_cbranch_execz .LBB120_50
.LBB120_49:
	global_load_b64 v[7:8], v[10:11], off offset:768
.LBB120_50:
	s_or_b32 exec_lo, exec_lo, s2
	v_dual_mov_b32 v11, 0 :: v_dual_mov_b32 v20, 0
	s_and_saveexec_b32 s2, s6
	s_cbranch_execz .LBB120_52
; %bb.51:
	ds_load_b64 v[19:20], v21 offset:2048
	s_waitcnt lgkmcnt(0)
	v_lshrrev_b64 v[19:20], s28, v[19:20]
	s_delay_alu instid0(VALU_DEP_1)
	v_and_b32_e32 v20, s34, v19
.LBB120_52:
	s_or_b32 exec_lo, exec_lo, s2
	s_and_saveexec_b32 s2, s7
	s_cbranch_execz .LBB120_54
; %bb.53:
	ds_load_b64 v[10:11], v21 offset:10240
	s_waitcnt lgkmcnt(0)
	v_lshrrev_b64 v[10:11], s28, v[10:11]
	s_delay_alu instid0(VALU_DEP_1)
	v_and_b32_e32 v11, s34, v10
.LBB120_54:
	s_or_b32 exec_lo, exec_lo, s2
	v_dual_mov_b32 v10, 0 :: v_dual_mov_b32 v19, 0
	s_and_saveexec_b32 s2, s8
	s_cbranch_execz .LBB120_56
; %bb.55:
	ds_load_b64 v[25:26], v21 offset:18432
	s_waitcnt lgkmcnt(0)
	v_lshrrev_b64 v[25:26], s28, v[25:26]
	s_delay_alu instid0(VALU_DEP_1)
	v_and_b32_e32 v19, s34, v25
.LBB120_56:
	s_or_b32 exec_lo, exec_lo, s2
	s_and_saveexec_b32 s2, s9
	s_cbranch_execz .LBB120_58
; %bb.57:
	ds_load_b64 v[25:26], v21 offset:26624
	s_waitcnt lgkmcnt(0)
	v_lshrrev_b64 v[25:26], s28, v[25:26]
	s_delay_alu instid0(VALU_DEP_1)
	v_and_b32_e32 v10, s34, v25
.LBB120_58:
	s_or_b32 exec_lo, exec_lo, s2
	s_waitcnt vmcnt(0)
	s_waitcnt_vscnt null, 0x0
	s_barrier
	buffer_gl0_inv
	ds_store_b64 v14, v[1:2] offset:2048
	ds_store_b64 v15, v[3:4] offset:2048
	;; [unrolled: 1-line block ×4, first 2 shown]
	s_waitcnt lgkmcnt(0)
	s_barrier
	buffer_gl0_inv
	s_and_saveexec_b32 s2, s6
	s_cbranch_execnz .LBB120_106
; %bb.59:
	s_or_b32 exec_lo, exec_lo, s2
	s_and_saveexec_b32 s2, s7
	s_cbranch_execnz .LBB120_107
.LBB120_60:
	s_or_b32 exec_lo, exec_lo, s2
	s_and_saveexec_b32 s2, s8
	s_cbranch_execnz .LBB120_108
.LBB120_61:
	s_or_b32 exec_lo, exec_lo, s2
	s_and_saveexec_b32 s2, s9
	s_cbranch_execz .LBB120_63
.LBB120_62:
	v_lshlrev_b32_e32 v1, 3, v10
	ds_load_b64 v[1:2], v1
	ds_load_b64 v[3:4], v21 offset:26624
	s_waitcnt lgkmcnt(1)
	v_lshlrev_b64 v[1:2], 3, v[1:2]
	s_delay_alu instid0(VALU_DEP_1) | instskip(NEXT) | instid1(VALU_DEP_2)
	v_add_co_u32 v1, vcc_lo, s22, v1
	v_add_co_ci_u32_e32 v2, vcc_lo, s23, v2, vcc_lo
	s_delay_alu instid0(VALU_DEP_2) | instskip(NEXT) | instid1(VALU_DEP_2)
	v_add_co_u32 v1, vcc_lo, v1, v24
	v_add_co_ci_u32_e32 v2, vcc_lo, 0, v2, vcc_lo
	s_waitcnt lgkmcnt(0)
	global_store_b64 v[1:2], v[3:4], off
.LBB120_63:
	s_or_b32 exec_lo, exec_lo, s2
	s_add_i32 s14, s14, -1
	s_mov_b32 s2, 0
	s_cmp_eq_u32 s15, s14
	s_mov_b32 s8, 0
	s_cselect_b32 s3, -1, 0
                                        ; implicit-def: $vgpr1_vgpr2
	s_delay_alu instid0(SALU_CYCLE_1) | instskip(NEXT) | instid1(SALU_CYCLE_1)
	s_and_b32 s3, s5, s3
	s_and_saveexec_b32 s4, s3
	s_delay_alu instid0(SALU_CYCLE_1)
	s_xor_b32 s3, exec_lo, s4
; %bb.64:
	v_add_co_u32 v1, s4, v12, v13
	v_mov_b32_e32 v10, 0
	v_add_co_ci_u32_e64 v2, null, 0, 0, s4
	s_mov_b32 s8, exec_lo
; %bb.65:
	s_or_b32 exec_lo, exec_lo, s3
	s_delay_alu instid0(SALU_CYCLE_1)
	s_and_b32 vcc_lo, exec_lo, s2
	s_cbranch_vccnz .LBB120_67
	s_branch .LBB120_100
.LBB120_66:
	s_mov_b32 s8, 0
                                        ; implicit-def: $vgpr1_vgpr2
	s_cbranch_execz .LBB120_100
.LBB120_67:
	v_dual_mov_b32 v12, 0 :: v_dual_lshlrev_b32 v21, 2, v9
	s_lshl_b32 s2, s15, 12
	s_mov_b32 s3, 0
	v_lshlrev_b32_e32 v20, 3, v18
	s_delay_alu instid0(VALU_DEP_2) | instskip(SKIP_1) | instid1(SALU_CYCLE_1)
	v_and_b32_e32 v1, 0xf80, v21
	s_lshl_b64 s[6:7], s[2:3], 3
	s_add_u32 s2, s16, s6
	s_addc_u32 s3, s17, s7
	s_delay_alu instid0(VALU_DEP_1) | instskip(SKIP_1) | instid1(VALU_DEP_1)
	v_lshlrev_b32_e32 v19, 3, v1
	v_add_co_u32 v1, s2, s2, v20
	v_add_co_ci_u32_e64 v2, null, s3, 0, s2
	s_delay_alu instid0(VALU_DEP_2) | instskip(NEXT) | instid1(VALU_DEP_2)
	v_add_co_u32 v3, vcc_lo, v1, v19
	v_add_co_ci_u32_e32 v4, vcc_lo, 0, v2, vcc_lo
	global_load_b64 v[1:2], v[3:4], off
	s_clause 0x1
	s_load_b32 s2, s[0:1], 0x5c
	s_load_b32 s9, s[0:1], 0x50
	s_add_u32 s0, s0, 0x50
	s_addc_u32 s1, s1, 0
	s_waitcnt lgkmcnt(0)
	s_lshr_b32 s2, s2, 16
	s_cmp_lt_u32 s15, s9
	s_cselect_b32 s3, 12, 18
	s_delay_alu instid0(SALU_CYCLE_1)
	s_add_u32 s0, s0, s3
	s_addc_u32 s1, s1, 0
	global_load_u16 v13, v12, s[0:1]
	s_clause 0x2
	global_load_b64 v[7:8], v[3:4], off offset:256
	global_load_b64 v[5:6], v[3:4], off offset:512
	;; [unrolled: 1-line block ×3, first 2 shown]
	s_lshl_b32 s0, -1, s29
	s_delay_alu instid0(SALU_CYCLE_1) | instskip(SKIP_2) | instid1(VALU_DEP_1)
	s_not_b32 s10, s0
	s_waitcnt vmcnt(4)
	v_xor_b32_e32 v2, 0x80000000, v2
	v_lshrrev_b64 v[10:11], s28, v[1:2]
	s_delay_alu instid0(VALU_DEP_1) | instskip(SKIP_2) | instid1(VALU_DEP_3)
	v_and_b32_e32 v14, s10, v10
	v_bfe_u32 v10, v0, 10, 10
	v_bfe_u32 v0, v0, 20, 10
	v_and_b32_e32 v11, 1, v14
	v_lshlrev_b32_e32 v15, 30, v14
	v_lshlrev_b32_e32 v16, 29, v14
	;; [unrolled: 1-line block ×4, first 2 shown]
	v_add_co_u32 v11, s0, v11, -1
	s_delay_alu instid0(VALU_DEP_1)
	v_cndmask_b32_e64 v22, 0, 1, s0
	v_not_b32_e32 v26, v15
	v_cmp_gt_i32_e64 s0, 0, v15
	v_not_b32_e32 v15, v16
	v_lshlrev_b32_e32 v24, 26, v14
	v_cmp_ne_u32_e32 vcc_lo, 0, v22
	v_ashrrev_i32_e32 v26, 31, v26
	v_lshlrev_b32_e32 v25, 25, v14
	v_ashrrev_i32_e32 v15, 31, v15
	v_lshlrev_b32_e32 v22, 24, v14
	v_xor_b32_e32 v11, vcc_lo, v11
	v_cmp_gt_i32_e32 vcc_lo, 0, v16
	v_not_b32_e32 v16, v17
	v_xor_b32_e32 v26, s0, v26
	v_cmp_gt_i32_e64 s0, 0, v17
	v_and_b32_e32 v11, exec_lo, v11
	v_not_b32_e32 v17, v23
	v_ashrrev_i32_e32 v16, 31, v16
	v_xor_b32_e32 v15, vcc_lo, v15
	v_cmp_gt_i32_e32 vcc_lo, 0, v23
	v_and_b32_e32 v11, v11, v26
	v_not_b32_e32 v23, v24
	v_ashrrev_i32_e32 v17, 31, v17
	v_xor_b32_e32 v16, s0, v16
	v_cmp_gt_i32_e64 s0, 0, v24
	v_and_b32_e32 v11, v11, v15
	v_not_b32_e32 v15, v25
	v_ashrrev_i32_e32 v23, 31, v23
	v_xor_b32_e32 v17, vcc_lo, v17
	v_cmp_gt_i32_e32 vcc_lo, 0, v25
	v_and_b32_e32 v11, v11, v16
	v_not_b32_e32 v16, v22
	v_ashrrev_i32_e32 v15, 31, v15
	v_xor_b32_e32 v23, s0, v23
	v_cmp_gt_i32_e64 s0, 0, v22
	v_and_b32_e32 v11, v11, v17
	v_ashrrev_i32_e32 v16, 31, v16
	v_xor_b32_e32 v15, vcc_lo, v15
	v_mad_u32_u24 v0, v0, s2, v10
	v_mul_u32_u24_e32 v17, 9, v9
	v_and_b32_e32 v11, v11, v23
	v_xor_b32_e32 v16, s0, v16
	s_delay_alu instid0(VALU_DEP_3) | instskip(NEXT) | instid1(VALU_DEP_3)
	v_lshlrev_b32_e32 v22, 2, v17
	v_and_b32_e32 v15, v11, v15
	s_waitcnt vmcnt(3)
	v_mad_u64_u32 v[10:11], null, v0, v13, v[9:10]
	ds_store_2addr_b32 v22, v12, v12 offset0:32 offset1:33
	ds_store_2addr_b32 v22, v12, v12 offset0:34 offset1:35
	;; [unrolled: 1-line block ×4, first 2 shown]
	v_and_b32_e32 v11, v15, v16
	ds_store_b32 v22, v12 offset:160
	v_lshl_add_u32 v12, v14, 5, v14
	s_waitcnt vmcnt(0) lgkmcnt(0)
	s_waitcnt_vscnt null, 0x0
	v_lshrrev_b32_e32 v10, 5, v10
	v_mbcnt_lo_u32_b32 v0, v11, 0
	v_cmp_ne_u32_e64 s0, 0, v11
	s_barrier
	buffer_gl0_inv
	v_add_lshl_u32 v23, v10, v12, 2
	v_cmp_eq_u32_e32 vcc_lo, 0, v0
	; wave barrier
	s_and_b32 s1, s0, vcc_lo
	s_delay_alu instid0(SALU_CYCLE_1)
	s_and_saveexec_b32 s0, s1
	s_cbranch_execz .LBB120_69
; %bb.68:
	v_bcnt_u32_b32 v11, v11, 0
	ds_store_b32 v23, v11 offset:128
.LBB120_69:
	s_or_b32 exec_lo, exec_lo, s0
	v_xor_b32_e32 v8, 0x80000000, v8
	; wave barrier
	s_delay_alu instid0(VALU_DEP_1) | instskip(NEXT) | instid1(VALU_DEP_1)
	v_lshrrev_b64 v[11:12], s28, v[7:8]
	v_and_b32_e32 v11, s10, v11
	s_delay_alu instid0(VALU_DEP_1)
	v_and_b32_e32 v12, 1, v11
	v_lshlrev_b32_e32 v13, 30, v11
	v_lshlrev_b32_e32 v14, 29, v11
	;; [unrolled: 1-line block ×4, first 2 shown]
	v_add_co_u32 v12, s0, v12, -1
	s_delay_alu instid0(VALU_DEP_1)
	v_cndmask_b32_e64 v16, 0, 1, s0
	v_not_b32_e32 v26, v13
	v_cmp_gt_i32_e64 s0, 0, v13
	v_not_b32_e32 v13, v14
	v_lshlrev_b32_e32 v24, 26, v11
	v_cmp_ne_u32_e32 vcc_lo, 0, v16
	v_ashrrev_i32_e32 v26, 31, v26
	v_lshlrev_b32_e32 v25, 25, v11
	v_ashrrev_i32_e32 v13, 31, v13
	v_lshlrev_b32_e32 v16, 24, v11
	v_xor_b32_e32 v12, vcc_lo, v12
	v_cmp_gt_i32_e32 vcc_lo, 0, v14
	v_not_b32_e32 v14, v15
	v_xor_b32_e32 v26, s0, v26
	v_cmp_gt_i32_e64 s0, 0, v15
	v_and_b32_e32 v12, exec_lo, v12
	v_not_b32_e32 v15, v17
	v_ashrrev_i32_e32 v14, 31, v14
	v_xor_b32_e32 v13, vcc_lo, v13
	v_cmp_gt_i32_e32 vcc_lo, 0, v17
	v_and_b32_e32 v12, v12, v26
	v_not_b32_e32 v17, v24
	v_ashrrev_i32_e32 v15, 31, v15
	v_xor_b32_e32 v14, s0, v14
	v_cmp_gt_i32_e64 s0, 0, v24
	v_and_b32_e32 v12, v12, v13
	v_not_b32_e32 v13, v25
	v_ashrrev_i32_e32 v17, 31, v17
	v_xor_b32_e32 v15, vcc_lo, v15
	v_cmp_gt_i32_e32 vcc_lo, 0, v25
	v_and_b32_e32 v12, v12, v14
	v_not_b32_e32 v14, v16
	v_ashrrev_i32_e32 v13, 31, v13
	v_xor_b32_e32 v17, s0, v17
	v_lshl_add_u32 v11, v11, 5, v11
	v_and_b32_e32 v12, v12, v15
	v_cmp_gt_i32_e64 s0, 0, v16
	v_ashrrev_i32_e32 v14, 31, v14
	v_xor_b32_e32 v13, vcc_lo, v13
	v_add_lshl_u32 v26, v10, v11, 2
	v_and_b32_e32 v12, v12, v17
	s_delay_alu instid0(VALU_DEP_4) | instskip(SKIP_2) | instid1(VALU_DEP_1)
	v_xor_b32_e32 v11, s0, v14
	ds_load_b32 v24, v26 offset:128
	v_and_b32_e32 v12, v12, v13
	; wave barrier
	v_and_b32_e32 v11, v12, v11
	s_delay_alu instid0(VALU_DEP_1) | instskip(SKIP_1) | instid1(VALU_DEP_2)
	v_mbcnt_lo_u32_b32 v25, v11, 0
	v_cmp_ne_u32_e64 s0, 0, v11
	v_cmp_eq_u32_e32 vcc_lo, 0, v25
	s_delay_alu instid0(VALU_DEP_2) | instskip(NEXT) | instid1(SALU_CYCLE_1)
	s_and_b32 s1, s0, vcc_lo
	s_and_saveexec_b32 s0, s1
	s_cbranch_execz .LBB120_71
; %bb.70:
	s_waitcnt lgkmcnt(0)
	v_bcnt_u32_b32 v11, v11, v24
	ds_store_b32 v26, v11 offset:128
.LBB120_71:
	s_or_b32 exec_lo, exec_lo, s0
	v_xor_b32_e32 v6, 0x80000000, v6
	; wave barrier
	s_delay_alu instid0(VALU_DEP_1) | instskip(NEXT) | instid1(VALU_DEP_1)
	v_lshrrev_b64 v[11:12], s28, v[5:6]
	v_and_b32_e32 v11, s10, v11
	s_delay_alu instid0(VALU_DEP_1)
	v_and_b32_e32 v12, 1, v11
	v_lshlrev_b32_e32 v13, 30, v11
	v_lshlrev_b32_e32 v14, 29, v11
	;; [unrolled: 1-line block ×4, first 2 shown]
	v_add_co_u32 v12, s0, v12, -1
	s_delay_alu instid0(VALU_DEP_1)
	v_cndmask_b32_e64 v16, 0, 1, s0
	v_not_b32_e32 v29, v13
	v_cmp_gt_i32_e64 s0, 0, v13
	v_not_b32_e32 v13, v14
	v_lshlrev_b32_e32 v27, 26, v11
	v_cmp_ne_u32_e32 vcc_lo, 0, v16
	v_ashrrev_i32_e32 v29, 31, v29
	v_lshlrev_b32_e32 v28, 25, v11
	v_ashrrev_i32_e32 v13, 31, v13
	v_lshlrev_b32_e32 v16, 24, v11
	v_xor_b32_e32 v12, vcc_lo, v12
	v_cmp_gt_i32_e32 vcc_lo, 0, v14
	v_not_b32_e32 v14, v15
	v_xor_b32_e32 v29, s0, v29
	v_cmp_gt_i32_e64 s0, 0, v15
	v_and_b32_e32 v12, exec_lo, v12
	v_not_b32_e32 v15, v17
	v_ashrrev_i32_e32 v14, 31, v14
	v_xor_b32_e32 v13, vcc_lo, v13
	v_cmp_gt_i32_e32 vcc_lo, 0, v17
	v_and_b32_e32 v12, v12, v29
	v_not_b32_e32 v17, v27
	v_ashrrev_i32_e32 v15, 31, v15
	v_xor_b32_e32 v14, s0, v14
	v_cmp_gt_i32_e64 s0, 0, v27
	v_and_b32_e32 v12, v12, v13
	v_not_b32_e32 v13, v28
	v_ashrrev_i32_e32 v17, 31, v17
	v_xor_b32_e32 v15, vcc_lo, v15
	v_cmp_gt_i32_e32 vcc_lo, 0, v28
	v_and_b32_e32 v12, v12, v14
	v_not_b32_e32 v14, v16
	v_ashrrev_i32_e32 v13, 31, v13
	v_xor_b32_e32 v17, s0, v17
	v_lshl_add_u32 v11, v11, 5, v11
	v_and_b32_e32 v12, v12, v15
	v_cmp_gt_i32_e64 s0, 0, v16
	v_ashrrev_i32_e32 v14, 31, v14
	v_xor_b32_e32 v13, vcc_lo, v13
	v_add_lshl_u32 v29, v10, v11, 2
	v_and_b32_e32 v12, v12, v17
	s_delay_alu instid0(VALU_DEP_4) | instskip(SKIP_2) | instid1(VALU_DEP_1)
	v_xor_b32_e32 v11, s0, v14
	ds_load_b32 v27, v29 offset:128
	v_and_b32_e32 v12, v12, v13
	; wave barrier
	v_and_b32_e32 v11, v12, v11
	s_delay_alu instid0(VALU_DEP_1) | instskip(SKIP_1) | instid1(VALU_DEP_2)
	v_mbcnt_lo_u32_b32 v28, v11, 0
	v_cmp_ne_u32_e64 s0, 0, v11
	v_cmp_eq_u32_e32 vcc_lo, 0, v28
	s_delay_alu instid0(VALU_DEP_2) | instskip(NEXT) | instid1(SALU_CYCLE_1)
	s_and_b32 s1, s0, vcc_lo
	s_and_saveexec_b32 s0, s1
	s_cbranch_execz .LBB120_73
; %bb.72:
	s_waitcnt lgkmcnt(0)
	v_bcnt_u32_b32 v11, v11, v27
	ds_store_b32 v29, v11 offset:128
.LBB120_73:
	s_or_b32 exec_lo, exec_lo, s0
	v_xor_b32_e32 v4, 0x80000000, v4
	; wave barrier
	v_add_nc_u32_e32 v33, 0x80, v22
	s_delay_alu instid0(VALU_DEP_2) | instskip(NEXT) | instid1(VALU_DEP_1)
	v_lshrrev_b64 v[11:12], s28, v[3:4]
	v_and_b32_e32 v11, s10, v11
	s_delay_alu instid0(VALU_DEP_1)
	v_and_b32_e32 v12, 1, v11
	v_lshlrev_b32_e32 v13, 30, v11
	v_lshlrev_b32_e32 v14, 29, v11
	;; [unrolled: 1-line block ×4, first 2 shown]
	v_add_co_u32 v12, s0, v12, -1
	s_delay_alu instid0(VALU_DEP_1)
	v_cndmask_b32_e64 v16, 0, 1, s0
	v_not_b32_e32 v32, v13
	v_cmp_gt_i32_e64 s0, 0, v13
	v_not_b32_e32 v13, v14
	v_lshlrev_b32_e32 v30, 26, v11
	v_cmp_ne_u32_e32 vcc_lo, 0, v16
	v_ashrrev_i32_e32 v32, 31, v32
	v_lshlrev_b32_e32 v31, 25, v11
	v_ashrrev_i32_e32 v13, 31, v13
	v_lshlrev_b32_e32 v16, 24, v11
	v_xor_b32_e32 v12, vcc_lo, v12
	v_cmp_gt_i32_e32 vcc_lo, 0, v14
	v_not_b32_e32 v14, v15
	v_xor_b32_e32 v32, s0, v32
	v_cmp_gt_i32_e64 s0, 0, v15
	v_and_b32_e32 v12, exec_lo, v12
	v_not_b32_e32 v15, v17
	v_ashrrev_i32_e32 v14, 31, v14
	v_xor_b32_e32 v13, vcc_lo, v13
	v_cmp_gt_i32_e32 vcc_lo, 0, v17
	v_and_b32_e32 v12, v12, v32
	v_not_b32_e32 v17, v30
	v_ashrrev_i32_e32 v15, 31, v15
	v_xor_b32_e32 v14, s0, v14
	v_cmp_gt_i32_e64 s0, 0, v30
	v_and_b32_e32 v12, v12, v13
	v_not_b32_e32 v13, v31
	v_ashrrev_i32_e32 v17, 31, v17
	v_xor_b32_e32 v15, vcc_lo, v15
	v_cmp_gt_i32_e32 vcc_lo, 0, v31
	v_and_b32_e32 v12, v12, v14
	v_not_b32_e32 v14, v16
	v_ashrrev_i32_e32 v13, 31, v13
	v_xor_b32_e32 v17, s0, v17
	v_lshl_add_u32 v11, v11, 5, v11
	v_and_b32_e32 v12, v12, v15
	v_cmp_gt_i32_e64 s0, 0, v16
	v_ashrrev_i32_e32 v14, 31, v14
	v_xor_b32_e32 v13, vcc_lo, v13
	v_add_lshl_u32 v32, v10, v11, 2
	v_and_b32_e32 v12, v12, v17
	s_delay_alu instid0(VALU_DEP_4) | instskip(SKIP_2) | instid1(VALU_DEP_1)
	v_xor_b32_e32 v10, s0, v14
	ds_load_b32 v30, v32 offset:128
	v_and_b32_e32 v11, v12, v13
	; wave barrier
	v_and_b32_e32 v10, v11, v10
	s_delay_alu instid0(VALU_DEP_1) | instskip(SKIP_1) | instid1(VALU_DEP_2)
	v_mbcnt_lo_u32_b32 v31, v10, 0
	v_cmp_ne_u32_e64 s0, 0, v10
	v_cmp_eq_u32_e32 vcc_lo, 0, v31
	s_delay_alu instid0(VALU_DEP_2) | instskip(NEXT) | instid1(SALU_CYCLE_1)
	s_and_b32 s1, s0, vcc_lo
	s_and_saveexec_b32 s0, s1
	s_cbranch_execz .LBB120_75
; %bb.74:
	s_waitcnt lgkmcnt(0)
	v_bcnt_u32_b32 v10, v10, v30
	ds_store_b32 v32, v10 offset:128
.LBB120_75:
	s_or_b32 exec_lo, exec_lo, s0
	; wave barrier
	s_waitcnt lgkmcnt(0)
	s_barrier
	buffer_gl0_inv
	ds_load_2addr_b32 v[16:17], v22 offset0:32 offset1:33
	ds_load_2addr_b32 v[14:15], v33 offset0:2 offset1:3
	;; [unrolled: 1-line block ×4, first 2 shown]
	ds_load_b32 v34, v33 offset:32
	v_and_b32_e32 v37, 16, v18
	v_and_b32_e32 v38, 31, v9
	s_mov_b32 s5, exec_lo
	s_delay_alu instid0(VALU_DEP_2) | instskip(SKIP_3) | instid1(VALU_DEP_1)
	v_cmp_eq_u32_e64 s3, 0, v37
	s_waitcnt lgkmcnt(3)
	v_add3_u32 v35, v17, v16, v14
	s_waitcnt lgkmcnt(2)
	v_add3_u32 v35, v35, v15, v12
	s_waitcnt lgkmcnt(1)
	s_delay_alu instid0(VALU_DEP_1) | instskip(SKIP_1) | instid1(VALU_DEP_1)
	v_add3_u32 v35, v35, v13, v10
	s_waitcnt lgkmcnt(0)
	v_add3_u32 v34, v35, v11, v34
	v_and_b32_e32 v35, 15, v18
	s_delay_alu instid0(VALU_DEP_2) | instskip(NEXT) | instid1(VALU_DEP_2)
	v_mov_b32_dpp v36, v34 row_shr:1 row_mask:0xf bank_mask:0xf
	v_cmp_eq_u32_e32 vcc_lo, 0, v35
	v_cmp_lt_u32_e64 s0, 1, v35
	v_cmp_lt_u32_e64 s1, 3, v35
	;; [unrolled: 1-line block ×3, first 2 shown]
	v_cndmask_b32_e64 v36, v36, 0, vcc_lo
	s_delay_alu instid0(VALU_DEP_1) | instskip(NEXT) | instid1(VALU_DEP_1)
	v_add_nc_u32_e32 v34, v36, v34
	v_mov_b32_dpp v36, v34 row_shr:2 row_mask:0xf bank_mask:0xf
	s_delay_alu instid0(VALU_DEP_1) | instskip(NEXT) | instid1(VALU_DEP_1)
	v_cndmask_b32_e64 v36, 0, v36, s0
	v_add_nc_u32_e32 v34, v34, v36
	s_delay_alu instid0(VALU_DEP_1) | instskip(NEXT) | instid1(VALU_DEP_1)
	v_mov_b32_dpp v36, v34 row_shr:4 row_mask:0xf bank_mask:0xf
	v_cndmask_b32_e64 v36, 0, v36, s1
	s_delay_alu instid0(VALU_DEP_1) | instskip(NEXT) | instid1(VALU_DEP_1)
	v_add_nc_u32_e32 v34, v34, v36
	v_mov_b32_dpp v36, v34 row_shr:8 row_mask:0xf bank_mask:0xf
	s_delay_alu instid0(VALU_DEP_1) | instskip(SKIP_1) | instid1(VALU_DEP_2)
	v_cndmask_b32_e64 v35, 0, v36, s2
	v_bfe_i32 v36, v18, 4, 1
	v_add_nc_u32_e32 v34, v34, v35
	ds_swizzle_b32 v35, v34 offset:swizzle(BROADCAST,32,15)
	s_waitcnt lgkmcnt(0)
	v_and_b32_e32 v36, v36, v35
	v_lshrrev_b32_e32 v35, 5, v9
	s_delay_alu instid0(VALU_DEP_2)
	v_add_nc_u32_e32 v34, v34, v36
	v_cmpx_eq_u32_e32 31, v38
	s_cbranch_execz .LBB120_77
; %bb.76:
	s_delay_alu instid0(VALU_DEP_3)
	v_lshlrev_b32_e32 v36, 2, v35
	ds_store_b32 v36, v34
.LBB120_77:
	s_or_b32 exec_lo, exec_lo, s5
	v_cmp_lt_u32_e64 s4, 31, v9
	s_mov_b32 s11, exec_lo
	s_waitcnt lgkmcnt(0)
	s_barrier
	buffer_gl0_inv
	v_cmpx_gt_u32_e32 32, v9
	s_cbranch_execz .LBB120_79
; %bb.78:
	ds_load_b32 v36, v21
	s_waitcnt lgkmcnt(0)
	v_mov_b32_dpp v37, v36 row_shr:1 row_mask:0xf bank_mask:0xf
	s_delay_alu instid0(VALU_DEP_1) | instskip(NEXT) | instid1(VALU_DEP_1)
	v_cndmask_b32_e64 v37, v37, 0, vcc_lo
	v_add_nc_u32_e32 v36, v37, v36
	s_delay_alu instid0(VALU_DEP_1) | instskip(NEXT) | instid1(VALU_DEP_1)
	v_mov_b32_dpp v37, v36 row_shr:2 row_mask:0xf bank_mask:0xf
	v_cndmask_b32_e64 v37, 0, v37, s0
	s_delay_alu instid0(VALU_DEP_1) | instskip(NEXT) | instid1(VALU_DEP_1)
	v_add_nc_u32_e32 v36, v36, v37
	v_mov_b32_dpp v37, v36 row_shr:4 row_mask:0xf bank_mask:0xf
	s_delay_alu instid0(VALU_DEP_1) | instskip(NEXT) | instid1(VALU_DEP_1)
	v_cndmask_b32_e64 v37, 0, v37, s1
	v_add_nc_u32_e32 v36, v36, v37
	s_delay_alu instid0(VALU_DEP_1) | instskip(NEXT) | instid1(VALU_DEP_1)
	v_mov_b32_dpp v37, v36 row_shr:8 row_mask:0xf bank_mask:0xf
	v_cndmask_b32_e64 v37, 0, v37, s2
	s_delay_alu instid0(VALU_DEP_1) | instskip(SKIP_3) | instid1(VALU_DEP_1)
	v_add_nc_u32_e32 v36, v36, v37
	ds_swizzle_b32 v37, v36 offset:swizzle(BROADCAST,32,15)
	s_waitcnt lgkmcnt(0)
	v_cndmask_b32_e64 v37, v37, 0, s3
	v_add_nc_u32_e32 v36, v36, v37
	ds_store_b32 v21, v36
.LBB120_79:
	s_or_b32 exec_lo, exec_lo, s11
	v_mov_b32_e32 v21, 0
	s_waitcnt lgkmcnt(0)
	s_barrier
	buffer_gl0_inv
	s_and_saveexec_b32 s0, s4
	s_cbranch_execz .LBB120_81
; %bb.80:
	v_lshl_add_u32 v21, v35, 2, -4
	ds_load_b32 v21, v21
.LBB120_81:
	s_or_b32 exec_lo, exec_lo, s0
	v_add_nc_u32_e32 v35, -1, v18
	s_waitcnt lgkmcnt(0)
	v_add_nc_u32_e32 v34, v21, v34
	v_cmp_lt_u32_e64 s0, 0xff, v9
	s_delay_alu instid0(VALU_DEP_3) | instskip(SKIP_2) | instid1(VALU_DEP_2)
	v_cmp_gt_i32_e32 vcc_lo, 0, v35
	v_cndmask_b32_e32 v35, v35, v18, vcc_lo
	v_cmp_eq_u32_e32 vcc_lo, 0, v18
	v_lshlrev_b32_e32 v35, 2, v35
	ds_bpermute_b32 v34, v35, v34
	s_waitcnt lgkmcnt(0)
	v_cndmask_b32_e32 v18, v34, v21, vcc_lo
	v_cmp_ne_u32_e32 vcc_lo, 0, v9
	s_delay_alu instid0(VALU_DEP_2) | instskip(SKIP_1) | instid1(VALU_DEP_2)
	v_cndmask_b32_e32 v18, 0, v18, vcc_lo
	v_cmp_gt_u32_e32 vcc_lo, 0x100, v9
	v_add_nc_u32_e32 v16, v18, v16
	s_delay_alu instid0(VALU_DEP_1) | instskip(NEXT) | instid1(VALU_DEP_1)
	v_add_nc_u32_e32 v17, v16, v17
	v_add_nc_u32_e32 v14, v17, v14
	s_delay_alu instid0(VALU_DEP_1) | instskip(NEXT) | instid1(VALU_DEP_1)
	v_add_nc_u32_e32 v15, v14, v15
	;; [unrolled: 3-line block ×3, first 2 shown]
	v_add_nc_u32_e32 v10, v13, v10
	s_delay_alu instid0(VALU_DEP_1)
	v_add_nc_u32_e32 v11, v10, v11
	ds_store_2addr_b32 v22, v18, v16 offset0:32 offset1:33
	ds_store_2addr_b32 v33, v17, v14 offset0:2 offset1:3
	;; [unrolled: 1-line block ×4, first 2 shown]
	ds_store_b32 v33, v11 offset:32
	s_waitcnt lgkmcnt(0)
	s_barrier
	buffer_gl0_inv
	ds_load_b32 v14, v23 offset:128
	ds_load_b32 v15, v26 offset:128
	;; [unrolled: 1-line block ×4, first 2 shown]
	v_mov_b32_e32 v11, 0
	v_mov_b32_e32 v12, 0
                                        ; implicit-def: $vgpr13
	s_and_saveexec_b32 s2, vcc_lo
	s_cbranch_execz .LBB120_85
; %bb.82:
	v_mul_u32_u24_e32 v11, 33, v9
	s_mov_b32 s3, exec_lo
	s_delay_alu instid0(VALU_DEP_1)
	v_dual_mov_b32 v12, 0x1000 :: v_dual_lshlrev_b32 v13, 2, v11
	ds_load_b32 v11, v13 offset:128
	v_cmpx_ne_u32_e32 0xff, v9
	s_cbranch_execz .LBB120_84
; %bb.83:
	ds_load_b32 v12, v13 offset:260
.LBB120_84:
	s_or_b32 exec_lo, exec_lo, s3
	s_waitcnt lgkmcnt(0)
	v_sub_nc_u32_e32 v13, v12, v11
	v_mov_b32_e32 v12, 0
.LBB120_85:
	s_or_b32 exec_lo, exec_lo, s2
	v_add_nc_u32_e32 v17, v31, v30
	v_add_nc_u32_e32 v18, v25, v24
	;; [unrolled: 1-line block ×3, first 2 shown]
	s_waitcnt lgkmcnt(3)
	v_add_lshl_u32 v14, v14, v0, 3
	s_waitcnt lgkmcnt(0)
	v_add_lshl_u32 v17, v17, v10, 3
	v_add_lshl_u32 v15, v18, v15, 3
	;; [unrolled: 1-line block ×3, first 2 shown]
	s_barrier
	buffer_gl0_inv
	ds_store_b64 v14, v[1:2] offset:2048
	ds_store_b64 v15, v[7:8] offset:2048
	;; [unrolled: 1-line block ×4, first 2 shown]
	s_waitcnt lgkmcnt(0)
	s_barrier
	buffer_gl0_inv
	s_and_saveexec_b32 s1, s0
	s_delay_alu instid0(SALU_CYCLE_1)
	s_xor_b32 s0, exec_lo, s1
; %bb.86:
	v_mov_b32_e32 v10, 0
; %bb.87:
	s_and_not1_saveexec_b32 s1, s0
	s_cbranch_execz .LBB120_97
; %bb.88:
	v_lshl_or_b32 v2, s15, 8, v9
	v_dual_mov_b32 v3, 0 :: v_dual_mov_b32 v6, 0
	s_mov_b32 s2, 0
	s_mov_b32 s3, s15
	s_delay_alu instid0(VALU_DEP_1) | instskip(SKIP_1) | instid1(VALU_DEP_2)
	v_lshlrev_b64 v[0:1], 2, v[2:3]
	v_or_b32_e32 v2, 2.0, v13
	v_add_co_u32 v0, s0, s12, v0
	s_delay_alu instid0(VALU_DEP_1)
	v_add_co_ci_u32_e64 v1, s0, s13, v1, s0
                                        ; implicit-def: $sgpr0
	global_store_b32 v[0:1], v2, off
	s_branch .LBB120_91
	.p2align	6
.LBB120_89:                             ;   in Loop: Header=BB120_91 Depth=1
	s_or_b32 exec_lo, exec_lo, s5
.LBB120_90:                             ;   in Loop: Header=BB120_91 Depth=1
	s_delay_alu instid0(SALU_CYCLE_1) | instskip(SKIP_2) | instid1(VALU_DEP_2)
	s_or_b32 exec_lo, exec_lo, s4
	v_and_b32_e32 v4, 0x3fffffff, v7
	v_cmp_eq_u32_e64 s0, 0x80000000, v2
	v_add_nc_u32_e32 v6, v4, v6
	s_delay_alu instid0(VALU_DEP_2) | instskip(NEXT) | instid1(SALU_CYCLE_1)
	s_and_b32 s4, exec_lo, s0
	s_or_b32 s2, s4, s2
	s_delay_alu instid0(SALU_CYCLE_1)
	s_and_not1_b32 exec_lo, exec_lo, s2
	s_cbranch_execz .LBB120_96
.LBB120_91:                             ; =>This Loop Header: Depth=1
                                        ;     Child Loop BB120_94 Depth 2
	s_or_b32 s0, s0, exec_lo
	s_cmp_eq_u32 s3, 0
	s_cbranch_scc1 .LBB120_95
; %bb.92:                               ;   in Loop: Header=BB120_91 Depth=1
	s_add_i32 s3, s3, -1
	s_mov_b32 s4, exec_lo
	v_lshl_or_b32 v2, s3, 8, v9
	s_delay_alu instid0(VALU_DEP_1) | instskip(NEXT) | instid1(VALU_DEP_1)
	v_lshlrev_b64 v[4:5], 2, v[2:3]
	v_add_co_u32 v4, s0, s12, v4
	s_delay_alu instid0(VALU_DEP_1) | instskip(SKIP_3) | instid1(VALU_DEP_1)
	v_add_co_ci_u32_e64 v5, s0, s13, v5, s0
	global_load_b32 v7, v[4:5], off glc
	s_waitcnt vmcnt(0)
	v_and_b32_e32 v2, -2.0, v7
	v_cmpx_eq_u32_e32 0, v2
	s_cbranch_execz .LBB120_90
; %bb.93:                               ;   in Loop: Header=BB120_91 Depth=1
	s_mov_b32 s5, 0
.LBB120_94:                             ;   Parent Loop BB120_91 Depth=1
                                        ; =>  This Inner Loop Header: Depth=2
	global_load_b32 v7, v[4:5], off glc
	s_waitcnt vmcnt(0)
	v_and_b32_e32 v2, -2.0, v7
	s_delay_alu instid0(VALU_DEP_1) | instskip(NEXT) | instid1(VALU_DEP_1)
	v_cmp_ne_u32_e64 s0, 0, v2
	s_or_b32 s5, s0, s5
	s_delay_alu instid0(SALU_CYCLE_1)
	s_and_not1_b32 exec_lo, exec_lo, s5
	s_cbranch_execnz .LBB120_94
	s_branch .LBB120_89
.LBB120_95:                             ;   in Loop: Header=BB120_91 Depth=1
                                        ; implicit-def: $sgpr3
	s_and_b32 s4, exec_lo, s0
	s_delay_alu instid0(SALU_CYCLE_1) | instskip(NEXT) | instid1(SALU_CYCLE_1)
	s_or_b32 s2, s4, s2
	s_and_not1_b32 exec_lo, exec_lo, s2
	s_cbranch_execnz .LBB120_91
.LBB120_96:
	s_or_b32 exec_lo, exec_lo, s2
	v_add_nc_u32_e32 v2, v6, v13
	v_dual_mov_b32 v10, 0 :: v_dual_lshlrev_b32 v3, 3, v9
	s_delay_alu instid0(VALU_DEP_2) | instskip(SKIP_3) | instid1(VALU_DEP_1)
	v_or_b32_e32 v2, 0x80000000, v2
	global_store_b32 v[0:1], v2, off
	global_load_b64 v[0:1], v3, s[24:25]
	v_sub_co_u32 v2, s0, v6, v11
	v_sub_co_ci_u32_e64 v4, s0, 0, v12, s0
	s_waitcnt vmcnt(0)
	s_delay_alu instid0(VALU_DEP_2) | instskip(NEXT) | instid1(VALU_DEP_1)
	v_add_co_u32 v0, s0, v2, v0
	v_add_co_ci_u32_e64 v1, s0, v4, v1, s0
	ds_store_b64 v3, v[0:1]
.LBB120_97:
	s_or_b32 exec_lo, exec_lo, s1
	v_lshlrev_b32_e32 v32, 3, v9
	s_waitcnt lgkmcnt(0)
	s_waitcnt_vscnt null, 0x0
	s_barrier
	buffer_gl0_inv
	v_lshlrev_b32_e32 v33, 3, v9
	ds_load_2addr_stride64_b64 v[0:3], v32 offset0:20 offset1:36
	s_add_u32 s0, s20, s6
	s_addc_u32 s1, s21, s7
	v_or_b32_e32 v38, 0x4000, v32
	ds_load_b64 v[4:5], v33 offset:2048
	v_or_b32_e32 v37, 0x2000, v32
	v_or_b32_e32 v39, 0x6000, v32
	s_add_i32 s9, s9, -1
	s_delay_alu instid0(SALU_CYCLE_1)
	s_cmp_eq_u32 s15, s9
	s_waitcnt lgkmcnt(1)
	v_lshrrev_b64 v[6:7], s28, v[2:3]
	ds_load_b64 v[7:8], v32 offset:26624
	v_xor_b32_e32 v3, 0x80000000, v3
	s_waitcnt lgkmcnt(1)
	v_lshrrev_b64 v[21:22], s28, v[4:5]
	v_lshrrev_b64 v[22:23], s28, v[0:1]
	v_and_b32_e32 v6, s10, v6
	v_xor_b32_e32 v5, 0x80000000, v5
	v_xor_b32_e32 v1, 0x80000000, v1
	s_delay_alu instid0(VALU_DEP_4) | instskip(NEXT) | instid1(VALU_DEP_4)
	v_and_b32_e32 v18, s10, v22
	v_lshlrev_b32_e32 v34, 3, v6
	v_and_b32_e32 v6, s10, v21
	v_lshlrev_b64 v[21:22], 3, v[9:10]
	s_delay_alu instid0(VALU_DEP_4)
	v_lshlrev_b32_e32 v36, 3, v18
	ds_load_b64 v[23:24], v34
	v_lshlrev_b32_e32 v35, 3, v6
	v_add_co_u32 v6, s0, s0, v20
	s_waitcnt lgkmcnt(1)
	v_lshrrev_b64 v[25:26], s28, v[7:8]
	ds_load_b64 v[28:29], v36
	ds_load_b64 v[26:27], v35
	v_add_co_ci_u32_e64 v20, null, s1, 0, s0
	v_xor_b32_e32 v8, 0x80000000, v8
	v_and_b32_e32 v18, s10, v25
	s_cselect_b32 s1, -1, 0
	s_delay_alu instid0(SALU_CYCLE_1) | instskip(NEXT) | instid1(VALU_DEP_1)
	s_and_b32 s1, vcc_lo, s1
	v_lshlrev_b32_e32 v40, 3, v18
	ds_load_b64 v[30:31], v40
	s_waitcnt lgkmcnt(3)
	v_lshlrev_b64 v[23:24], 3, v[23:24]
	s_delay_alu instid0(VALU_DEP_1) | instskip(NEXT) | instid1(VALU_DEP_1)
	v_add_co_u32 v18, s0, s18, v23
	v_add_co_ci_u32_e64 v41, s0, s19, v24, s0
	s_waitcnt lgkmcnt(1)
	v_lshlrev_b64 v[23:24], 3, v[26:27]
	s_delay_alu instid0(VALU_DEP_3) | instskip(SKIP_2) | instid1(VALU_DEP_4)
	v_add_co_u32 v25, s0, v18, v38
	v_lshlrev_b64 v[27:28], 3, v[28:29]
	v_add_co_ci_u32_e64 v26, s0, 0, v41, s0
	v_add_co_u32 v18, s0, s18, v23
	s_delay_alu instid0(VALU_DEP_1) | instskip(NEXT) | instid1(VALU_DEP_4)
	v_add_co_ci_u32_e64 v29, s0, s19, v24, s0
	v_add_co_u32 v41, s0, s18, v27
	s_waitcnt lgkmcnt(0)
	v_lshlrev_b64 v[23:24], 3, v[30:31]
	v_add_co_ci_u32_e64 v42, s0, s19, v28, s0
	v_add_co_u32 v27, s0, v18, v21
	s_delay_alu instid0(VALU_DEP_1) | instskip(NEXT) | instid1(VALU_DEP_4)
	v_add_co_ci_u32_e64 v28, s0, v29, v22, s0
	v_add_co_u32 v18, s0, s18, v23
	s_delay_alu instid0(VALU_DEP_1) | instskip(SKIP_1) | instid1(VALU_DEP_1)
	v_add_co_ci_u32_e64 v30, s0, s19, v24, s0
	v_add_co_u32 v23, s0, v41, v37
	v_add_co_ci_u32_e64 v24, s0, 0, v42, s0
	s_delay_alu instid0(VALU_DEP_4) | instskip(NEXT) | instid1(VALU_DEP_1)
	v_add_co_u32 v29, s0, v18, v39
	v_add_co_ci_u32_e64 v30, s0, 0, v30, s0
	v_add_co_u32 v18, s0, v6, v19
	s_delay_alu instid0(VALU_DEP_1)
	v_add_co_ci_u32_e64 v19, s0, 0, v20, s0
	s_clause 0x3
	global_store_b64 v[27:28], v[4:5], off
	global_store_b64 v[23:24], v[0:1], off
	;; [unrolled: 1-line block ×4, first 2 shown]
	s_clause 0x3
	global_load_b64 v[0:1], v[18:19], off
	global_load_b64 v[2:3], v[18:19], off offset:256
	global_load_b64 v[4:5], v[18:19], off offset:512
	;; [unrolled: 1-line block ×3, first 2 shown]
	s_waitcnt vmcnt(0)
	s_waitcnt_vscnt null, 0x0
	s_barrier
	buffer_gl0_inv
	ds_store_b64 v14, v[0:1] offset:2048
	ds_store_b64 v15, v[2:3] offset:2048
	;; [unrolled: 1-line block ×4, first 2 shown]
	s_waitcnt lgkmcnt(0)
	s_barrier
	buffer_gl0_inv
	ds_load_b64 v[0:1], v35
	ds_load_b64 v[4:5], v36
	;; [unrolled: 1-line block ×4, first 2 shown]
	ds_load_b64 v[16:17], v33 offset:2048
	ds_load_b64 v[18:19], v32 offset:26624
	s_waitcnt lgkmcnt(5)
	v_lshlrev_b64 v[23:24], 3, v[0:1]
	s_waitcnt lgkmcnt(4)
	v_lshlrev_b64 v[4:5], 3, v[4:5]
	;; [unrolled: 2-line block ×4, first 2 shown]
	ds_load_2addr_stride64_b64 v[0:3], v32 offset0:20 offset1:36
	v_add_co_u32 v8, s0, s22, v23
	s_delay_alu instid0(VALU_DEP_1) | instskip(SKIP_1) | instid1(VALU_DEP_1)
	v_add_co_ci_u32_e64 v20, s0, s23, v24, s0
	v_add_co_u32 v23, s0, s22, v4
	v_add_co_ci_u32_e64 v24, s0, s23, v5, s0
	v_add_co_u32 v25, s0, s22, v6
	s_delay_alu instid0(VALU_DEP_1) | instskip(SKIP_1) | instid1(VALU_DEP_1)
	v_add_co_ci_u32_e64 v26, s0, s23, v7, s0
	v_add_co_u32 v27, s0, s22, v14
	v_add_co_ci_u32_e64 v28, s0, s23, v15, s0
	;; [unrolled: 5-line block ×4, first 2 shown]
	s_waitcnt lgkmcnt(2)
	global_store_b64 v[4:5], v[16:17], off
	s_waitcnt lgkmcnt(0)
	s_clause 0x2
	global_store_b64 v[6:7], v[0:1], off
	global_store_b64 v[14:15], v[2:3], off
	;; [unrolled: 1-line block ×3, first 2 shown]
                                        ; implicit-def: $vgpr1_vgpr2
	s_and_saveexec_b32 s0, s1
; %bb.98:
	v_add_co_u32 v1, vcc_lo, v11, v13
	v_add_co_ci_u32_e32 v2, vcc_lo, 0, v12, vcc_lo
	s_or_b32 s8, s8, exec_lo
; %bb.99:
	s_or_b32 exec_lo, exec_lo, s0
.LBB120_100:
	s_and_saveexec_b32 s0, s8
	s_cbranch_execnz .LBB120_102
; %bb.101:
	s_nop 0
	s_sendmsg sendmsg(MSG_DEALLOC_VGPRS)
	s_endpgm
.LBB120_102:
	v_lshlrev_b32_e32 v0, 3, v9
	v_lshlrev_b64 v[5:6], 3, v[9:10]
	ds_load_b64 v[3:4], v0
	v_add_co_u32 v5, vcc_lo, s26, v5
	v_add_co_ci_u32_e32 v6, vcc_lo, s27, v6, vcc_lo
	s_waitcnt lgkmcnt(0)
	v_add_co_u32 v0, vcc_lo, v3, v1
	v_add_co_ci_u32_e32 v1, vcc_lo, v4, v2, vcc_lo
	global_store_b64 v[5:6], v[0:1], off
	s_nop 0
	s_sendmsg sendmsg(MSG_DEALLOC_VGPRS)
	s_endpgm
.LBB120_103:
	global_load_b64 v[1:2], v[10:11], off
	s_or_b32 exec_lo, exec_lo, s10
                                        ; implicit-def: $vgpr3_vgpr4
	s_and_saveexec_b32 s10, s2
	s_cbranch_execz .LBB120_47
.LBB120_104:
	global_load_b64 v[3:4], v[10:11], off offset:256
	s_or_b32 exec_lo, exec_lo, s10
                                        ; implicit-def: $vgpr5_vgpr6
	s_and_saveexec_b32 s2, s3
	s_cbranch_execz .LBB120_48
.LBB120_105:
	global_load_b64 v[5:6], v[10:11], off offset:512
	s_or_b32 exec_lo, exec_lo, s2
                                        ; implicit-def: $vgpr7_vgpr8
	s_and_saveexec_b32 s2, s4
	s_cbranch_execnz .LBB120_49
	s_branch .LBB120_50
.LBB120_106:
	v_lshlrev_b32_e32 v1, 3, v20
	ds_load_b64 v[1:2], v1
	ds_load_b64 v[3:4], v21 offset:2048
	s_waitcnt lgkmcnt(1)
	v_lshlrev_b64 v[1:2], 3, v[1:2]
	s_delay_alu instid0(VALU_DEP_1) | instskip(NEXT) | instid1(VALU_DEP_2)
	v_add_co_u32 v1, vcc_lo, s22, v1
	v_add_co_ci_u32_e32 v2, vcc_lo, s23, v2, vcc_lo
	s_delay_alu instid0(VALU_DEP_2) | instskip(NEXT) | instid1(VALU_DEP_2)
	v_add_co_u32 v1, vcc_lo, v1, v21
	v_add_co_ci_u32_e32 v2, vcc_lo, 0, v2, vcc_lo
	s_waitcnt lgkmcnt(0)
	global_store_b64 v[1:2], v[3:4], off
	s_or_b32 exec_lo, exec_lo, s2
	s_and_saveexec_b32 s2, s7
	s_cbranch_execz .LBB120_60
.LBB120_107:
	v_lshlrev_b32_e32 v1, 3, v11
	ds_load_b64 v[1:2], v1
	ds_load_b64 v[3:4], v21 offset:10240
	s_waitcnt lgkmcnt(1)
	v_lshlrev_b64 v[1:2], 3, v[1:2]
	s_delay_alu instid0(VALU_DEP_1) | instskip(NEXT) | instid1(VALU_DEP_2)
	v_add_co_u32 v1, vcc_lo, s22, v1
	v_add_co_ci_u32_e32 v2, vcc_lo, s23, v2, vcc_lo
	s_delay_alu instid0(VALU_DEP_2) | instskip(NEXT) | instid1(VALU_DEP_2)
	v_add_co_u32 v1, vcc_lo, v1, v22
	v_add_co_ci_u32_e32 v2, vcc_lo, 0, v2, vcc_lo
	s_waitcnt lgkmcnt(0)
	global_store_b64 v[1:2], v[3:4], off
	s_or_b32 exec_lo, exec_lo, s2
	s_and_saveexec_b32 s2, s8
	s_cbranch_execz .LBB120_61
.LBB120_108:
	v_lshlrev_b32_e32 v1, 3, v19
	ds_load_b64 v[1:2], v1
	ds_load_b64 v[3:4], v21 offset:18432
	s_waitcnt lgkmcnt(1)
	v_lshlrev_b64 v[1:2], 3, v[1:2]
	s_delay_alu instid0(VALU_DEP_1) | instskip(NEXT) | instid1(VALU_DEP_2)
	v_add_co_u32 v1, vcc_lo, s22, v1
	v_add_co_ci_u32_e32 v2, vcc_lo, s23, v2, vcc_lo
	s_delay_alu instid0(VALU_DEP_2) | instskip(NEXT) | instid1(VALU_DEP_2)
	v_add_co_u32 v1, vcc_lo, v1, v23
	v_add_co_ci_u32_e32 v2, vcc_lo, 0, v2, vcc_lo
	s_waitcnt lgkmcnt(0)
	global_store_b64 v[1:2], v[3:4], off
	s_or_b32 exec_lo, exec_lo, s2
	s_and_saveexec_b32 s2, s9
	s_cbranch_execnz .LBB120_62
	s_branch .LBB120_63
	.section	.rodata,"a",@progbits
	.p2align	6, 0x0
	.amdhsa_kernel _ZN7rocprim17ROCPRIM_304000_NS6detail25onesweep_iteration_kernelINS1_34wrapped_radix_sort_onesweep_configINS0_14default_configElN2at4cuda3cub6detail10OpaqueTypeILi8EEEEELb0EPKlPlPKSA_PSA_mNS0_19identity_decomposerEEEvT1_T2_T3_T4_jPT5_SO_PNS1_23onesweep_lookback_stateET6_jjj
		.amdhsa_group_segment_fixed_size 36992
		.amdhsa_private_segment_fixed_size 0
		.amdhsa_kernarg_size 336
		.amdhsa_user_sgpr_count 15
		.amdhsa_user_sgpr_dispatch_ptr 0
		.amdhsa_user_sgpr_queue_ptr 0
		.amdhsa_user_sgpr_kernarg_segment_ptr 1
		.amdhsa_user_sgpr_dispatch_id 0
		.amdhsa_user_sgpr_private_segment_size 0
		.amdhsa_wavefront_size32 1
		.amdhsa_uses_dynamic_stack 0
		.amdhsa_enable_private_segment 0
		.amdhsa_system_sgpr_workgroup_id_x 1
		.amdhsa_system_sgpr_workgroup_id_y 0
		.amdhsa_system_sgpr_workgroup_id_z 0
		.amdhsa_system_sgpr_workgroup_info 0
		.amdhsa_system_vgpr_workitem_id 2
		.amdhsa_next_free_vgpr 43
		.amdhsa_next_free_sgpr 36
		.amdhsa_reserve_vcc 1
		.amdhsa_float_round_mode_32 0
		.amdhsa_float_round_mode_16_64 0
		.amdhsa_float_denorm_mode_32 3
		.amdhsa_float_denorm_mode_16_64 3
		.amdhsa_dx10_clamp 1
		.amdhsa_ieee_mode 1
		.amdhsa_fp16_overflow 0
		.amdhsa_workgroup_processor_mode 1
		.amdhsa_memory_ordered 1
		.amdhsa_forward_progress 0
		.amdhsa_shared_vgpr_count 0
		.amdhsa_exception_fp_ieee_invalid_op 0
		.amdhsa_exception_fp_denorm_src 0
		.amdhsa_exception_fp_ieee_div_zero 0
		.amdhsa_exception_fp_ieee_overflow 0
		.amdhsa_exception_fp_ieee_underflow 0
		.amdhsa_exception_fp_ieee_inexact 0
		.amdhsa_exception_int_div_zero 0
	.end_amdhsa_kernel
	.section	.text._ZN7rocprim17ROCPRIM_304000_NS6detail25onesweep_iteration_kernelINS1_34wrapped_radix_sort_onesweep_configINS0_14default_configElN2at4cuda3cub6detail10OpaqueTypeILi8EEEEELb0EPKlPlPKSA_PSA_mNS0_19identity_decomposerEEEvT1_T2_T3_T4_jPT5_SO_PNS1_23onesweep_lookback_stateET6_jjj,"axG",@progbits,_ZN7rocprim17ROCPRIM_304000_NS6detail25onesweep_iteration_kernelINS1_34wrapped_radix_sort_onesweep_configINS0_14default_configElN2at4cuda3cub6detail10OpaqueTypeILi8EEEEELb0EPKlPlPKSA_PSA_mNS0_19identity_decomposerEEEvT1_T2_T3_T4_jPT5_SO_PNS1_23onesweep_lookback_stateET6_jjj,comdat
.Lfunc_end120:
	.size	_ZN7rocprim17ROCPRIM_304000_NS6detail25onesweep_iteration_kernelINS1_34wrapped_radix_sort_onesweep_configINS0_14default_configElN2at4cuda3cub6detail10OpaqueTypeILi8EEEEELb0EPKlPlPKSA_PSA_mNS0_19identity_decomposerEEEvT1_T2_T3_T4_jPT5_SO_PNS1_23onesweep_lookback_stateET6_jjj, .Lfunc_end120-_ZN7rocprim17ROCPRIM_304000_NS6detail25onesweep_iteration_kernelINS1_34wrapped_radix_sort_onesweep_configINS0_14default_configElN2at4cuda3cub6detail10OpaqueTypeILi8EEEEELb0EPKlPlPKSA_PSA_mNS0_19identity_decomposerEEEvT1_T2_T3_T4_jPT5_SO_PNS1_23onesweep_lookback_stateET6_jjj
                                        ; -- End function
	.section	.AMDGPU.csdata,"",@progbits
; Kernel info:
; codeLenInByte = 8976
; NumSgprs: 38
; NumVgprs: 43
; ScratchSize: 0
; MemoryBound: 1
; FloatMode: 240
; IeeeMode: 1
; LDSByteSize: 36992 bytes/workgroup (compile time only)
; SGPRBlocks: 4
; VGPRBlocks: 5
; NumSGPRsForWavesPerEU: 38
; NumVGPRsForWavesPerEU: 43
; Occupancy: 16
; WaveLimiterHint : 1
; COMPUTE_PGM_RSRC2:SCRATCH_EN: 0
; COMPUTE_PGM_RSRC2:USER_SGPR: 15
; COMPUTE_PGM_RSRC2:TRAP_HANDLER: 0
; COMPUTE_PGM_RSRC2:TGID_X_EN: 1
; COMPUTE_PGM_RSRC2:TGID_Y_EN: 0
; COMPUTE_PGM_RSRC2:TGID_Z_EN: 0
; COMPUTE_PGM_RSRC2:TIDIG_COMP_CNT: 2
	.section	.text._ZN7rocprim17ROCPRIM_304000_NS6detail25onesweep_iteration_kernelINS1_34wrapped_radix_sort_onesweep_configINS0_14default_configElN2at4cuda3cub6detail10OpaqueTypeILi8EEEEELb0EPlSC_PSA_SD_mNS0_19identity_decomposerEEEvT1_T2_T3_T4_jPT5_SK_PNS1_23onesweep_lookback_stateET6_jjj,"axG",@progbits,_ZN7rocprim17ROCPRIM_304000_NS6detail25onesweep_iteration_kernelINS1_34wrapped_radix_sort_onesweep_configINS0_14default_configElN2at4cuda3cub6detail10OpaqueTypeILi8EEEEELb0EPlSC_PSA_SD_mNS0_19identity_decomposerEEEvT1_T2_T3_T4_jPT5_SK_PNS1_23onesweep_lookback_stateET6_jjj,comdat
	.protected	_ZN7rocprim17ROCPRIM_304000_NS6detail25onesweep_iteration_kernelINS1_34wrapped_radix_sort_onesweep_configINS0_14default_configElN2at4cuda3cub6detail10OpaqueTypeILi8EEEEELb0EPlSC_PSA_SD_mNS0_19identity_decomposerEEEvT1_T2_T3_T4_jPT5_SK_PNS1_23onesweep_lookback_stateET6_jjj ; -- Begin function _ZN7rocprim17ROCPRIM_304000_NS6detail25onesweep_iteration_kernelINS1_34wrapped_radix_sort_onesweep_configINS0_14default_configElN2at4cuda3cub6detail10OpaqueTypeILi8EEEEELb0EPlSC_PSA_SD_mNS0_19identity_decomposerEEEvT1_T2_T3_T4_jPT5_SK_PNS1_23onesweep_lookback_stateET6_jjj
	.globl	_ZN7rocprim17ROCPRIM_304000_NS6detail25onesweep_iteration_kernelINS1_34wrapped_radix_sort_onesweep_configINS0_14default_configElN2at4cuda3cub6detail10OpaqueTypeILi8EEEEELb0EPlSC_PSA_SD_mNS0_19identity_decomposerEEEvT1_T2_T3_T4_jPT5_SK_PNS1_23onesweep_lookback_stateET6_jjj
	.p2align	8
	.type	_ZN7rocprim17ROCPRIM_304000_NS6detail25onesweep_iteration_kernelINS1_34wrapped_radix_sort_onesweep_configINS0_14default_configElN2at4cuda3cub6detail10OpaqueTypeILi8EEEEELb0EPlSC_PSA_SD_mNS0_19identity_decomposerEEEvT1_T2_T3_T4_jPT5_SK_PNS1_23onesweep_lookback_stateET6_jjj,@function
_ZN7rocprim17ROCPRIM_304000_NS6detail25onesweep_iteration_kernelINS1_34wrapped_radix_sort_onesweep_configINS0_14default_configElN2at4cuda3cub6detail10OpaqueTypeILi8EEEEELb0EPlSC_PSA_SD_mNS0_19identity_decomposerEEEvT1_T2_T3_T4_jPT5_SK_PNS1_23onesweep_lookback_stateET6_jjj: ; @_ZN7rocprim17ROCPRIM_304000_NS6detail25onesweep_iteration_kernelINS1_34wrapped_radix_sort_onesweep_configINS0_14default_configElN2at4cuda3cub6detail10OpaqueTypeILi8EEEEELb0EPlSC_PSA_SD_mNS0_19identity_decomposerEEEvT1_T2_T3_T4_jPT5_SK_PNS1_23onesweep_lookback_stateET6_jjj
; %bb.0:
	s_clause 0x3
	s_load_b128 s[28:31], s[0:1], 0x44
	s_load_b256 s[16:23], s[0:1], 0x0
	s_load_b128 s[24:27], s[0:1], 0x28
	s_load_b64 s[12:13], s[0:1], 0x38
	v_and_b32_e32 v9, 0x3ff, v0
	v_mbcnt_lo_u32_b32 v18, -1, 0
	s_waitcnt lgkmcnt(0)
	s_cmp_ge_u32 s15, s30
	s_cbranch_scc0 .LBB121_66
; %bb.1:
	s_load_b32 s14, s[0:1], 0x20
	s_mov_b32 s4, -1
	s_brev_b32 s5, -2
	s_mov_b32 s6, s4
	s_mov_b32 s7, s5
	;; [unrolled: 1-line block ×6, first 2 shown]
	v_lshlrev_b32_e32 v21, 2, v9
	s_lshl_b32 s2, s15, 12
	s_mov_b32 s3, 0
	s_lshl_b32 s33, s30, 12
	v_lshlrev_b32_e32 v19, 3, v18
	v_and_b32_e32 v1, 0xf80, v21
	s_lshl_b64 s[30:31], s[2:3], 3
	s_delay_alu instid0(VALU_DEP_1)
	v_lshlrev_b32_e32 v20, 3, v1
	s_waitcnt lgkmcnt(0)
	s_sub_i32 s33, s14, s33
	s_add_u32 s2, s16, s30
	v_or_b32_e32 v12, v18, v1
	s_addc_u32 s3, s17, s31
	v_add_co_u32 v1, s2, s2, v19
	s_delay_alu instid0(VALU_DEP_1) | instskip(NEXT) | instid1(VALU_DEP_3)
	v_add_co_ci_u32_e64 v2, null, s3, 0, s2
	v_cmp_gt_u32_e32 vcc_lo, s33, v12
	s_delay_alu instid0(VALU_DEP_3) | instskip(NEXT) | instid1(VALU_DEP_1)
	v_add_co_u32 v10, s2, v1, v20
	v_add_co_ci_u32_e64 v11, s2, 0, v2, s2
	v_dual_mov_b32 v1, s4 :: v_dual_mov_b32 v2, s5
	v_dual_mov_b32 v3, s6 :: v_dual_mov_b32 v8, s11
	;; [unrolled: 1-line block ×4, first 2 shown]
	s_and_saveexec_b32 s2, vcc_lo
	s_cbranch_execz .LBB121_3
; %bb.2:
	global_load_b64 v[1:2], v[10:11], off
	v_bfrev_b32_e32 v4, -2
	s_delay_alu instid0(VALU_DEP_1) | instskip(NEXT) | instid1(VALU_DEP_1)
	v_dual_mov_b32 v3, -1 :: v_dual_mov_b32 v6, v4
	v_dual_mov_b32 v5, v3 :: v_dual_mov_b32 v8, v4
	v_mov_b32_e32 v7, v3
.LBB121_3:
	s_or_b32 exec_lo, exec_lo, s2
	v_add_nc_u32_e32 v13, 32, v12
	s_delay_alu instid0(VALU_DEP_1) | instskip(NEXT) | instid1(VALU_DEP_1)
	v_cmp_gt_u32_e64 s2, s33, v13
	s_and_saveexec_b32 s3, s2
	s_cbranch_execz .LBB121_5
; %bb.4:
	global_load_b64 v[3:4], v[10:11], off offset:256
.LBB121_5:
	s_or_b32 exec_lo, exec_lo, s3
	v_add_nc_u32_e32 v13, 64, v12
	s_delay_alu instid0(VALU_DEP_1) | instskip(NEXT) | instid1(VALU_DEP_1)
	v_cmp_gt_u32_e64 s3, s33, v13
	s_and_saveexec_b32 s4, s3
	s_cbranch_execz .LBB121_7
; %bb.6:
	global_load_b64 v[5:6], v[10:11], off offset:512
.LBB121_7:
	;; [unrolled: 9-line block ×3, first 2 shown]
	s_or_b32 exec_lo, exec_lo, s5
	s_clause 0x1
	s_load_b32 s5, s[0:1], 0x5c
	s_load_b32 s14, s[0:1], 0x50
	s_add_u32 s6, s0, 0x50
	s_waitcnt vmcnt(0)
	v_xor_b32_e32 v2, 0x80000000, v2
	s_addc_u32 s7, s1, 0
	s_delay_alu instid0(VALU_DEP_1) | instskip(SKIP_4) | instid1(SALU_CYCLE_1)
	v_lshrrev_b64 v[10:11], s28, v[1:2]
	s_waitcnt lgkmcnt(0)
	s_lshr_b32 s8, s5, 16
	s_cmp_lt_u32 s15, s14
	s_cselect_b32 s5, 12, 18
	s_add_u32 s6, s6, s5
	s_addc_u32 s7, s7, 0
	s_lshl_b32 s5, -1, s29
	s_delay_alu instid0(SALU_CYCLE_1) | instskip(NEXT) | instid1(SALU_CYCLE_1)
	s_not_b32 s34, s5
	v_and_b32_e32 v14, s34, v10
	v_mov_b32_e32 v12, 0
	v_bfe_u32 v10, v0, 10, 10
	s_delay_alu instid0(VALU_DEP_3)
	v_and_b32_e32 v11, 1, v14
	global_load_u16 v13, v12, s[6:7]
	v_lshlrev_b32_e32 v15, 30, v14
	v_lshlrev_b32_e32 v16, 29, v14
	v_lshlrev_b32_e32 v17, 28, v14
	v_add_co_u32 v11, s5, v11, -1
	s_delay_alu instid0(VALU_DEP_1)
	v_cndmask_b32_e64 v22, 0, 1, s5
	v_not_b32_e32 v26, v15
	v_cmp_gt_i32_e64 s6, 0, v15
	v_not_b32_e32 v15, v16
	v_lshlrev_b32_e32 v23, 27, v14
	v_cmp_ne_u32_e64 s5, 0, v22
	v_ashrrev_i32_e32 v26, 31, v26
	v_lshlrev_b32_e32 v24, 26, v14
	v_ashrrev_i32_e32 v15, 31, v15
	v_lshlrev_b32_e32 v25, 25, v14
	v_xor_b32_e32 v11, s5, v11
	v_cmp_gt_i32_e64 s5, 0, v16
	v_not_b32_e32 v16, v17
	v_xor_b32_e32 v26, s6, v26
	v_cmp_gt_i32_e64 s6, 0, v17
	v_and_b32_e32 v11, exec_lo, v11
	v_not_b32_e32 v17, v23
	v_ashrrev_i32_e32 v16, 31, v16
	v_xor_b32_e32 v15, s5, v15
	v_cmp_gt_i32_e64 s5, 0, v23
	v_and_b32_e32 v11, v11, v26
	v_not_b32_e32 v23, v24
	v_ashrrev_i32_e32 v17, 31, v17
	v_xor_b32_e32 v16, s6, v16
	v_lshlrev_b32_e32 v22, 24, v14
	v_and_b32_e32 v11, v11, v15
	v_cmp_gt_i32_e64 s6, 0, v24
	v_not_b32_e32 v15, v25
	v_ashrrev_i32_e32 v23, 31, v23
	v_xor_b32_e32 v17, s5, v17
	v_and_b32_e32 v11, v11, v16
	v_cmp_gt_i32_e64 s5, 0, v25
	v_not_b32_e32 v16, v22
	v_ashrrev_i32_e32 v15, 31, v15
	v_xor_b32_e32 v23, s6, v23
	v_and_b32_e32 v11, v11, v17
	v_bfe_u32 v17, v0, 20, 10
	v_cmp_gt_i32_e64 s6, 0, v22
	v_ashrrev_i32_e32 v16, 31, v16
	v_xor_b32_e32 v15, s5, v15
	v_and_b32_e32 v11, v11, v23
	v_mad_u32_u24 v17, v17, s8, v10
	v_mul_u32_u24_e32 v22, 9, v9
	v_xor_b32_e32 v16, s6, v16
	s_delay_alu instid0(VALU_DEP_4) | instskip(NEXT) | instid1(VALU_DEP_3)
	v_and_b32_e32 v15, v11, v15
	v_lshlrev_b32_e32 v23, 2, v22
	ds_store_2addr_b32 v23, v12, v12 offset0:32 offset1:33
	ds_store_2addr_b32 v23, v12, v12 offset0:34 offset1:35
	;; [unrolled: 1-line block ×4, first 2 shown]
	ds_store_b32 v23, v12 offset:160
	v_lshl_add_u32 v12, v14, 5, v14
	s_waitcnt vmcnt(0) lgkmcnt(0)
	s_barrier
	buffer_gl0_inv
	; wave barrier
	v_mad_u64_u32 v[10:11], null, v17, v13, v[9:10]
	v_and_b32_e32 v11, v15, v16
	s_delay_alu instid0(VALU_DEP_1) | instskip(NEXT) | instid1(VALU_DEP_3)
	v_mbcnt_lo_u32_b32 v22, v11, 0
	v_lshrrev_b32_e32 v10, 5, v10
	v_cmp_ne_u32_e64 s6, 0, v11
	s_delay_alu instid0(VALU_DEP_3) | instskip(NEXT) | instid1(VALU_DEP_3)
	v_cmp_eq_u32_e64 s5, 0, v22
	v_add_lshl_u32 v24, v10, v12, 2
	s_delay_alu instid0(VALU_DEP_2) | instskip(NEXT) | instid1(SALU_CYCLE_1)
	s_and_b32 s6, s6, s5
	s_and_saveexec_b32 s5, s6
	s_cbranch_execz .LBB121_11
; %bb.10:
	v_bcnt_u32_b32 v11, v11, 0
	ds_store_b32 v24, v11 offset:128
.LBB121_11:
	s_or_b32 exec_lo, exec_lo, s5
	v_xor_b32_e32 v4, 0x80000000, v4
	; wave barrier
	s_delay_alu instid0(VALU_DEP_1) | instskip(NEXT) | instid1(VALU_DEP_1)
	v_lshrrev_b64 v[11:12], s28, v[3:4]
	v_and_b32_e32 v11, s34, v11
	s_delay_alu instid0(VALU_DEP_1)
	v_and_b32_e32 v12, 1, v11
	v_lshlrev_b32_e32 v13, 30, v11
	v_lshlrev_b32_e32 v14, 29, v11
	;; [unrolled: 1-line block ×4, first 2 shown]
	v_add_co_u32 v12, s5, v12, -1
	s_delay_alu instid0(VALU_DEP_1)
	v_cndmask_b32_e64 v16, 0, 1, s5
	v_not_b32_e32 v27, v13
	v_cmp_gt_i32_e64 s6, 0, v13
	v_not_b32_e32 v13, v14
	v_lshlrev_b32_e32 v25, 26, v11
	v_cmp_ne_u32_e64 s5, 0, v16
	v_ashrrev_i32_e32 v27, 31, v27
	v_lshlrev_b32_e32 v26, 25, v11
	v_ashrrev_i32_e32 v13, 31, v13
	v_lshlrev_b32_e32 v16, 24, v11
	v_xor_b32_e32 v12, s5, v12
	v_cmp_gt_i32_e64 s5, 0, v14
	v_not_b32_e32 v14, v15
	v_xor_b32_e32 v27, s6, v27
	v_cmp_gt_i32_e64 s6, 0, v15
	v_and_b32_e32 v12, exec_lo, v12
	v_not_b32_e32 v15, v17
	v_ashrrev_i32_e32 v14, 31, v14
	v_xor_b32_e32 v13, s5, v13
	v_cmp_gt_i32_e64 s5, 0, v17
	v_and_b32_e32 v12, v12, v27
	v_not_b32_e32 v17, v25
	v_ashrrev_i32_e32 v15, 31, v15
	v_xor_b32_e32 v14, s6, v14
	v_cmp_gt_i32_e64 s6, 0, v25
	v_and_b32_e32 v12, v12, v13
	;; [unrolled: 5-line block ×3, first 2 shown]
	v_not_b32_e32 v14, v16
	v_ashrrev_i32_e32 v13, 31, v13
	v_xor_b32_e32 v17, s6, v17
	v_lshl_add_u32 v11, v11, 5, v11
	v_and_b32_e32 v12, v12, v15
	v_cmp_gt_i32_e64 s6, 0, v16
	v_ashrrev_i32_e32 v14, 31, v14
	v_xor_b32_e32 v13, s5, v13
	v_add_lshl_u32 v27, v10, v11, 2
	v_and_b32_e32 v12, v12, v17
	s_delay_alu instid0(VALU_DEP_4) | instskip(SKIP_2) | instid1(VALU_DEP_1)
	v_xor_b32_e32 v11, s6, v14
	ds_load_b32 v25, v27 offset:128
	v_and_b32_e32 v12, v12, v13
	; wave barrier
	v_and_b32_e32 v11, v12, v11
	s_delay_alu instid0(VALU_DEP_1) | instskip(SKIP_1) | instid1(VALU_DEP_2)
	v_mbcnt_lo_u32_b32 v26, v11, 0
	v_cmp_ne_u32_e64 s6, 0, v11
	v_cmp_eq_u32_e64 s5, 0, v26
	s_delay_alu instid0(VALU_DEP_1) | instskip(NEXT) | instid1(SALU_CYCLE_1)
	s_and_b32 s6, s6, s5
	s_and_saveexec_b32 s5, s6
	s_cbranch_execz .LBB121_13
; %bb.12:
	s_waitcnt lgkmcnt(0)
	v_bcnt_u32_b32 v11, v11, v25
	ds_store_b32 v27, v11 offset:128
.LBB121_13:
	s_or_b32 exec_lo, exec_lo, s5
	v_xor_b32_e32 v6, 0x80000000, v6
	; wave barrier
	s_delay_alu instid0(VALU_DEP_1) | instskip(NEXT) | instid1(VALU_DEP_1)
	v_lshrrev_b64 v[11:12], s28, v[5:6]
	v_and_b32_e32 v11, s34, v11
	s_delay_alu instid0(VALU_DEP_1)
	v_and_b32_e32 v12, 1, v11
	v_lshlrev_b32_e32 v13, 30, v11
	v_lshlrev_b32_e32 v14, 29, v11
	;; [unrolled: 1-line block ×4, first 2 shown]
	v_add_co_u32 v12, s5, v12, -1
	s_delay_alu instid0(VALU_DEP_1)
	v_cndmask_b32_e64 v16, 0, 1, s5
	v_not_b32_e32 v30, v13
	v_cmp_gt_i32_e64 s6, 0, v13
	v_not_b32_e32 v13, v14
	v_lshlrev_b32_e32 v28, 26, v11
	v_cmp_ne_u32_e64 s5, 0, v16
	v_ashrrev_i32_e32 v30, 31, v30
	v_lshlrev_b32_e32 v29, 25, v11
	v_ashrrev_i32_e32 v13, 31, v13
	v_lshlrev_b32_e32 v16, 24, v11
	v_xor_b32_e32 v12, s5, v12
	v_cmp_gt_i32_e64 s5, 0, v14
	v_not_b32_e32 v14, v15
	v_xor_b32_e32 v30, s6, v30
	v_cmp_gt_i32_e64 s6, 0, v15
	v_and_b32_e32 v12, exec_lo, v12
	v_not_b32_e32 v15, v17
	v_ashrrev_i32_e32 v14, 31, v14
	v_xor_b32_e32 v13, s5, v13
	v_cmp_gt_i32_e64 s5, 0, v17
	v_and_b32_e32 v12, v12, v30
	v_not_b32_e32 v17, v28
	v_ashrrev_i32_e32 v15, 31, v15
	v_xor_b32_e32 v14, s6, v14
	v_cmp_gt_i32_e64 s6, 0, v28
	v_and_b32_e32 v12, v12, v13
	;; [unrolled: 5-line block ×3, first 2 shown]
	v_not_b32_e32 v14, v16
	v_ashrrev_i32_e32 v13, 31, v13
	v_xor_b32_e32 v17, s6, v17
	v_lshl_add_u32 v11, v11, 5, v11
	v_and_b32_e32 v12, v12, v15
	v_cmp_gt_i32_e64 s6, 0, v16
	v_ashrrev_i32_e32 v14, 31, v14
	v_xor_b32_e32 v13, s5, v13
	v_add_lshl_u32 v30, v10, v11, 2
	v_and_b32_e32 v12, v12, v17
	s_delay_alu instid0(VALU_DEP_4) | instskip(SKIP_2) | instid1(VALU_DEP_1)
	v_xor_b32_e32 v11, s6, v14
	ds_load_b32 v28, v30 offset:128
	v_and_b32_e32 v12, v12, v13
	; wave barrier
	v_and_b32_e32 v11, v12, v11
	s_delay_alu instid0(VALU_DEP_1) | instskip(SKIP_1) | instid1(VALU_DEP_2)
	v_mbcnt_lo_u32_b32 v29, v11, 0
	v_cmp_ne_u32_e64 s6, 0, v11
	v_cmp_eq_u32_e64 s5, 0, v29
	s_delay_alu instid0(VALU_DEP_1) | instskip(NEXT) | instid1(SALU_CYCLE_1)
	s_and_b32 s6, s6, s5
	s_and_saveexec_b32 s5, s6
	s_cbranch_execz .LBB121_15
; %bb.14:
	s_waitcnt lgkmcnt(0)
	v_bcnt_u32_b32 v11, v11, v28
	ds_store_b32 v30, v11 offset:128
.LBB121_15:
	s_or_b32 exec_lo, exec_lo, s5
	v_xor_b32_e32 v8, 0x80000000, v8
	; wave barrier
	v_add_nc_u32_e32 v34, 0x80, v23
	s_delay_alu instid0(VALU_DEP_2) | instskip(NEXT) | instid1(VALU_DEP_1)
	v_lshrrev_b64 v[11:12], s28, v[7:8]
	v_and_b32_e32 v11, s34, v11
	s_delay_alu instid0(VALU_DEP_1)
	v_and_b32_e32 v12, 1, v11
	v_lshlrev_b32_e32 v13, 30, v11
	v_lshlrev_b32_e32 v14, 29, v11
	v_lshlrev_b32_e32 v15, 28, v11
	v_lshlrev_b32_e32 v17, 27, v11
	v_add_co_u32 v12, s5, v12, -1
	s_delay_alu instid0(VALU_DEP_1)
	v_cndmask_b32_e64 v16, 0, 1, s5
	v_not_b32_e32 v33, v13
	v_cmp_gt_i32_e64 s6, 0, v13
	v_not_b32_e32 v13, v14
	v_lshlrev_b32_e32 v31, 26, v11
	v_cmp_ne_u32_e64 s5, 0, v16
	v_ashrrev_i32_e32 v33, 31, v33
	v_lshlrev_b32_e32 v32, 25, v11
	v_ashrrev_i32_e32 v13, 31, v13
	v_lshlrev_b32_e32 v16, 24, v11
	v_xor_b32_e32 v12, s5, v12
	v_cmp_gt_i32_e64 s5, 0, v14
	v_not_b32_e32 v14, v15
	v_xor_b32_e32 v33, s6, v33
	v_cmp_gt_i32_e64 s6, 0, v15
	v_and_b32_e32 v12, exec_lo, v12
	v_not_b32_e32 v15, v17
	v_ashrrev_i32_e32 v14, 31, v14
	v_xor_b32_e32 v13, s5, v13
	v_cmp_gt_i32_e64 s5, 0, v17
	v_and_b32_e32 v12, v12, v33
	v_not_b32_e32 v17, v31
	v_ashrrev_i32_e32 v15, 31, v15
	v_xor_b32_e32 v14, s6, v14
	v_cmp_gt_i32_e64 s6, 0, v31
	v_and_b32_e32 v12, v12, v13
	;; [unrolled: 5-line block ×3, first 2 shown]
	v_not_b32_e32 v14, v16
	v_ashrrev_i32_e32 v13, 31, v13
	v_xor_b32_e32 v17, s6, v17
	v_lshl_add_u32 v11, v11, 5, v11
	v_and_b32_e32 v12, v12, v15
	v_cmp_gt_i32_e64 s6, 0, v16
	v_ashrrev_i32_e32 v14, 31, v14
	v_xor_b32_e32 v13, s5, v13
	v_add_lshl_u32 v33, v10, v11, 2
	v_and_b32_e32 v12, v12, v17
	s_delay_alu instid0(VALU_DEP_4) | instskip(SKIP_2) | instid1(VALU_DEP_1)
	v_xor_b32_e32 v10, s6, v14
	ds_load_b32 v31, v33 offset:128
	v_and_b32_e32 v11, v12, v13
	; wave barrier
	v_and_b32_e32 v10, v11, v10
	s_delay_alu instid0(VALU_DEP_1) | instskip(SKIP_1) | instid1(VALU_DEP_2)
	v_mbcnt_lo_u32_b32 v32, v10, 0
	v_cmp_ne_u32_e64 s6, 0, v10
	v_cmp_eq_u32_e64 s5, 0, v32
	s_delay_alu instid0(VALU_DEP_1) | instskip(NEXT) | instid1(SALU_CYCLE_1)
	s_and_b32 s6, s6, s5
	s_and_saveexec_b32 s5, s6
	s_cbranch_execz .LBB121_17
; %bb.16:
	s_waitcnt lgkmcnt(0)
	v_bcnt_u32_b32 v10, v10, v31
	ds_store_b32 v33, v10 offset:128
.LBB121_17:
	s_or_b32 exec_lo, exec_lo, s5
	; wave barrier
	s_waitcnt lgkmcnt(0)
	s_barrier
	buffer_gl0_inv
	ds_load_2addr_b32 v[16:17], v23 offset0:32 offset1:33
	ds_load_2addr_b32 v[14:15], v34 offset0:2 offset1:3
	;; [unrolled: 1-line block ×4, first 2 shown]
	ds_load_b32 v35, v34 offset:32
	v_and_b32_e32 v38, 16, v18
	v_and_b32_e32 v39, 31, v9
	s_mov_b32 s11, exec_lo
	s_delay_alu instid0(VALU_DEP_2) | instskip(SKIP_3) | instid1(VALU_DEP_1)
	v_cmp_eq_u32_e64 s9, 0, v38
	s_waitcnt lgkmcnt(3)
	v_add3_u32 v36, v17, v16, v14
	s_waitcnt lgkmcnt(2)
	v_add3_u32 v36, v36, v15, v12
	s_waitcnt lgkmcnt(1)
	s_delay_alu instid0(VALU_DEP_1) | instskip(SKIP_1) | instid1(VALU_DEP_1)
	v_add3_u32 v36, v36, v13, v10
	s_waitcnt lgkmcnt(0)
	v_add3_u32 v35, v36, v11, v35
	v_and_b32_e32 v36, 15, v18
	s_delay_alu instid0(VALU_DEP_2) | instskip(NEXT) | instid1(VALU_DEP_2)
	v_mov_b32_dpp v37, v35 row_shr:1 row_mask:0xf bank_mask:0xf
	v_cmp_eq_u32_e64 s5, 0, v36
	v_cmp_lt_u32_e64 s6, 1, v36
	v_cmp_lt_u32_e64 s7, 3, v36
	;; [unrolled: 1-line block ×3, first 2 shown]
	s_delay_alu instid0(VALU_DEP_4) | instskip(NEXT) | instid1(VALU_DEP_1)
	v_cndmask_b32_e64 v37, v37, 0, s5
	v_add_nc_u32_e32 v35, v37, v35
	s_delay_alu instid0(VALU_DEP_1) | instskip(NEXT) | instid1(VALU_DEP_1)
	v_mov_b32_dpp v37, v35 row_shr:2 row_mask:0xf bank_mask:0xf
	v_cndmask_b32_e64 v37, 0, v37, s6
	s_delay_alu instid0(VALU_DEP_1) | instskip(NEXT) | instid1(VALU_DEP_1)
	v_add_nc_u32_e32 v35, v35, v37
	v_mov_b32_dpp v37, v35 row_shr:4 row_mask:0xf bank_mask:0xf
	s_delay_alu instid0(VALU_DEP_1) | instskip(NEXT) | instid1(VALU_DEP_1)
	v_cndmask_b32_e64 v37, 0, v37, s7
	v_add_nc_u32_e32 v35, v35, v37
	s_delay_alu instid0(VALU_DEP_1) | instskip(NEXT) | instid1(VALU_DEP_1)
	v_mov_b32_dpp v37, v35 row_shr:8 row_mask:0xf bank_mask:0xf
	v_cndmask_b32_e64 v36, 0, v37, s8
	v_bfe_i32 v37, v18, 4, 1
	s_delay_alu instid0(VALU_DEP_2) | instskip(SKIP_4) | instid1(VALU_DEP_2)
	v_add_nc_u32_e32 v35, v35, v36
	ds_swizzle_b32 v36, v35 offset:swizzle(BROADCAST,32,15)
	s_waitcnt lgkmcnt(0)
	v_and_b32_e32 v37, v37, v36
	v_lshrrev_b32_e32 v36, 5, v9
	v_add_nc_u32_e32 v35, v35, v37
	v_cmpx_eq_u32_e32 31, v39
	s_cbranch_execz .LBB121_19
; %bb.18:
	s_delay_alu instid0(VALU_DEP_3)
	v_lshlrev_b32_e32 v37, 2, v36
	ds_store_b32 v37, v35
.LBB121_19:
	s_or_b32 exec_lo, exec_lo, s11
	v_cmp_lt_u32_e64 s10, 31, v9
	s_mov_b32 s35, exec_lo
	s_waitcnt lgkmcnt(0)
	s_barrier
	buffer_gl0_inv
	v_cmpx_gt_u32_e32 32, v9
	s_cbranch_execz .LBB121_21
; %bb.20:
	ds_load_b32 v37, v21
	s_waitcnt lgkmcnt(0)
	v_mov_b32_dpp v38, v37 row_shr:1 row_mask:0xf bank_mask:0xf
	s_delay_alu instid0(VALU_DEP_1) | instskip(NEXT) | instid1(VALU_DEP_1)
	v_cndmask_b32_e64 v38, v38, 0, s5
	v_add_nc_u32_e32 v37, v38, v37
	s_delay_alu instid0(VALU_DEP_1) | instskip(NEXT) | instid1(VALU_DEP_1)
	v_mov_b32_dpp v38, v37 row_shr:2 row_mask:0xf bank_mask:0xf
	v_cndmask_b32_e64 v38, 0, v38, s6
	s_delay_alu instid0(VALU_DEP_1) | instskip(NEXT) | instid1(VALU_DEP_1)
	v_add_nc_u32_e32 v37, v37, v38
	v_mov_b32_dpp v38, v37 row_shr:4 row_mask:0xf bank_mask:0xf
	s_delay_alu instid0(VALU_DEP_1) | instskip(NEXT) | instid1(VALU_DEP_1)
	v_cndmask_b32_e64 v38, 0, v38, s7
	v_add_nc_u32_e32 v37, v37, v38
	s_delay_alu instid0(VALU_DEP_1) | instskip(NEXT) | instid1(VALU_DEP_1)
	v_mov_b32_dpp v38, v37 row_shr:8 row_mask:0xf bank_mask:0xf
	v_cndmask_b32_e64 v38, 0, v38, s8
	s_delay_alu instid0(VALU_DEP_1) | instskip(SKIP_3) | instid1(VALU_DEP_1)
	v_add_nc_u32_e32 v37, v37, v38
	ds_swizzle_b32 v38, v37 offset:swizzle(BROADCAST,32,15)
	s_waitcnt lgkmcnt(0)
	v_cndmask_b32_e64 v38, v38, 0, s9
	v_add_nc_u32_e32 v37, v37, v38
	ds_store_b32 v21, v37
.LBB121_21:
	s_or_b32 exec_lo, exec_lo, s35
	v_mov_b32_e32 v21, 0
	s_waitcnt lgkmcnt(0)
	s_barrier
	buffer_gl0_inv
	s_and_saveexec_b32 s5, s10
	s_cbranch_execz .LBB121_23
; %bb.22:
	v_lshl_add_u32 v21, v36, 2, -4
	ds_load_b32 v21, v21
.LBB121_23:
	s_or_b32 exec_lo, exec_lo, s5
	v_add_nc_u32_e32 v36, -1, v18
	s_waitcnt lgkmcnt(0)
	v_add_nc_u32_e32 v35, v21, v35
	s_delay_alu instid0(VALU_DEP_2) | instskip(NEXT) | instid1(VALU_DEP_1)
	v_cmp_gt_i32_e64 s5, 0, v36
	v_cndmask_b32_e64 v36, v36, v18, s5
	v_cmp_eq_u32_e64 s5, 0, v18
	s_delay_alu instid0(VALU_DEP_2) | instskip(SKIP_4) | instid1(VALU_DEP_1)
	v_lshlrev_b32_e32 v36, 2, v36
	ds_bpermute_b32 v35, v36, v35
	s_waitcnt lgkmcnt(0)
	v_cndmask_b32_e64 v21, v35, v21, s5
	v_cmp_ne_u32_e64 s5, 0, v9
	v_cndmask_b32_e64 v21, 0, v21, s5
	v_cmp_gt_u32_e64 s5, 0x100, v9
	s_delay_alu instid0(VALU_DEP_2) | instskip(NEXT) | instid1(VALU_DEP_1)
	v_add_nc_u32_e32 v16, v21, v16
	v_add_nc_u32_e32 v17, v16, v17
	s_delay_alu instid0(VALU_DEP_1) | instskip(NEXT) | instid1(VALU_DEP_1)
	v_add_nc_u32_e32 v14, v17, v14
	v_add_nc_u32_e32 v15, v14, v15
	s_delay_alu instid0(VALU_DEP_1) | instskip(NEXT) | instid1(VALU_DEP_1)
	;; [unrolled: 3-line block ×3, first 2 shown]
	v_add_nc_u32_e32 v10, v13, v10
	v_add_nc_u32_e32 v11, v10, v11
	ds_store_2addr_b32 v23, v21, v16 offset0:32 offset1:33
	ds_store_2addr_b32 v34, v17, v14 offset0:2 offset1:3
	ds_store_2addr_b32 v34, v15, v12 offset0:4 offset1:5
	ds_store_2addr_b32 v34, v13, v10 offset0:6 offset1:7
	ds_store_b32 v34, v11 offset:32
	s_waitcnt lgkmcnt(0)
	s_barrier
	buffer_gl0_inv
	ds_load_b32 v14, v24 offset:128
	ds_load_b32 v15, v27 offset:128
	;; [unrolled: 1-line block ×4, first 2 shown]
                                        ; implicit-def: $vgpr12
                                        ; implicit-def: $vgpr13
	s_and_saveexec_b32 s7, s5
	s_cbranch_execz .LBB121_27
; %bb.24:
	v_mul_u32_u24_e32 v12, 33, v9
	s_mov_b32 s8, exec_lo
	s_delay_alu instid0(VALU_DEP_1)
	v_dual_mov_b32 v13, 0x1000 :: v_dual_lshlrev_b32 v16, 2, v12
	ds_load_b32 v12, v16 offset:128
	v_cmpx_ne_u32_e32 0xff, v9
	s_cbranch_execz .LBB121_26
; %bb.25:
	ds_load_b32 v13, v16 offset:260
.LBB121_26:
	s_or_b32 exec_lo, exec_lo, s8
	s_waitcnt lgkmcnt(0)
	v_sub_nc_u32_e32 v13, v13, v12
.LBB121_27:
	s_or_b32 exec_lo, exec_lo, s7
	v_add_nc_u32_e32 v17, v32, v31
	v_add_nc_u32_e32 v16, v26, v25
	;; [unrolled: 1-line block ×3, first 2 shown]
	s_waitcnt lgkmcnt(3)
	v_add_lshl_u32 v14, v14, v22, 3
	s_waitcnt lgkmcnt(0)
	v_add_lshl_u32 v17, v17, v10, 3
	v_add_lshl_u32 v15, v16, v15, 3
	;; [unrolled: 1-line block ×3, first 2 shown]
	s_barrier
	buffer_gl0_inv
	ds_store_b64 v14, v[1:2] offset:2048
	ds_store_b64 v15, v[3:4] offset:2048
	;; [unrolled: 1-line block ×4, first 2 shown]
	s_waitcnt lgkmcnt(0)
	s_barrier
	buffer_gl0_inv
	s_and_saveexec_b32 s7, s5
	s_cbranch_execz .LBB121_37
; %bb.28:
	v_lshl_or_b32 v3, s15, 8, v9
	v_dual_mov_b32 v4, 0 :: v_dual_mov_b32 v7, 0
	s_mov_b32 s8, 0
	s_mov_b32 s9, s15
	s_delay_alu instid0(VALU_DEP_1) | instskip(SKIP_1) | instid1(VALU_DEP_2)
	v_lshlrev_b64 v[1:2], 2, v[3:4]
	v_or_b32_e32 v3, 2.0, v13
	v_add_co_u32 v1, s6, s12, v1
	s_delay_alu instid0(VALU_DEP_1)
	v_add_co_ci_u32_e64 v2, s6, s13, v2, s6
                                        ; implicit-def: $sgpr6
	global_store_b32 v[1:2], v3, off
	s_branch .LBB121_30
	.p2align	6
.LBB121_29:                             ;   in Loop: Header=BB121_30 Depth=1
	s_or_b32 exec_lo, exec_lo, s10
	v_and_b32_e32 v5, 0x3fffffff, v8
	v_cmp_eq_u32_e64 s6, 0x80000000, v3
	s_delay_alu instid0(VALU_DEP_2) | instskip(NEXT) | instid1(VALU_DEP_2)
	v_add_nc_u32_e32 v7, v5, v7
	s_and_b32 s10, exec_lo, s6
	s_delay_alu instid0(SALU_CYCLE_1) | instskip(NEXT) | instid1(SALU_CYCLE_1)
	s_or_b32 s8, s10, s8
	s_and_not1_b32 exec_lo, exec_lo, s8
	s_cbranch_execz .LBB121_36
.LBB121_30:                             ; =>This Loop Header: Depth=1
                                        ;     Child Loop BB121_33 Depth 2
	s_or_b32 s6, s6, exec_lo
	s_cmp_eq_u32 s9, 0
	s_cbranch_scc1 .LBB121_35
; %bb.31:                               ;   in Loop: Header=BB121_30 Depth=1
	s_add_i32 s9, s9, -1
	s_mov_b32 s10, exec_lo
	v_lshl_or_b32 v3, s9, 8, v9
	s_delay_alu instid0(VALU_DEP_1) | instskip(NEXT) | instid1(VALU_DEP_1)
	v_lshlrev_b64 v[5:6], 2, v[3:4]
	v_add_co_u32 v5, s6, s12, v5
	s_delay_alu instid0(VALU_DEP_1) | instskip(SKIP_3) | instid1(VALU_DEP_1)
	v_add_co_ci_u32_e64 v6, s6, s13, v6, s6
	global_load_b32 v8, v[5:6], off glc
	s_waitcnt vmcnt(0)
	v_and_b32_e32 v3, -2.0, v8
	v_cmpx_eq_u32_e32 0, v3
	s_cbranch_execz .LBB121_29
; %bb.32:                               ;   in Loop: Header=BB121_30 Depth=1
	s_mov_b32 s11, 0
.LBB121_33:                             ;   Parent Loop BB121_30 Depth=1
                                        ; =>  This Inner Loop Header: Depth=2
	global_load_b32 v8, v[5:6], off glc
	s_waitcnt vmcnt(0)
	v_and_b32_e32 v3, -2.0, v8
	s_delay_alu instid0(VALU_DEP_1) | instskip(NEXT) | instid1(VALU_DEP_1)
	v_cmp_ne_u32_e64 s6, 0, v3
	s_or_b32 s11, s6, s11
	s_delay_alu instid0(SALU_CYCLE_1)
	s_and_not1_b32 exec_lo, exec_lo, s11
	s_cbranch_execnz .LBB121_33
; %bb.34:                               ;   in Loop: Header=BB121_30 Depth=1
	s_or_b32 exec_lo, exec_lo, s11
	s_branch .LBB121_29
.LBB121_35:                             ;   in Loop: Header=BB121_30 Depth=1
                                        ; implicit-def: $sgpr9
	s_and_b32 s10, exec_lo, s6
	s_delay_alu instid0(SALU_CYCLE_1) | instskip(NEXT) | instid1(SALU_CYCLE_1)
	s_or_b32 s8, s10, s8
	s_and_not1_b32 exec_lo, exec_lo, s8
	s_cbranch_execnz .LBB121_30
.LBB121_36:
	s_or_b32 exec_lo, exec_lo, s8
	v_add_nc_u32_e32 v3, v7, v13
	v_lshlrev_b32_e32 v4, 3, v9
	s_delay_alu instid0(VALU_DEP_2) | instskip(SKIP_3) | instid1(VALU_DEP_1)
	v_or_b32_e32 v3, 0x80000000, v3
	global_store_b32 v[1:2], v3, off
	global_load_b64 v[1:2], v4, s[24:25]
	v_sub_co_u32 v3, s6, v7, v12
	v_sub_co_ci_u32_e64 v5, null, 0, 0, s6
	s_waitcnt vmcnt(0)
	s_delay_alu instid0(VALU_DEP_2) | instskip(NEXT) | instid1(VALU_DEP_1)
	v_add_co_u32 v1, s6, v3, v1
	v_add_co_ci_u32_e64 v2, s6, v5, v2, s6
	ds_store_b64 v4, v[1:2]
.LBB121_37:
	s_or_b32 exec_lo, exec_lo, s7
	v_cmp_gt_u32_e64 s6, s33, v9
	v_lshlrev_b32_e32 v21, 3, v9
	s_waitcnt lgkmcnt(0)
	s_waitcnt_vscnt null, 0x0
	s_barrier
	buffer_gl0_inv
	s_and_saveexec_b32 s8, s6
	s_cbranch_execz .LBB121_39
; %bb.38:
	ds_load_b64 v[1:2], v21 offset:2048
	s_waitcnt lgkmcnt(0)
	v_lshrrev_b64 v[3:4], s28, v[1:2]
	v_xor_b32_e32 v2, 0x80000000, v2
	s_delay_alu instid0(VALU_DEP_2) | instskip(NEXT) | instid1(VALU_DEP_1)
	v_and_b32_e32 v3, s34, v3
	v_lshlrev_b32_e32 v3, 3, v3
	ds_load_b64 v[3:4], v3
	s_waitcnt lgkmcnt(0)
	v_lshlrev_b64 v[3:4], 3, v[3:4]
	s_delay_alu instid0(VALU_DEP_1) | instskip(NEXT) | instid1(VALU_DEP_1)
	v_add_co_u32 v3, s7, s18, v3
	v_add_co_ci_u32_e64 v4, s7, s19, v4, s7
	s_delay_alu instid0(VALU_DEP_2) | instskip(NEXT) | instid1(VALU_DEP_1)
	v_add_co_u32 v3, s7, v3, v21
	v_add_co_ci_u32_e64 v4, s7, 0, v4, s7
	global_store_b64 v[3:4], v[1:2], off
.LBB121_39:
	s_or_b32 exec_lo, exec_lo, s8
	v_or_b32_e32 v1, 0x400, v9
	s_delay_alu instid0(VALU_DEP_1) | instskip(SKIP_1) | instid1(VALU_DEP_2)
	v_cmp_gt_u32_e64 s7, s33, v1
	v_lshlrev_b32_e32 v22, 3, v1
	s_and_saveexec_b32 s9, s7
	s_cbranch_execz .LBB121_41
; %bb.40:
	ds_load_b64 v[1:2], v21 offset:10240
	s_waitcnt lgkmcnt(0)
	v_lshrrev_b64 v[3:4], s28, v[1:2]
	v_xor_b32_e32 v2, 0x80000000, v2
	s_delay_alu instid0(VALU_DEP_2) | instskip(NEXT) | instid1(VALU_DEP_1)
	v_and_b32_e32 v3, s34, v3
	v_lshlrev_b32_e32 v3, 3, v3
	ds_load_b64 v[3:4], v3
	s_waitcnt lgkmcnt(0)
	v_lshlrev_b64 v[3:4], 3, v[3:4]
	s_delay_alu instid0(VALU_DEP_1) | instskip(NEXT) | instid1(VALU_DEP_1)
	v_add_co_u32 v3, s8, s18, v3
	v_add_co_ci_u32_e64 v4, s8, s19, v4, s8
	s_delay_alu instid0(VALU_DEP_2) | instskip(NEXT) | instid1(VALU_DEP_1)
	v_add_co_u32 v3, s8, v3, v22
	v_add_co_ci_u32_e64 v4, s8, 0, v4, s8
	global_store_b64 v[3:4], v[1:2], off
.LBB121_41:
	s_or_b32 exec_lo, exec_lo, s9
	v_or_b32_e32 v1, 0x800, v9
	s_delay_alu instid0(VALU_DEP_1) | instskip(SKIP_1) | instid1(VALU_DEP_2)
	v_cmp_gt_u32_e64 s8, s33, v1
	v_lshlrev_b32_e32 v23, 3, v1
	;; [unrolled: 26-line block ×3, first 2 shown]
	s_and_saveexec_b32 s11, s9
	s_cbranch_execz .LBB121_45
; %bb.44:
	ds_load_b64 v[1:2], v21 offset:26624
	s_waitcnt lgkmcnt(0)
	v_lshrrev_b64 v[3:4], s28, v[1:2]
	v_xor_b32_e32 v2, 0x80000000, v2
	s_delay_alu instid0(VALU_DEP_2) | instskip(NEXT) | instid1(VALU_DEP_1)
	v_and_b32_e32 v3, s34, v3
	v_lshlrev_b32_e32 v3, 3, v3
	ds_load_b64 v[3:4], v3
	s_waitcnt lgkmcnt(0)
	v_lshlrev_b64 v[3:4], 3, v[3:4]
	s_delay_alu instid0(VALU_DEP_1) | instskip(NEXT) | instid1(VALU_DEP_1)
	v_add_co_u32 v3, s10, s18, v3
	v_add_co_ci_u32_e64 v4, s10, s19, v4, s10
	s_delay_alu instid0(VALU_DEP_2) | instskip(NEXT) | instid1(VALU_DEP_1)
	v_add_co_u32 v3, s10, v3, v24
	v_add_co_ci_u32_e64 v4, s10, 0, v4, s10
	global_store_b64 v[3:4], v[1:2], off
.LBB121_45:
	s_or_b32 exec_lo, exec_lo, s11
	s_add_u32 s10, s20, s30
	s_addc_u32 s11, s21, s31
	v_add_co_u32 v1, s10, s10, v19
	s_delay_alu instid0(VALU_DEP_1) | instskip(NEXT) | instid1(VALU_DEP_2)
	v_add_co_ci_u32_e64 v2, null, s11, 0, s10
	v_add_co_u32 v10, s10, v1, v20
	s_delay_alu instid0(VALU_DEP_1) | instskip(SKIP_1) | instid1(SALU_CYCLE_1)
	v_add_co_ci_u32_e64 v11, s10, 0, v2, s10
                                        ; implicit-def: $vgpr1_vgpr2
	s_and_saveexec_b32 s10, vcc_lo
	s_xor_b32 s10, exec_lo, s10
	s_cbranch_execnz .LBB121_103
; %bb.46:
	s_or_b32 exec_lo, exec_lo, s10
                                        ; implicit-def: $vgpr3_vgpr4
	s_and_saveexec_b32 s10, s2
	s_cbranch_execnz .LBB121_104
.LBB121_47:
	s_or_b32 exec_lo, exec_lo, s10
                                        ; implicit-def: $vgpr5_vgpr6
	s_and_saveexec_b32 s2, s3
	s_cbranch_execnz .LBB121_105
.LBB121_48:
	s_or_b32 exec_lo, exec_lo, s2
                                        ; implicit-def: $vgpr7_vgpr8
	s_and_saveexec_b32 s2, s4
	s_cbranch_execz .LBB121_50
.LBB121_49:
	global_load_b64 v[7:8], v[10:11], off offset:768
.LBB121_50:
	s_or_b32 exec_lo, exec_lo, s2
	v_dual_mov_b32 v11, 0 :: v_dual_mov_b32 v20, 0
	s_and_saveexec_b32 s2, s6
	s_cbranch_execz .LBB121_52
; %bb.51:
	ds_load_b64 v[19:20], v21 offset:2048
	s_waitcnt lgkmcnt(0)
	v_lshrrev_b64 v[19:20], s28, v[19:20]
	s_delay_alu instid0(VALU_DEP_1)
	v_and_b32_e32 v20, s34, v19
.LBB121_52:
	s_or_b32 exec_lo, exec_lo, s2
	s_and_saveexec_b32 s2, s7
	s_cbranch_execz .LBB121_54
; %bb.53:
	ds_load_b64 v[10:11], v21 offset:10240
	s_waitcnt lgkmcnt(0)
	v_lshrrev_b64 v[10:11], s28, v[10:11]
	s_delay_alu instid0(VALU_DEP_1)
	v_and_b32_e32 v11, s34, v10
.LBB121_54:
	s_or_b32 exec_lo, exec_lo, s2
	v_dual_mov_b32 v10, 0 :: v_dual_mov_b32 v19, 0
	s_and_saveexec_b32 s2, s8
	s_cbranch_execz .LBB121_56
; %bb.55:
	ds_load_b64 v[25:26], v21 offset:18432
	s_waitcnt lgkmcnt(0)
	v_lshrrev_b64 v[25:26], s28, v[25:26]
	s_delay_alu instid0(VALU_DEP_1)
	v_and_b32_e32 v19, s34, v25
.LBB121_56:
	s_or_b32 exec_lo, exec_lo, s2
	s_and_saveexec_b32 s2, s9
	s_cbranch_execz .LBB121_58
; %bb.57:
	ds_load_b64 v[25:26], v21 offset:26624
	s_waitcnt lgkmcnt(0)
	v_lshrrev_b64 v[25:26], s28, v[25:26]
	s_delay_alu instid0(VALU_DEP_1)
	v_and_b32_e32 v10, s34, v25
.LBB121_58:
	s_or_b32 exec_lo, exec_lo, s2
	s_waitcnt vmcnt(0)
	s_waitcnt_vscnt null, 0x0
	s_barrier
	buffer_gl0_inv
	ds_store_b64 v14, v[1:2] offset:2048
	ds_store_b64 v15, v[3:4] offset:2048
	;; [unrolled: 1-line block ×4, first 2 shown]
	s_waitcnt lgkmcnt(0)
	s_barrier
	buffer_gl0_inv
	s_and_saveexec_b32 s2, s6
	s_cbranch_execnz .LBB121_106
; %bb.59:
	s_or_b32 exec_lo, exec_lo, s2
	s_and_saveexec_b32 s2, s7
	s_cbranch_execnz .LBB121_107
.LBB121_60:
	s_or_b32 exec_lo, exec_lo, s2
	s_and_saveexec_b32 s2, s8
	s_cbranch_execnz .LBB121_108
.LBB121_61:
	s_or_b32 exec_lo, exec_lo, s2
	s_and_saveexec_b32 s2, s9
	s_cbranch_execz .LBB121_63
.LBB121_62:
	v_lshlrev_b32_e32 v1, 3, v10
	ds_load_b64 v[1:2], v1
	ds_load_b64 v[3:4], v21 offset:26624
	s_waitcnt lgkmcnt(1)
	v_lshlrev_b64 v[1:2], 3, v[1:2]
	s_delay_alu instid0(VALU_DEP_1) | instskip(NEXT) | instid1(VALU_DEP_2)
	v_add_co_u32 v1, vcc_lo, s22, v1
	v_add_co_ci_u32_e32 v2, vcc_lo, s23, v2, vcc_lo
	s_delay_alu instid0(VALU_DEP_2) | instskip(NEXT) | instid1(VALU_DEP_2)
	v_add_co_u32 v1, vcc_lo, v1, v24
	v_add_co_ci_u32_e32 v2, vcc_lo, 0, v2, vcc_lo
	s_waitcnt lgkmcnt(0)
	global_store_b64 v[1:2], v[3:4], off
.LBB121_63:
	s_or_b32 exec_lo, exec_lo, s2
	s_add_i32 s14, s14, -1
	s_mov_b32 s2, 0
	s_cmp_eq_u32 s15, s14
	s_mov_b32 s8, 0
	s_cselect_b32 s3, -1, 0
                                        ; implicit-def: $vgpr1_vgpr2
	s_delay_alu instid0(SALU_CYCLE_1) | instskip(NEXT) | instid1(SALU_CYCLE_1)
	s_and_b32 s3, s5, s3
	s_and_saveexec_b32 s4, s3
	s_delay_alu instid0(SALU_CYCLE_1)
	s_xor_b32 s3, exec_lo, s4
; %bb.64:
	v_add_co_u32 v1, s4, v12, v13
	v_mov_b32_e32 v10, 0
	v_add_co_ci_u32_e64 v2, null, 0, 0, s4
	s_mov_b32 s8, exec_lo
; %bb.65:
	s_or_b32 exec_lo, exec_lo, s3
	s_delay_alu instid0(SALU_CYCLE_1)
	s_and_b32 vcc_lo, exec_lo, s2
	s_cbranch_vccnz .LBB121_67
	s_branch .LBB121_100
.LBB121_66:
	s_mov_b32 s8, 0
                                        ; implicit-def: $vgpr1_vgpr2
	s_cbranch_execz .LBB121_100
.LBB121_67:
	v_dual_mov_b32 v12, 0 :: v_dual_lshlrev_b32 v21, 2, v9
	s_lshl_b32 s2, s15, 12
	s_mov_b32 s3, 0
	v_lshlrev_b32_e32 v20, 3, v18
	s_delay_alu instid0(VALU_DEP_2) | instskip(SKIP_1) | instid1(SALU_CYCLE_1)
	v_and_b32_e32 v1, 0xf80, v21
	s_lshl_b64 s[6:7], s[2:3], 3
	s_add_u32 s2, s16, s6
	s_addc_u32 s3, s17, s7
	s_delay_alu instid0(VALU_DEP_1) | instskip(SKIP_1) | instid1(VALU_DEP_1)
	v_lshlrev_b32_e32 v19, 3, v1
	v_add_co_u32 v1, s2, s2, v20
	v_add_co_ci_u32_e64 v2, null, s3, 0, s2
	s_delay_alu instid0(VALU_DEP_2) | instskip(NEXT) | instid1(VALU_DEP_2)
	v_add_co_u32 v3, vcc_lo, v1, v19
	v_add_co_ci_u32_e32 v4, vcc_lo, 0, v2, vcc_lo
	global_load_b64 v[1:2], v[3:4], off
	s_clause 0x1
	s_load_b32 s2, s[0:1], 0x5c
	s_load_b32 s9, s[0:1], 0x50
	s_add_u32 s0, s0, 0x50
	s_addc_u32 s1, s1, 0
	s_waitcnt lgkmcnt(0)
	s_lshr_b32 s2, s2, 16
	s_cmp_lt_u32 s15, s9
	s_cselect_b32 s3, 12, 18
	s_delay_alu instid0(SALU_CYCLE_1)
	s_add_u32 s0, s0, s3
	s_addc_u32 s1, s1, 0
	global_load_u16 v13, v12, s[0:1]
	s_clause 0x2
	global_load_b64 v[7:8], v[3:4], off offset:256
	global_load_b64 v[5:6], v[3:4], off offset:512
	;; [unrolled: 1-line block ×3, first 2 shown]
	s_lshl_b32 s0, -1, s29
	s_delay_alu instid0(SALU_CYCLE_1) | instskip(SKIP_2) | instid1(VALU_DEP_1)
	s_not_b32 s10, s0
	s_waitcnt vmcnt(4)
	v_xor_b32_e32 v2, 0x80000000, v2
	v_lshrrev_b64 v[10:11], s28, v[1:2]
	s_delay_alu instid0(VALU_DEP_1) | instskip(SKIP_2) | instid1(VALU_DEP_3)
	v_and_b32_e32 v14, s10, v10
	v_bfe_u32 v10, v0, 10, 10
	v_bfe_u32 v0, v0, 20, 10
	v_and_b32_e32 v11, 1, v14
	v_lshlrev_b32_e32 v15, 30, v14
	v_lshlrev_b32_e32 v16, 29, v14
	;; [unrolled: 1-line block ×4, first 2 shown]
	v_add_co_u32 v11, s0, v11, -1
	s_delay_alu instid0(VALU_DEP_1)
	v_cndmask_b32_e64 v22, 0, 1, s0
	v_not_b32_e32 v26, v15
	v_cmp_gt_i32_e64 s0, 0, v15
	v_not_b32_e32 v15, v16
	v_lshlrev_b32_e32 v24, 26, v14
	v_cmp_ne_u32_e32 vcc_lo, 0, v22
	v_ashrrev_i32_e32 v26, 31, v26
	v_lshlrev_b32_e32 v25, 25, v14
	v_ashrrev_i32_e32 v15, 31, v15
	v_lshlrev_b32_e32 v22, 24, v14
	v_xor_b32_e32 v11, vcc_lo, v11
	v_cmp_gt_i32_e32 vcc_lo, 0, v16
	v_not_b32_e32 v16, v17
	v_xor_b32_e32 v26, s0, v26
	v_cmp_gt_i32_e64 s0, 0, v17
	v_and_b32_e32 v11, exec_lo, v11
	v_not_b32_e32 v17, v23
	v_ashrrev_i32_e32 v16, 31, v16
	v_xor_b32_e32 v15, vcc_lo, v15
	v_cmp_gt_i32_e32 vcc_lo, 0, v23
	v_and_b32_e32 v11, v11, v26
	v_not_b32_e32 v23, v24
	v_ashrrev_i32_e32 v17, 31, v17
	v_xor_b32_e32 v16, s0, v16
	v_cmp_gt_i32_e64 s0, 0, v24
	v_and_b32_e32 v11, v11, v15
	v_not_b32_e32 v15, v25
	v_ashrrev_i32_e32 v23, 31, v23
	v_xor_b32_e32 v17, vcc_lo, v17
	v_cmp_gt_i32_e32 vcc_lo, 0, v25
	v_and_b32_e32 v11, v11, v16
	v_not_b32_e32 v16, v22
	v_ashrrev_i32_e32 v15, 31, v15
	v_xor_b32_e32 v23, s0, v23
	v_cmp_gt_i32_e64 s0, 0, v22
	v_and_b32_e32 v11, v11, v17
	v_ashrrev_i32_e32 v16, 31, v16
	v_xor_b32_e32 v15, vcc_lo, v15
	v_mad_u32_u24 v0, v0, s2, v10
	v_mul_u32_u24_e32 v17, 9, v9
	v_and_b32_e32 v11, v11, v23
	v_xor_b32_e32 v16, s0, v16
	s_delay_alu instid0(VALU_DEP_3) | instskip(NEXT) | instid1(VALU_DEP_3)
	v_lshlrev_b32_e32 v22, 2, v17
	v_and_b32_e32 v15, v11, v15
	s_waitcnt vmcnt(3)
	v_mad_u64_u32 v[10:11], null, v0, v13, v[9:10]
	ds_store_2addr_b32 v22, v12, v12 offset0:32 offset1:33
	ds_store_2addr_b32 v22, v12, v12 offset0:34 offset1:35
	ds_store_2addr_b32 v22, v12, v12 offset0:36 offset1:37
	ds_store_2addr_b32 v22, v12, v12 offset0:38 offset1:39
	v_and_b32_e32 v11, v15, v16
	ds_store_b32 v22, v12 offset:160
	v_lshl_add_u32 v12, v14, 5, v14
	s_waitcnt vmcnt(0) lgkmcnt(0)
	s_waitcnt_vscnt null, 0x0
	v_lshrrev_b32_e32 v10, 5, v10
	v_mbcnt_lo_u32_b32 v0, v11, 0
	v_cmp_ne_u32_e64 s0, 0, v11
	s_barrier
	buffer_gl0_inv
	v_add_lshl_u32 v23, v10, v12, 2
	v_cmp_eq_u32_e32 vcc_lo, 0, v0
	; wave barrier
	s_and_b32 s1, s0, vcc_lo
	s_delay_alu instid0(SALU_CYCLE_1)
	s_and_saveexec_b32 s0, s1
	s_cbranch_execz .LBB121_69
; %bb.68:
	v_bcnt_u32_b32 v11, v11, 0
	ds_store_b32 v23, v11 offset:128
.LBB121_69:
	s_or_b32 exec_lo, exec_lo, s0
	v_xor_b32_e32 v8, 0x80000000, v8
	; wave barrier
	s_delay_alu instid0(VALU_DEP_1) | instskip(NEXT) | instid1(VALU_DEP_1)
	v_lshrrev_b64 v[11:12], s28, v[7:8]
	v_and_b32_e32 v11, s10, v11
	s_delay_alu instid0(VALU_DEP_1)
	v_and_b32_e32 v12, 1, v11
	v_lshlrev_b32_e32 v13, 30, v11
	v_lshlrev_b32_e32 v14, 29, v11
	;; [unrolled: 1-line block ×4, first 2 shown]
	v_add_co_u32 v12, s0, v12, -1
	s_delay_alu instid0(VALU_DEP_1)
	v_cndmask_b32_e64 v16, 0, 1, s0
	v_not_b32_e32 v26, v13
	v_cmp_gt_i32_e64 s0, 0, v13
	v_not_b32_e32 v13, v14
	v_lshlrev_b32_e32 v24, 26, v11
	v_cmp_ne_u32_e32 vcc_lo, 0, v16
	v_ashrrev_i32_e32 v26, 31, v26
	v_lshlrev_b32_e32 v25, 25, v11
	v_ashrrev_i32_e32 v13, 31, v13
	v_lshlrev_b32_e32 v16, 24, v11
	v_xor_b32_e32 v12, vcc_lo, v12
	v_cmp_gt_i32_e32 vcc_lo, 0, v14
	v_not_b32_e32 v14, v15
	v_xor_b32_e32 v26, s0, v26
	v_cmp_gt_i32_e64 s0, 0, v15
	v_and_b32_e32 v12, exec_lo, v12
	v_not_b32_e32 v15, v17
	v_ashrrev_i32_e32 v14, 31, v14
	v_xor_b32_e32 v13, vcc_lo, v13
	v_cmp_gt_i32_e32 vcc_lo, 0, v17
	v_and_b32_e32 v12, v12, v26
	v_not_b32_e32 v17, v24
	v_ashrrev_i32_e32 v15, 31, v15
	v_xor_b32_e32 v14, s0, v14
	v_cmp_gt_i32_e64 s0, 0, v24
	v_and_b32_e32 v12, v12, v13
	v_not_b32_e32 v13, v25
	v_ashrrev_i32_e32 v17, 31, v17
	v_xor_b32_e32 v15, vcc_lo, v15
	v_cmp_gt_i32_e32 vcc_lo, 0, v25
	v_and_b32_e32 v12, v12, v14
	v_not_b32_e32 v14, v16
	v_ashrrev_i32_e32 v13, 31, v13
	v_xor_b32_e32 v17, s0, v17
	v_lshl_add_u32 v11, v11, 5, v11
	v_and_b32_e32 v12, v12, v15
	v_cmp_gt_i32_e64 s0, 0, v16
	v_ashrrev_i32_e32 v14, 31, v14
	v_xor_b32_e32 v13, vcc_lo, v13
	v_add_lshl_u32 v26, v10, v11, 2
	v_and_b32_e32 v12, v12, v17
	s_delay_alu instid0(VALU_DEP_4) | instskip(SKIP_2) | instid1(VALU_DEP_1)
	v_xor_b32_e32 v11, s0, v14
	ds_load_b32 v24, v26 offset:128
	v_and_b32_e32 v12, v12, v13
	; wave barrier
	v_and_b32_e32 v11, v12, v11
	s_delay_alu instid0(VALU_DEP_1) | instskip(SKIP_1) | instid1(VALU_DEP_2)
	v_mbcnt_lo_u32_b32 v25, v11, 0
	v_cmp_ne_u32_e64 s0, 0, v11
	v_cmp_eq_u32_e32 vcc_lo, 0, v25
	s_delay_alu instid0(VALU_DEP_2) | instskip(NEXT) | instid1(SALU_CYCLE_1)
	s_and_b32 s1, s0, vcc_lo
	s_and_saveexec_b32 s0, s1
	s_cbranch_execz .LBB121_71
; %bb.70:
	s_waitcnt lgkmcnt(0)
	v_bcnt_u32_b32 v11, v11, v24
	ds_store_b32 v26, v11 offset:128
.LBB121_71:
	s_or_b32 exec_lo, exec_lo, s0
	v_xor_b32_e32 v6, 0x80000000, v6
	; wave barrier
	s_delay_alu instid0(VALU_DEP_1) | instskip(NEXT) | instid1(VALU_DEP_1)
	v_lshrrev_b64 v[11:12], s28, v[5:6]
	v_and_b32_e32 v11, s10, v11
	s_delay_alu instid0(VALU_DEP_1)
	v_and_b32_e32 v12, 1, v11
	v_lshlrev_b32_e32 v13, 30, v11
	v_lshlrev_b32_e32 v14, 29, v11
	;; [unrolled: 1-line block ×4, first 2 shown]
	v_add_co_u32 v12, s0, v12, -1
	s_delay_alu instid0(VALU_DEP_1)
	v_cndmask_b32_e64 v16, 0, 1, s0
	v_not_b32_e32 v29, v13
	v_cmp_gt_i32_e64 s0, 0, v13
	v_not_b32_e32 v13, v14
	v_lshlrev_b32_e32 v27, 26, v11
	v_cmp_ne_u32_e32 vcc_lo, 0, v16
	v_ashrrev_i32_e32 v29, 31, v29
	v_lshlrev_b32_e32 v28, 25, v11
	v_ashrrev_i32_e32 v13, 31, v13
	v_lshlrev_b32_e32 v16, 24, v11
	v_xor_b32_e32 v12, vcc_lo, v12
	v_cmp_gt_i32_e32 vcc_lo, 0, v14
	v_not_b32_e32 v14, v15
	v_xor_b32_e32 v29, s0, v29
	v_cmp_gt_i32_e64 s0, 0, v15
	v_and_b32_e32 v12, exec_lo, v12
	v_not_b32_e32 v15, v17
	v_ashrrev_i32_e32 v14, 31, v14
	v_xor_b32_e32 v13, vcc_lo, v13
	v_cmp_gt_i32_e32 vcc_lo, 0, v17
	v_and_b32_e32 v12, v12, v29
	v_not_b32_e32 v17, v27
	v_ashrrev_i32_e32 v15, 31, v15
	v_xor_b32_e32 v14, s0, v14
	v_cmp_gt_i32_e64 s0, 0, v27
	v_and_b32_e32 v12, v12, v13
	v_not_b32_e32 v13, v28
	v_ashrrev_i32_e32 v17, 31, v17
	v_xor_b32_e32 v15, vcc_lo, v15
	v_cmp_gt_i32_e32 vcc_lo, 0, v28
	v_and_b32_e32 v12, v12, v14
	v_not_b32_e32 v14, v16
	v_ashrrev_i32_e32 v13, 31, v13
	v_xor_b32_e32 v17, s0, v17
	v_lshl_add_u32 v11, v11, 5, v11
	v_and_b32_e32 v12, v12, v15
	v_cmp_gt_i32_e64 s0, 0, v16
	v_ashrrev_i32_e32 v14, 31, v14
	v_xor_b32_e32 v13, vcc_lo, v13
	v_add_lshl_u32 v29, v10, v11, 2
	v_and_b32_e32 v12, v12, v17
	s_delay_alu instid0(VALU_DEP_4) | instskip(SKIP_2) | instid1(VALU_DEP_1)
	v_xor_b32_e32 v11, s0, v14
	ds_load_b32 v27, v29 offset:128
	v_and_b32_e32 v12, v12, v13
	; wave barrier
	v_and_b32_e32 v11, v12, v11
	s_delay_alu instid0(VALU_DEP_1) | instskip(SKIP_1) | instid1(VALU_DEP_2)
	v_mbcnt_lo_u32_b32 v28, v11, 0
	v_cmp_ne_u32_e64 s0, 0, v11
	v_cmp_eq_u32_e32 vcc_lo, 0, v28
	s_delay_alu instid0(VALU_DEP_2) | instskip(NEXT) | instid1(SALU_CYCLE_1)
	s_and_b32 s1, s0, vcc_lo
	s_and_saveexec_b32 s0, s1
	s_cbranch_execz .LBB121_73
; %bb.72:
	s_waitcnt lgkmcnt(0)
	v_bcnt_u32_b32 v11, v11, v27
	ds_store_b32 v29, v11 offset:128
.LBB121_73:
	s_or_b32 exec_lo, exec_lo, s0
	v_xor_b32_e32 v4, 0x80000000, v4
	; wave barrier
	v_add_nc_u32_e32 v33, 0x80, v22
	s_delay_alu instid0(VALU_DEP_2) | instskip(NEXT) | instid1(VALU_DEP_1)
	v_lshrrev_b64 v[11:12], s28, v[3:4]
	v_and_b32_e32 v11, s10, v11
	s_delay_alu instid0(VALU_DEP_1)
	v_and_b32_e32 v12, 1, v11
	v_lshlrev_b32_e32 v13, 30, v11
	v_lshlrev_b32_e32 v14, 29, v11
	;; [unrolled: 1-line block ×4, first 2 shown]
	v_add_co_u32 v12, s0, v12, -1
	s_delay_alu instid0(VALU_DEP_1)
	v_cndmask_b32_e64 v16, 0, 1, s0
	v_not_b32_e32 v32, v13
	v_cmp_gt_i32_e64 s0, 0, v13
	v_not_b32_e32 v13, v14
	v_lshlrev_b32_e32 v30, 26, v11
	v_cmp_ne_u32_e32 vcc_lo, 0, v16
	v_ashrrev_i32_e32 v32, 31, v32
	v_lshlrev_b32_e32 v31, 25, v11
	v_ashrrev_i32_e32 v13, 31, v13
	v_lshlrev_b32_e32 v16, 24, v11
	v_xor_b32_e32 v12, vcc_lo, v12
	v_cmp_gt_i32_e32 vcc_lo, 0, v14
	v_not_b32_e32 v14, v15
	v_xor_b32_e32 v32, s0, v32
	v_cmp_gt_i32_e64 s0, 0, v15
	v_and_b32_e32 v12, exec_lo, v12
	v_not_b32_e32 v15, v17
	v_ashrrev_i32_e32 v14, 31, v14
	v_xor_b32_e32 v13, vcc_lo, v13
	v_cmp_gt_i32_e32 vcc_lo, 0, v17
	v_and_b32_e32 v12, v12, v32
	v_not_b32_e32 v17, v30
	v_ashrrev_i32_e32 v15, 31, v15
	v_xor_b32_e32 v14, s0, v14
	v_cmp_gt_i32_e64 s0, 0, v30
	v_and_b32_e32 v12, v12, v13
	v_not_b32_e32 v13, v31
	v_ashrrev_i32_e32 v17, 31, v17
	v_xor_b32_e32 v15, vcc_lo, v15
	v_cmp_gt_i32_e32 vcc_lo, 0, v31
	v_and_b32_e32 v12, v12, v14
	v_not_b32_e32 v14, v16
	v_ashrrev_i32_e32 v13, 31, v13
	v_xor_b32_e32 v17, s0, v17
	v_lshl_add_u32 v11, v11, 5, v11
	v_and_b32_e32 v12, v12, v15
	v_cmp_gt_i32_e64 s0, 0, v16
	v_ashrrev_i32_e32 v14, 31, v14
	v_xor_b32_e32 v13, vcc_lo, v13
	v_add_lshl_u32 v32, v10, v11, 2
	v_and_b32_e32 v12, v12, v17
	s_delay_alu instid0(VALU_DEP_4) | instskip(SKIP_2) | instid1(VALU_DEP_1)
	v_xor_b32_e32 v10, s0, v14
	ds_load_b32 v30, v32 offset:128
	v_and_b32_e32 v11, v12, v13
	; wave barrier
	v_and_b32_e32 v10, v11, v10
	s_delay_alu instid0(VALU_DEP_1) | instskip(SKIP_1) | instid1(VALU_DEP_2)
	v_mbcnt_lo_u32_b32 v31, v10, 0
	v_cmp_ne_u32_e64 s0, 0, v10
	v_cmp_eq_u32_e32 vcc_lo, 0, v31
	s_delay_alu instid0(VALU_DEP_2) | instskip(NEXT) | instid1(SALU_CYCLE_1)
	s_and_b32 s1, s0, vcc_lo
	s_and_saveexec_b32 s0, s1
	s_cbranch_execz .LBB121_75
; %bb.74:
	s_waitcnt lgkmcnt(0)
	v_bcnt_u32_b32 v10, v10, v30
	ds_store_b32 v32, v10 offset:128
.LBB121_75:
	s_or_b32 exec_lo, exec_lo, s0
	; wave barrier
	s_waitcnt lgkmcnt(0)
	s_barrier
	buffer_gl0_inv
	ds_load_2addr_b32 v[16:17], v22 offset0:32 offset1:33
	ds_load_2addr_b32 v[14:15], v33 offset0:2 offset1:3
	;; [unrolled: 1-line block ×4, first 2 shown]
	ds_load_b32 v34, v33 offset:32
	v_and_b32_e32 v37, 16, v18
	v_and_b32_e32 v38, 31, v9
	s_mov_b32 s5, exec_lo
	s_delay_alu instid0(VALU_DEP_2) | instskip(SKIP_3) | instid1(VALU_DEP_1)
	v_cmp_eq_u32_e64 s3, 0, v37
	s_waitcnt lgkmcnt(3)
	v_add3_u32 v35, v17, v16, v14
	s_waitcnt lgkmcnt(2)
	v_add3_u32 v35, v35, v15, v12
	s_waitcnt lgkmcnt(1)
	s_delay_alu instid0(VALU_DEP_1) | instskip(SKIP_1) | instid1(VALU_DEP_1)
	v_add3_u32 v35, v35, v13, v10
	s_waitcnt lgkmcnt(0)
	v_add3_u32 v34, v35, v11, v34
	v_and_b32_e32 v35, 15, v18
	s_delay_alu instid0(VALU_DEP_2) | instskip(NEXT) | instid1(VALU_DEP_2)
	v_mov_b32_dpp v36, v34 row_shr:1 row_mask:0xf bank_mask:0xf
	v_cmp_eq_u32_e32 vcc_lo, 0, v35
	v_cmp_lt_u32_e64 s0, 1, v35
	v_cmp_lt_u32_e64 s1, 3, v35
	;; [unrolled: 1-line block ×3, first 2 shown]
	v_cndmask_b32_e64 v36, v36, 0, vcc_lo
	s_delay_alu instid0(VALU_DEP_1) | instskip(NEXT) | instid1(VALU_DEP_1)
	v_add_nc_u32_e32 v34, v36, v34
	v_mov_b32_dpp v36, v34 row_shr:2 row_mask:0xf bank_mask:0xf
	s_delay_alu instid0(VALU_DEP_1) | instskip(NEXT) | instid1(VALU_DEP_1)
	v_cndmask_b32_e64 v36, 0, v36, s0
	v_add_nc_u32_e32 v34, v34, v36
	s_delay_alu instid0(VALU_DEP_1) | instskip(NEXT) | instid1(VALU_DEP_1)
	v_mov_b32_dpp v36, v34 row_shr:4 row_mask:0xf bank_mask:0xf
	v_cndmask_b32_e64 v36, 0, v36, s1
	s_delay_alu instid0(VALU_DEP_1) | instskip(NEXT) | instid1(VALU_DEP_1)
	v_add_nc_u32_e32 v34, v34, v36
	v_mov_b32_dpp v36, v34 row_shr:8 row_mask:0xf bank_mask:0xf
	s_delay_alu instid0(VALU_DEP_1) | instskip(SKIP_1) | instid1(VALU_DEP_2)
	v_cndmask_b32_e64 v35, 0, v36, s2
	v_bfe_i32 v36, v18, 4, 1
	v_add_nc_u32_e32 v34, v34, v35
	ds_swizzle_b32 v35, v34 offset:swizzle(BROADCAST,32,15)
	s_waitcnt lgkmcnt(0)
	v_and_b32_e32 v36, v36, v35
	v_lshrrev_b32_e32 v35, 5, v9
	s_delay_alu instid0(VALU_DEP_2)
	v_add_nc_u32_e32 v34, v34, v36
	v_cmpx_eq_u32_e32 31, v38
	s_cbranch_execz .LBB121_77
; %bb.76:
	s_delay_alu instid0(VALU_DEP_3)
	v_lshlrev_b32_e32 v36, 2, v35
	ds_store_b32 v36, v34
.LBB121_77:
	s_or_b32 exec_lo, exec_lo, s5
	v_cmp_lt_u32_e64 s4, 31, v9
	s_mov_b32 s11, exec_lo
	s_waitcnt lgkmcnt(0)
	s_barrier
	buffer_gl0_inv
	v_cmpx_gt_u32_e32 32, v9
	s_cbranch_execz .LBB121_79
; %bb.78:
	ds_load_b32 v36, v21
	s_waitcnt lgkmcnt(0)
	v_mov_b32_dpp v37, v36 row_shr:1 row_mask:0xf bank_mask:0xf
	s_delay_alu instid0(VALU_DEP_1) | instskip(NEXT) | instid1(VALU_DEP_1)
	v_cndmask_b32_e64 v37, v37, 0, vcc_lo
	v_add_nc_u32_e32 v36, v37, v36
	s_delay_alu instid0(VALU_DEP_1) | instskip(NEXT) | instid1(VALU_DEP_1)
	v_mov_b32_dpp v37, v36 row_shr:2 row_mask:0xf bank_mask:0xf
	v_cndmask_b32_e64 v37, 0, v37, s0
	s_delay_alu instid0(VALU_DEP_1) | instskip(NEXT) | instid1(VALU_DEP_1)
	v_add_nc_u32_e32 v36, v36, v37
	v_mov_b32_dpp v37, v36 row_shr:4 row_mask:0xf bank_mask:0xf
	s_delay_alu instid0(VALU_DEP_1) | instskip(NEXT) | instid1(VALU_DEP_1)
	v_cndmask_b32_e64 v37, 0, v37, s1
	v_add_nc_u32_e32 v36, v36, v37
	s_delay_alu instid0(VALU_DEP_1) | instskip(NEXT) | instid1(VALU_DEP_1)
	v_mov_b32_dpp v37, v36 row_shr:8 row_mask:0xf bank_mask:0xf
	v_cndmask_b32_e64 v37, 0, v37, s2
	s_delay_alu instid0(VALU_DEP_1) | instskip(SKIP_3) | instid1(VALU_DEP_1)
	v_add_nc_u32_e32 v36, v36, v37
	ds_swizzle_b32 v37, v36 offset:swizzle(BROADCAST,32,15)
	s_waitcnt lgkmcnt(0)
	v_cndmask_b32_e64 v37, v37, 0, s3
	v_add_nc_u32_e32 v36, v36, v37
	ds_store_b32 v21, v36
.LBB121_79:
	s_or_b32 exec_lo, exec_lo, s11
	v_mov_b32_e32 v21, 0
	s_waitcnt lgkmcnt(0)
	s_barrier
	buffer_gl0_inv
	s_and_saveexec_b32 s0, s4
	s_cbranch_execz .LBB121_81
; %bb.80:
	v_lshl_add_u32 v21, v35, 2, -4
	ds_load_b32 v21, v21
.LBB121_81:
	s_or_b32 exec_lo, exec_lo, s0
	v_add_nc_u32_e32 v35, -1, v18
	s_waitcnt lgkmcnt(0)
	v_add_nc_u32_e32 v34, v21, v34
	v_cmp_lt_u32_e64 s0, 0xff, v9
	s_delay_alu instid0(VALU_DEP_3) | instskip(SKIP_2) | instid1(VALU_DEP_2)
	v_cmp_gt_i32_e32 vcc_lo, 0, v35
	v_cndmask_b32_e32 v35, v35, v18, vcc_lo
	v_cmp_eq_u32_e32 vcc_lo, 0, v18
	v_lshlrev_b32_e32 v35, 2, v35
	ds_bpermute_b32 v34, v35, v34
	s_waitcnt lgkmcnt(0)
	v_cndmask_b32_e32 v18, v34, v21, vcc_lo
	v_cmp_ne_u32_e32 vcc_lo, 0, v9
	s_delay_alu instid0(VALU_DEP_2) | instskip(SKIP_1) | instid1(VALU_DEP_2)
	v_cndmask_b32_e32 v18, 0, v18, vcc_lo
	v_cmp_gt_u32_e32 vcc_lo, 0x100, v9
	v_add_nc_u32_e32 v16, v18, v16
	s_delay_alu instid0(VALU_DEP_1) | instskip(NEXT) | instid1(VALU_DEP_1)
	v_add_nc_u32_e32 v17, v16, v17
	v_add_nc_u32_e32 v14, v17, v14
	s_delay_alu instid0(VALU_DEP_1) | instskip(NEXT) | instid1(VALU_DEP_1)
	v_add_nc_u32_e32 v15, v14, v15
	;; [unrolled: 3-line block ×3, first 2 shown]
	v_add_nc_u32_e32 v10, v13, v10
	s_delay_alu instid0(VALU_DEP_1)
	v_add_nc_u32_e32 v11, v10, v11
	ds_store_2addr_b32 v22, v18, v16 offset0:32 offset1:33
	ds_store_2addr_b32 v33, v17, v14 offset0:2 offset1:3
	;; [unrolled: 1-line block ×4, first 2 shown]
	ds_store_b32 v33, v11 offset:32
	s_waitcnt lgkmcnt(0)
	s_barrier
	buffer_gl0_inv
	ds_load_b32 v14, v23 offset:128
	ds_load_b32 v15, v26 offset:128
	;; [unrolled: 1-line block ×4, first 2 shown]
	v_mov_b32_e32 v11, 0
	v_mov_b32_e32 v12, 0
                                        ; implicit-def: $vgpr13
	s_and_saveexec_b32 s2, vcc_lo
	s_cbranch_execz .LBB121_85
; %bb.82:
	v_mul_u32_u24_e32 v11, 33, v9
	s_mov_b32 s3, exec_lo
	s_delay_alu instid0(VALU_DEP_1)
	v_dual_mov_b32 v12, 0x1000 :: v_dual_lshlrev_b32 v13, 2, v11
	ds_load_b32 v11, v13 offset:128
	v_cmpx_ne_u32_e32 0xff, v9
	s_cbranch_execz .LBB121_84
; %bb.83:
	ds_load_b32 v12, v13 offset:260
.LBB121_84:
	s_or_b32 exec_lo, exec_lo, s3
	s_waitcnt lgkmcnt(0)
	v_sub_nc_u32_e32 v13, v12, v11
	v_mov_b32_e32 v12, 0
.LBB121_85:
	s_or_b32 exec_lo, exec_lo, s2
	v_add_nc_u32_e32 v17, v31, v30
	v_add_nc_u32_e32 v18, v25, v24
	;; [unrolled: 1-line block ×3, first 2 shown]
	s_waitcnt lgkmcnt(3)
	v_add_lshl_u32 v14, v14, v0, 3
	s_waitcnt lgkmcnt(0)
	v_add_lshl_u32 v17, v17, v10, 3
	v_add_lshl_u32 v15, v18, v15, 3
	;; [unrolled: 1-line block ×3, first 2 shown]
	s_barrier
	buffer_gl0_inv
	ds_store_b64 v14, v[1:2] offset:2048
	ds_store_b64 v15, v[7:8] offset:2048
	;; [unrolled: 1-line block ×4, first 2 shown]
	s_waitcnt lgkmcnt(0)
	s_barrier
	buffer_gl0_inv
	s_and_saveexec_b32 s1, s0
	s_delay_alu instid0(SALU_CYCLE_1)
	s_xor_b32 s0, exec_lo, s1
; %bb.86:
	v_mov_b32_e32 v10, 0
; %bb.87:
	s_and_not1_saveexec_b32 s1, s0
	s_cbranch_execz .LBB121_97
; %bb.88:
	v_lshl_or_b32 v2, s15, 8, v9
	v_dual_mov_b32 v3, 0 :: v_dual_mov_b32 v6, 0
	s_mov_b32 s2, 0
	s_mov_b32 s3, s15
	s_delay_alu instid0(VALU_DEP_1) | instskip(SKIP_1) | instid1(VALU_DEP_2)
	v_lshlrev_b64 v[0:1], 2, v[2:3]
	v_or_b32_e32 v2, 2.0, v13
	v_add_co_u32 v0, s0, s12, v0
	s_delay_alu instid0(VALU_DEP_1)
	v_add_co_ci_u32_e64 v1, s0, s13, v1, s0
                                        ; implicit-def: $sgpr0
	global_store_b32 v[0:1], v2, off
	s_branch .LBB121_91
	.p2align	6
.LBB121_89:                             ;   in Loop: Header=BB121_91 Depth=1
	s_or_b32 exec_lo, exec_lo, s5
.LBB121_90:                             ;   in Loop: Header=BB121_91 Depth=1
	s_delay_alu instid0(SALU_CYCLE_1) | instskip(SKIP_2) | instid1(VALU_DEP_2)
	s_or_b32 exec_lo, exec_lo, s4
	v_and_b32_e32 v4, 0x3fffffff, v7
	v_cmp_eq_u32_e64 s0, 0x80000000, v2
	v_add_nc_u32_e32 v6, v4, v6
	s_delay_alu instid0(VALU_DEP_2) | instskip(NEXT) | instid1(SALU_CYCLE_1)
	s_and_b32 s4, exec_lo, s0
	s_or_b32 s2, s4, s2
	s_delay_alu instid0(SALU_CYCLE_1)
	s_and_not1_b32 exec_lo, exec_lo, s2
	s_cbranch_execz .LBB121_96
.LBB121_91:                             ; =>This Loop Header: Depth=1
                                        ;     Child Loop BB121_94 Depth 2
	s_or_b32 s0, s0, exec_lo
	s_cmp_eq_u32 s3, 0
	s_cbranch_scc1 .LBB121_95
; %bb.92:                               ;   in Loop: Header=BB121_91 Depth=1
	s_add_i32 s3, s3, -1
	s_mov_b32 s4, exec_lo
	v_lshl_or_b32 v2, s3, 8, v9
	s_delay_alu instid0(VALU_DEP_1) | instskip(NEXT) | instid1(VALU_DEP_1)
	v_lshlrev_b64 v[4:5], 2, v[2:3]
	v_add_co_u32 v4, s0, s12, v4
	s_delay_alu instid0(VALU_DEP_1) | instskip(SKIP_3) | instid1(VALU_DEP_1)
	v_add_co_ci_u32_e64 v5, s0, s13, v5, s0
	global_load_b32 v7, v[4:5], off glc
	s_waitcnt vmcnt(0)
	v_and_b32_e32 v2, -2.0, v7
	v_cmpx_eq_u32_e32 0, v2
	s_cbranch_execz .LBB121_90
; %bb.93:                               ;   in Loop: Header=BB121_91 Depth=1
	s_mov_b32 s5, 0
.LBB121_94:                             ;   Parent Loop BB121_91 Depth=1
                                        ; =>  This Inner Loop Header: Depth=2
	global_load_b32 v7, v[4:5], off glc
	s_waitcnt vmcnt(0)
	v_and_b32_e32 v2, -2.0, v7
	s_delay_alu instid0(VALU_DEP_1) | instskip(NEXT) | instid1(VALU_DEP_1)
	v_cmp_ne_u32_e64 s0, 0, v2
	s_or_b32 s5, s0, s5
	s_delay_alu instid0(SALU_CYCLE_1)
	s_and_not1_b32 exec_lo, exec_lo, s5
	s_cbranch_execnz .LBB121_94
	s_branch .LBB121_89
.LBB121_95:                             ;   in Loop: Header=BB121_91 Depth=1
                                        ; implicit-def: $sgpr3
	s_and_b32 s4, exec_lo, s0
	s_delay_alu instid0(SALU_CYCLE_1) | instskip(NEXT) | instid1(SALU_CYCLE_1)
	s_or_b32 s2, s4, s2
	s_and_not1_b32 exec_lo, exec_lo, s2
	s_cbranch_execnz .LBB121_91
.LBB121_96:
	s_or_b32 exec_lo, exec_lo, s2
	v_add_nc_u32_e32 v2, v6, v13
	v_dual_mov_b32 v10, 0 :: v_dual_lshlrev_b32 v3, 3, v9
	s_delay_alu instid0(VALU_DEP_2) | instskip(SKIP_3) | instid1(VALU_DEP_1)
	v_or_b32_e32 v2, 0x80000000, v2
	global_store_b32 v[0:1], v2, off
	global_load_b64 v[0:1], v3, s[24:25]
	v_sub_co_u32 v2, s0, v6, v11
	v_sub_co_ci_u32_e64 v4, s0, 0, v12, s0
	s_waitcnt vmcnt(0)
	s_delay_alu instid0(VALU_DEP_2) | instskip(NEXT) | instid1(VALU_DEP_1)
	v_add_co_u32 v0, s0, v2, v0
	v_add_co_ci_u32_e64 v1, s0, v4, v1, s0
	ds_store_b64 v3, v[0:1]
.LBB121_97:
	s_or_b32 exec_lo, exec_lo, s1
	v_lshlrev_b32_e32 v32, 3, v9
	s_waitcnt lgkmcnt(0)
	s_waitcnt_vscnt null, 0x0
	s_barrier
	buffer_gl0_inv
	v_lshlrev_b32_e32 v33, 3, v9
	ds_load_2addr_stride64_b64 v[0:3], v32 offset0:20 offset1:36
	s_add_u32 s0, s20, s6
	s_addc_u32 s1, s21, s7
	v_or_b32_e32 v38, 0x4000, v32
	ds_load_b64 v[4:5], v33 offset:2048
	v_or_b32_e32 v37, 0x2000, v32
	v_or_b32_e32 v39, 0x6000, v32
	s_add_i32 s9, s9, -1
	s_delay_alu instid0(SALU_CYCLE_1)
	s_cmp_eq_u32 s15, s9
	s_waitcnt lgkmcnt(1)
	v_lshrrev_b64 v[6:7], s28, v[2:3]
	ds_load_b64 v[7:8], v32 offset:26624
	v_xor_b32_e32 v3, 0x80000000, v3
	s_waitcnt lgkmcnt(1)
	v_lshrrev_b64 v[21:22], s28, v[4:5]
	v_lshrrev_b64 v[22:23], s28, v[0:1]
	v_and_b32_e32 v6, s10, v6
	v_xor_b32_e32 v5, 0x80000000, v5
	v_xor_b32_e32 v1, 0x80000000, v1
	s_delay_alu instid0(VALU_DEP_4) | instskip(NEXT) | instid1(VALU_DEP_4)
	v_and_b32_e32 v18, s10, v22
	v_lshlrev_b32_e32 v34, 3, v6
	v_and_b32_e32 v6, s10, v21
	v_lshlrev_b64 v[21:22], 3, v[9:10]
	s_delay_alu instid0(VALU_DEP_4)
	v_lshlrev_b32_e32 v36, 3, v18
	ds_load_b64 v[23:24], v34
	v_lshlrev_b32_e32 v35, 3, v6
	v_add_co_u32 v6, s0, s0, v20
	s_waitcnt lgkmcnt(1)
	v_lshrrev_b64 v[25:26], s28, v[7:8]
	ds_load_b64 v[28:29], v36
	ds_load_b64 v[26:27], v35
	v_add_co_ci_u32_e64 v20, null, s1, 0, s0
	v_xor_b32_e32 v8, 0x80000000, v8
	v_and_b32_e32 v18, s10, v25
	s_cselect_b32 s1, -1, 0
	s_delay_alu instid0(SALU_CYCLE_1) | instskip(NEXT) | instid1(VALU_DEP_1)
	s_and_b32 s1, vcc_lo, s1
	v_lshlrev_b32_e32 v40, 3, v18
	ds_load_b64 v[30:31], v40
	s_waitcnt lgkmcnt(3)
	v_lshlrev_b64 v[23:24], 3, v[23:24]
	s_delay_alu instid0(VALU_DEP_1) | instskip(NEXT) | instid1(VALU_DEP_1)
	v_add_co_u32 v18, s0, s18, v23
	v_add_co_ci_u32_e64 v41, s0, s19, v24, s0
	s_waitcnt lgkmcnt(1)
	v_lshlrev_b64 v[23:24], 3, v[26:27]
	s_delay_alu instid0(VALU_DEP_3) | instskip(SKIP_2) | instid1(VALU_DEP_4)
	v_add_co_u32 v25, s0, v18, v38
	v_lshlrev_b64 v[27:28], 3, v[28:29]
	v_add_co_ci_u32_e64 v26, s0, 0, v41, s0
	v_add_co_u32 v18, s0, s18, v23
	s_delay_alu instid0(VALU_DEP_1) | instskip(NEXT) | instid1(VALU_DEP_4)
	v_add_co_ci_u32_e64 v29, s0, s19, v24, s0
	v_add_co_u32 v41, s0, s18, v27
	s_waitcnt lgkmcnt(0)
	v_lshlrev_b64 v[23:24], 3, v[30:31]
	v_add_co_ci_u32_e64 v42, s0, s19, v28, s0
	v_add_co_u32 v27, s0, v18, v21
	s_delay_alu instid0(VALU_DEP_1) | instskip(NEXT) | instid1(VALU_DEP_4)
	v_add_co_ci_u32_e64 v28, s0, v29, v22, s0
	v_add_co_u32 v18, s0, s18, v23
	s_delay_alu instid0(VALU_DEP_1) | instskip(SKIP_1) | instid1(VALU_DEP_1)
	v_add_co_ci_u32_e64 v30, s0, s19, v24, s0
	v_add_co_u32 v23, s0, v41, v37
	v_add_co_ci_u32_e64 v24, s0, 0, v42, s0
	s_delay_alu instid0(VALU_DEP_4) | instskip(NEXT) | instid1(VALU_DEP_1)
	v_add_co_u32 v29, s0, v18, v39
	v_add_co_ci_u32_e64 v30, s0, 0, v30, s0
	v_add_co_u32 v18, s0, v6, v19
	s_delay_alu instid0(VALU_DEP_1)
	v_add_co_ci_u32_e64 v19, s0, 0, v20, s0
	s_clause 0x3
	global_store_b64 v[27:28], v[4:5], off
	global_store_b64 v[23:24], v[0:1], off
	;; [unrolled: 1-line block ×4, first 2 shown]
	s_clause 0x3
	global_load_b64 v[0:1], v[18:19], off
	global_load_b64 v[2:3], v[18:19], off offset:256
	global_load_b64 v[4:5], v[18:19], off offset:512
	;; [unrolled: 1-line block ×3, first 2 shown]
	s_waitcnt vmcnt(0)
	s_waitcnt_vscnt null, 0x0
	s_barrier
	buffer_gl0_inv
	ds_store_b64 v14, v[0:1] offset:2048
	ds_store_b64 v15, v[2:3] offset:2048
	;; [unrolled: 1-line block ×4, first 2 shown]
	s_waitcnt lgkmcnt(0)
	s_barrier
	buffer_gl0_inv
	ds_load_b64 v[0:1], v35
	ds_load_b64 v[4:5], v36
	;; [unrolled: 1-line block ×4, first 2 shown]
	ds_load_b64 v[16:17], v33 offset:2048
	ds_load_b64 v[18:19], v32 offset:26624
	s_waitcnt lgkmcnt(5)
	v_lshlrev_b64 v[23:24], 3, v[0:1]
	s_waitcnt lgkmcnt(4)
	v_lshlrev_b64 v[4:5], 3, v[4:5]
	;; [unrolled: 2-line block ×4, first 2 shown]
	ds_load_2addr_stride64_b64 v[0:3], v32 offset0:20 offset1:36
	v_add_co_u32 v8, s0, s22, v23
	s_delay_alu instid0(VALU_DEP_1) | instskip(SKIP_1) | instid1(VALU_DEP_1)
	v_add_co_ci_u32_e64 v20, s0, s23, v24, s0
	v_add_co_u32 v23, s0, s22, v4
	v_add_co_ci_u32_e64 v24, s0, s23, v5, s0
	v_add_co_u32 v25, s0, s22, v6
	s_delay_alu instid0(VALU_DEP_1) | instskip(SKIP_1) | instid1(VALU_DEP_1)
	v_add_co_ci_u32_e64 v26, s0, s23, v7, s0
	v_add_co_u32 v27, s0, s22, v14
	v_add_co_ci_u32_e64 v28, s0, s23, v15, s0
	;; [unrolled: 5-line block ×4, first 2 shown]
	s_waitcnt lgkmcnt(2)
	global_store_b64 v[4:5], v[16:17], off
	s_waitcnt lgkmcnt(0)
	s_clause 0x2
	global_store_b64 v[6:7], v[0:1], off
	global_store_b64 v[14:15], v[2:3], off
	;; [unrolled: 1-line block ×3, first 2 shown]
                                        ; implicit-def: $vgpr1_vgpr2
	s_and_saveexec_b32 s0, s1
; %bb.98:
	v_add_co_u32 v1, vcc_lo, v11, v13
	v_add_co_ci_u32_e32 v2, vcc_lo, 0, v12, vcc_lo
	s_or_b32 s8, s8, exec_lo
; %bb.99:
	s_or_b32 exec_lo, exec_lo, s0
.LBB121_100:
	s_and_saveexec_b32 s0, s8
	s_cbranch_execnz .LBB121_102
; %bb.101:
	s_nop 0
	s_sendmsg sendmsg(MSG_DEALLOC_VGPRS)
	s_endpgm
.LBB121_102:
	v_lshlrev_b32_e32 v0, 3, v9
	v_lshlrev_b64 v[5:6], 3, v[9:10]
	ds_load_b64 v[3:4], v0
	v_add_co_u32 v5, vcc_lo, s26, v5
	v_add_co_ci_u32_e32 v6, vcc_lo, s27, v6, vcc_lo
	s_waitcnt lgkmcnt(0)
	v_add_co_u32 v0, vcc_lo, v3, v1
	v_add_co_ci_u32_e32 v1, vcc_lo, v4, v2, vcc_lo
	global_store_b64 v[5:6], v[0:1], off
	s_nop 0
	s_sendmsg sendmsg(MSG_DEALLOC_VGPRS)
	s_endpgm
.LBB121_103:
	global_load_b64 v[1:2], v[10:11], off
	s_or_b32 exec_lo, exec_lo, s10
                                        ; implicit-def: $vgpr3_vgpr4
	s_and_saveexec_b32 s10, s2
	s_cbranch_execz .LBB121_47
.LBB121_104:
	global_load_b64 v[3:4], v[10:11], off offset:256
	s_or_b32 exec_lo, exec_lo, s10
                                        ; implicit-def: $vgpr5_vgpr6
	s_and_saveexec_b32 s2, s3
	s_cbranch_execz .LBB121_48
.LBB121_105:
	global_load_b64 v[5:6], v[10:11], off offset:512
	s_or_b32 exec_lo, exec_lo, s2
                                        ; implicit-def: $vgpr7_vgpr8
	s_and_saveexec_b32 s2, s4
	s_cbranch_execnz .LBB121_49
	s_branch .LBB121_50
.LBB121_106:
	v_lshlrev_b32_e32 v1, 3, v20
	ds_load_b64 v[1:2], v1
	ds_load_b64 v[3:4], v21 offset:2048
	s_waitcnt lgkmcnt(1)
	v_lshlrev_b64 v[1:2], 3, v[1:2]
	s_delay_alu instid0(VALU_DEP_1) | instskip(NEXT) | instid1(VALU_DEP_2)
	v_add_co_u32 v1, vcc_lo, s22, v1
	v_add_co_ci_u32_e32 v2, vcc_lo, s23, v2, vcc_lo
	s_delay_alu instid0(VALU_DEP_2) | instskip(NEXT) | instid1(VALU_DEP_2)
	v_add_co_u32 v1, vcc_lo, v1, v21
	v_add_co_ci_u32_e32 v2, vcc_lo, 0, v2, vcc_lo
	s_waitcnt lgkmcnt(0)
	global_store_b64 v[1:2], v[3:4], off
	s_or_b32 exec_lo, exec_lo, s2
	s_and_saveexec_b32 s2, s7
	s_cbranch_execz .LBB121_60
.LBB121_107:
	v_lshlrev_b32_e32 v1, 3, v11
	ds_load_b64 v[1:2], v1
	ds_load_b64 v[3:4], v21 offset:10240
	s_waitcnt lgkmcnt(1)
	v_lshlrev_b64 v[1:2], 3, v[1:2]
	s_delay_alu instid0(VALU_DEP_1) | instskip(NEXT) | instid1(VALU_DEP_2)
	v_add_co_u32 v1, vcc_lo, s22, v1
	v_add_co_ci_u32_e32 v2, vcc_lo, s23, v2, vcc_lo
	s_delay_alu instid0(VALU_DEP_2) | instskip(NEXT) | instid1(VALU_DEP_2)
	v_add_co_u32 v1, vcc_lo, v1, v22
	v_add_co_ci_u32_e32 v2, vcc_lo, 0, v2, vcc_lo
	s_waitcnt lgkmcnt(0)
	global_store_b64 v[1:2], v[3:4], off
	s_or_b32 exec_lo, exec_lo, s2
	s_and_saveexec_b32 s2, s8
	s_cbranch_execz .LBB121_61
.LBB121_108:
	v_lshlrev_b32_e32 v1, 3, v19
	ds_load_b64 v[1:2], v1
	ds_load_b64 v[3:4], v21 offset:18432
	s_waitcnt lgkmcnt(1)
	v_lshlrev_b64 v[1:2], 3, v[1:2]
	s_delay_alu instid0(VALU_DEP_1) | instskip(NEXT) | instid1(VALU_DEP_2)
	v_add_co_u32 v1, vcc_lo, s22, v1
	v_add_co_ci_u32_e32 v2, vcc_lo, s23, v2, vcc_lo
	s_delay_alu instid0(VALU_DEP_2) | instskip(NEXT) | instid1(VALU_DEP_2)
	v_add_co_u32 v1, vcc_lo, v1, v23
	v_add_co_ci_u32_e32 v2, vcc_lo, 0, v2, vcc_lo
	s_waitcnt lgkmcnt(0)
	global_store_b64 v[1:2], v[3:4], off
	s_or_b32 exec_lo, exec_lo, s2
	s_and_saveexec_b32 s2, s9
	s_cbranch_execnz .LBB121_62
	s_branch .LBB121_63
	.section	.rodata,"a",@progbits
	.p2align	6, 0x0
	.amdhsa_kernel _ZN7rocprim17ROCPRIM_304000_NS6detail25onesweep_iteration_kernelINS1_34wrapped_radix_sort_onesweep_configINS0_14default_configElN2at4cuda3cub6detail10OpaqueTypeILi8EEEEELb0EPlSC_PSA_SD_mNS0_19identity_decomposerEEEvT1_T2_T3_T4_jPT5_SK_PNS1_23onesweep_lookback_stateET6_jjj
		.amdhsa_group_segment_fixed_size 36992
		.amdhsa_private_segment_fixed_size 0
		.amdhsa_kernarg_size 336
		.amdhsa_user_sgpr_count 15
		.amdhsa_user_sgpr_dispatch_ptr 0
		.amdhsa_user_sgpr_queue_ptr 0
		.amdhsa_user_sgpr_kernarg_segment_ptr 1
		.amdhsa_user_sgpr_dispatch_id 0
		.amdhsa_user_sgpr_private_segment_size 0
		.amdhsa_wavefront_size32 1
		.amdhsa_uses_dynamic_stack 0
		.amdhsa_enable_private_segment 0
		.amdhsa_system_sgpr_workgroup_id_x 1
		.amdhsa_system_sgpr_workgroup_id_y 0
		.amdhsa_system_sgpr_workgroup_id_z 0
		.amdhsa_system_sgpr_workgroup_info 0
		.amdhsa_system_vgpr_workitem_id 2
		.amdhsa_next_free_vgpr 43
		.amdhsa_next_free_sgpr 36
		.amdhsa_reserve_vcc 1
		.amdhsa_float_round_mode_32 0
		.amdhsa_float_round_mode_16_64 0
		.amdhsa_float_denorm_mode_32 3
		.amdhsa_float_denorm_mode_16_64 3
		.amdhsa_dx10_clamp 1
		.amdhsa_ieee_mode 1
		.amdhsa_fp16_overflow 0
		.amdhsa_workgroup_processor_mode 1
		.amdhsa_memory_ordered 1
		.amdhsa_forward_progress 0
		.amdhsa_shared_vgpr_count 0
		.amdhsa_exception_fp_ieee_invalid_op 0
		.amdhsa_exception_fp_denorm_src 0
		.amdhsa_exception_fp_ieee_div_zero 0
		.amdhsa_exception_fp_ieee_overflow 0
		.amdhsa_exception_fp_ieee_underflow 0
		.amdhsa_exception_fp_ieee_inexact 0
		.amdhsa_exception_int_div_zero 0
	.end_amdhsa_kernel
	.section	.text._ZN7rocprim17ROCPRIM_304000_NS6detail25onesweep_iteration_kernelINS1_34wrapped_radix_sort_onesweep_configINS0_14default_configElN2at4cuda3cub6detail10OpaqueTypeILi8EEEEELb0EPlSC_PSA_SD_mNS0_19identity_decomposerEEEvT1_T2_T3_T4_jPT5_SK_PNS1_23onesweep_lookback_stateET6_jjj,"axG",@progbits,_ZN7rocprim17ROCPRIM_304000_NS6detail25onesweep_iteration_kernelINS1_34wrapped_radix_sort_onesweep_configINS0_14default_configElN2at4cuda3cub6detail10OpaqueTypeILi8EEEEELb0EPlSC_PSA_SD_mNS0_19identity_decomposerEEEvT1_T2_T3_T4_jPT5_SK_PNS1_23onesweep_lookback_stateET6_jjj,comdat
.Lfunc_end121:
	.size	_ZN7rocprim17ROCPRIM_304000_NS6detail25onesweep_iteration_kernelINS1_34wrapped_radix_sort_onesweep_configINS0_14default_configElN2at4cuda3cub6detail10OpaqueTypeILi8EEEEELb0EPlSC_PSA_SD_mNS0_19identity_decomposerEEEvT1_T2_T3_T4_jPT5_SK_PNS1_23onesweep_lookback_stateET6_jjj, .Lfunc_end121-_ZN7rocprim17ROCPRIM_304000_NS6detail25onesweep_iteration_kernelINS1_34wrapped_radix_sort_onesweep_configINS0_14default_configElN2at4cuda3cub6detail10OpaqueTypeILi8EEEEELb0EPlSC_PSA_SD_mNS0_19identity_decomposerEEEvT1_T2_T3_T4_jPT5_SK_PNS1_23onesweep_lookback_stateET6_jjj
                                        ; -- End function
	.section	.AMDGPU.csdata,"",@progbits
; Kernel info:
; codeLenInByte = 8976
; NumSgprs: 38
; NumVgprs: 43
; ScratchSize: 0
; MemoryBound: 1
; FloatMode: 240
; IeeeMode: 1
; LDSByteSize: 36992 bytes/workgroup (compile time only)
; SGPRBlocks: 4
; VGPRBlocks: 5
; NumSGPRsForWavesPerEU: 38
; NumVGPRsForWavesPerEU: 43
; Occupancy: 16
; WaveLimiterHint : 1
; COMPUTE_PGM_RSRC2:SCRATCH_EN: 0
; COMPUTE_PGM_RSRC2:USER_SGPR: 15
; COMPUTE_PGM_RSRC2:TRAP_HANDLER: 0
; COMPUTE_PGM_RSRC2:TGID_X_EN: 1
; COMPUTE_PGM_RSRC2:TGID_Y_EN: 0
; COMPUTE_PGM_RSRC2:TGID_Z_EN: 0
; COMPUTE_PGM_RSRC2:TIDIG_COMP_CNT: 2
	.section	.text._ZN7rocprim17ROCPRIM_304000_NS6detail28radix_sort_block_sort_kernelINS1_36wrapped_radix_sort_block_sort_configINS0_13kernel_configILj256ELj4ELj4294967295EEEfN2at4cuda3cub6detail10OpaqueTypeILi8EEEEELb1EPKfPfPKSB_PSB_NS0_19identity_decomposerEEEvT1_T2_T3_T4_jT5_jj,"axG",@progbits,_ZN7rocprim17ROCPRIM_304000_NS6detail28radix_sort_block_sort_kernelINS1_36wrapped_radix_sort_block_sort_configINS0_13kernel_configILj256ELj4ELj4294967295EEEfN2at4cuda3cub6detail10OpaqueTypeILi8EEEEELb1EPKfPfPKSB_PSB_NS0_19identity_decomposerEEEvT1_T2_T3_T4_jT5_jj,comdat
	.protected	_ZN7rocprim17ROCPRIM_304000_NS6detail28radix_sort_block_sort_kernelINS1_36wrapped_radix_sort_block_sort_configINS0_13kernel_configILj256ELj4ELj4294967295EEEfN2at4cuda3cub6detail10OpaqueTypeILi8EEEEELb1EPKfPfPKSB_PSB_NS0_19identity_decomposerEEEvT1_T2_T3_T4_jT5_jj ; -- Begin function _ZN7rocprim17ROCPRIM_304000_NS6detail28radix_sort_block_sort_kernelINS1_36wrapped_radix_sort_block_sort_configINS0_13kernel_configILj256ELj4ELj4294967295EEEfN2at4cuda3cub6detail10OpaqueTypeILi8EEEEELb1EPKfPfPKSB_PSB_NS0_19identity_decomposerEEEvT1_T2_T3_T4_jT5_jj
	.globl	_ZN7rocprim17ROCPRIM_304000_NS6detail28radix_sort_block_sort_kernelINS1_36wrapped_radix_sort_block_sort_configINS0_13kernel_configILj256ELj4ELj4294967295EEEfN2at4cuda3cub6detail10OpaqueTypeILi8EEEEELb1EPKfPfPKSB_PSB_NS0_19identity_decomposerEEEvT1_T2_T3_T4_jT5_jj
	.p2align	8
	.type	_ZN7rocprim17ROCPRIM_304000_NS6detail28radix_sort_block_sort_kernelINS1_36wrapped_radix_sort_block_sort_configINS0_13kernel_configILj256ELj4ELj4294967295EEEfN2at4cuda3cub6detail10OpaqueTypeILi8EEEEELb1EPKfPfPKSB_PSB_NS0_19identity_decomposerEEEvT1_T2_T3_T4_jT5_jj,@function
_ZN7rocprim17ROCPRIM_304000_NS6detail28radix_sort_block_sort_kernelINS1_36wrapped_radix_sort_block_sort_configINS0_13kernel_configILj256ELj4ELj4294967295EEEfN2at4cuda3cub6detail10OpaqueTypeILi8EEEEELb1EPKfPfPKSB_PSB_NS0_19identity_decomposerEEEvT1_T2_T3_T4_jT5_jj: ; @_ZN7rocprim17ROCPRIM_304000_NS6detail28radix_sort_block_sort_kernelINS1_36wrapped_radix_sort_block_sort_configINS0_13kernel_configILj256ELj4ELj4294967295EEEfN2at4cuda3cub6detail10OpaqueTypeILi8EEEEELb1EPKfPfPKSB_PSB_NS0_19identity_decomposerEEEvT1_T2_T3_T4_jT5_jj
; %bb.0:
	s_clause 0x1
	s_load_b32 s2, s[0:1], 0x20
	s_load_b256 s[16:23], s[0:1], 0x0
	v_and_b32_e32 v8, 0x3ff, v0
	v_mbcnt_lo_u32_b32 v7, -1, 0
	s_lshl_b32 s24, s15, 10
	s_mov_b32 s25, 0
	s_delay_alu instid0(VALU_DEP_2) | instskip(NEXT) | instid1(VALU_DEP_2)
	v_lshlrev_b32_e32 v27, 2, v8
	v_lshlrev_b32_e32 v1, 2, v7
	;; [unrolled: 1-line block ×3, first 2 shown]
	s_delay_alu instid0(VALU_DEP_3) | instskip(NEXT) | instid1(VALU_DEP_1)
	v_and_b32_e32 v11, 0x380, v27
	v_lshlrev_b32_e32 v2, 2, v11
	v_lshlrev_b32_e32 v16, 3, v11
	v_add_nc_u32_e32 v14, v7, v11
	s_waitcnt lgkmcnt(0)
	s_lshr_b32 s3, s2, 10
	s_delay_alu instid0(SALU_CYCLE_1) | instskip(SKIP_2) | instid1(SALU_CYCLE_1)
	s_cmp_lg_u32 s15, s3
	s_cselect_b32 s28, -1, 0
	s_lshl_b64 s[26:27], s[24:25], 2
	s_add_u32 s4, s16, s26
	s_addc_u32 s5, s17, s27
	v_add_co_u32 v1, s4, s4, v1
	s_delay_alu instid0(VALU_DEP_1) | instskip(SKIP_1) | instid1(VALU_DEP_2)
	v_add_co_ci_u32_e64 v3, null, s5, 0, s4
	s_cmp_eq_u32 s15, s3
	v_add_co_u32 v9, vcc_lo, v1, v2
	s_delay_alu instid0(VALU_DEP_2)
	v_add_co_ci_u32_e32 v10, vcc_lo, 0, v3, vcc_lo
	s_mov_b32 s3, -1
	s_cbranch_scc1 .LBB122_2
; %bb.1:
	s_lshl_b64 s[4:5], s[24:25], 3
	v_add_nc_u32_e32 v17, v7, v11
	s_add_u32 s3, s20, s4
	s_addc_u32 s4, s21, s5
	v_add_co_u32 v1, s3, s3, v15
	s_delay_alu instid0(VALU_DEP_1) | instskip(SKIP_1) | instid1(VALU_DEP_3)
	v_add_co_ci_u32_e64 v2, null, s4, 0, s3
	v_add_nc_u32_e32 v11, 32, v17
	v_add_co_u32 v12, vcc_lo, v1, v16
	s_delay_alu instid0(VALU_DEP_3)
	v_add_co_ci_u32_e32 v13, vcc_lo, 0, v2, vcc_lo
	s_clause 0x3
	global_load_b32 v1, v[9:10], off
	global_load_b32 v2, v[9:10], off offset:128
	global_load_b32 v3, v[9:10], off offset:256
	;; [unrolled: 1-line block ×3, first 2 shown]
	s_clause 0x3
	global_load_b64 v[5:6], v[12:13], off
	global_load_b64 v[21:22], v[12:13], off offset:256
	global_load_b64 v[23:24], v[12:13], off offset:512
	;; [unrolled: 1-line block ×3, first 2 shown]
	v_add_nc_u32_e32 v12, 64, v17
	v_add_nc_u32_e32 v13, 0x60, v17
	s_mov_b32 s3, s25
	s_delay_alu instid0(SALU_CYCLE_1)
	s_and_not1_b32 vcc_lo, exec_lo, s3
	s_sub_i32 s16, s2, s24
	s_cbranch_vccz .LBB122_3
	s_branch .LBB122_17
.LBB122_2:
                                        ; implicit-def: $vgpr1_vgpr2_vgpr3_vgpr4
                                        ; implicit-def: $vgpr5_vgpr6
                                        ; implicit-def: $vgpr21_vgpr22
                                        ; implicit-def: $vgpr23_vgpr24
                                        ; implicit-def: $vgpr25_vgpr26
                                        ; implicit-def: $vgpr17
                                        ; implicit-def: $vgpr11
                                        ; implicit-def: $vgpr12
                                        ; implicit-def: $vgpr13
	s_and_not1_b32 vcc_lo, exec_lo, s3
	s_sub_i32 s16, s2, s24
	s_cbranch_vccnz .LBB122_17
.LBB122_3:
	s_mov_b32 s4, -1
	v_cmp_gt_u32_e32 vcc_lo, s16, v14
	s_mov_b32 s5, s4
	s_mov_b32 s6, s4
	;; [unrolled: 1-line block ×3, first 2 shown]
	s_waitcnt vmcnt(4)
	v_dual_mov_b32 v1, s4 :: v_dual_mov_b32 v2, s5
	v_dual_mov_b32 v3, s6 :: v_dual_mov_b32 v4, s7
	s_and_saveexec_b32 s2, vcc_lo
	s_cbranch_execz .LBB122_5
; %bb.4:
	global_load_b32 v1, v[9:10], off
	v_mov_b32_e32 v2, -1
	s_delay_alu instid0(VALU_DEP_1)
	v_mov_b32_e32 v3, v2
	v_mov_b32_e32 v4, v2
.LBB122_5:
	s_or_b32 exec_lo, exec_lo, s2
	v_add_nc_u32_e32 v11, 32, v14
	s_delay_alu instid0(VALU_DEP_1) | instskip(NEXT) | instid1(VALU_DEP_1)
	v_cmp_gt_u32_e64 s2, s16, v11
	s_and_saveexec_b32 s3, s2
	s_cbranch_execz .LBB122_7
; %bb.6:
	global_load_b32 v2, v[9:10], off offset:128
.LBB122_7:
	s_or_b32 exec_lo, exec_lo, s3
	v_add_nc_u32_e32 v12, 64, v14
	s_delay_alu instid0(VALU_DEP_1) | instskip(NEXT) | instid1(VALU_DEP_1)
	v_cmp_gt_u32_e64 s3, s16, v12
	s_and_saveexec_b32 s4, s3
	s_cbranch_execz .LBB122_9
; %bb.8:
	global_load_b32 v3, v[9:10], off offset:256
.LBB122_9:
	;; [unrolled: 9-line block ×3, first 2 shown]
	s_or_b32 exec_lo, exec_lo, s5
	s_lshl_b64 s[6:7], s[24:25], 3
	s_delay_alu instid0(SALU_CYCLE_1) | instskip(SKIP_3) | instid1(VALU_DEP_1)
	s_add_u32 s5, s20, s6
	s_addc_u32 s6, s21, s7
	s_waitcnt vmcnt(3)
	v_add_co_u32 v5, s5, s5, v15
	v_add_co_ci_u32_e64 v6, null, s6, 0, s5
	s_delay_alu instid0(VALU_DEP_2) | instskip(NEXT) | instid1(VALU_DEP_1)
	v_add_co_u32 v9, s5, v5, v16
	v_add_co_ci_u32_e64 v10, s5, 0, v6, s5
                                        ; implicit-def: $vgpr5_vgpr6
	s_and_saveexec_b32 s5, vcc_lo
	s_cbranch_execnz .LBB122_54
; %bb.12:
	s_or_b32 exec_lo, exec_lo, s5
                                        ; implicit-def: $vgpr21_vgpr22
	s_and_saveexec_b32 s5, s2
	s_cbranch_execnz .LBB122_55
.LBB122_13:
	s_or_b32 exec_lo, exec_lo, s5
                                        ; implicit-def: $vgpr23_vgpr24
	s_and_saveexec_b32 s2, s3
	s_cbranch_execnz .LBB122_56
.LBB122_14:
	s_or_b32 exec_lo, exec_lo, s2
                                        ; implicit-def: $vgpr25_vgpr26
	s_and_saveexec_b32 s2, s4
	s_cbranch_execz .LBB122_16
.LBB122_15:
	global_load_b64 v[25:26], v[9:10], off offset:768
.LBB122_16:
	s_or_b32 exec_lo, exec_lo, s2
	v_mov_b32_e32 v17, v14
.LBB122_17:
	s_clause 0x1
	s_load_b32 s2, s[0:1], 0x3c
	s_load_b64 s[14:15], s[0:1], 0x28
	s_waitcnt vmcnt(0)
	v_cmp_gt_i32_e32 vcc_lo, 0, v1
	v_bfe_u32 v16, v0, 10, 10
	v_bfe_u32 v18, v0, 20, 10
	s_mov_b32 s20, 0
	v_lshlrev_b32_e32 v36, 2, v11
	v_cndmask_b32_e64 v9, 0x7fffffff, 0, vcc_lo
	v_cmp_gt_i32_e32 vcc_lo, 0, v2
	s_mov_b32 s30, s20
	s_mov_b32 s31, s20
	v_and_b32_e32 v30, 0x3e0, v8
	v_xor_b32_e32 v47, v9, v1
	v_cndmask_b32_e64 v10, 0x7fffffff, 0, vcc_lo
	v_cmp_gt_i32_e32 vcc_lo, 0, v3
	v_add_nc_u32_e32 v31, -1, v7
	v_lshlrev_b32_e32 v37, 2, v12
	v_dual_mov_b32 v11, s30 :: v_dual_mov_b32 v12, s31
	v_cndmask_b32_e64 v14, 0x7fffffff, 0, vcc_lo
	v_cmp_gt_i32_e32 vcc_lo, 0, v4
	s_waitcnt lgkmcnt(0)
	s_lshr_b32 s0, s2, 16
	v_xor_b32_e32 v0, v10, v2
	v_mad_u32_u24 v9, v18, s0, v16
	s_and_b32 s0, s2, 0xffff
	v_cndmask_b32_e64 v15, 0x7fffffff, 0, vcc_lo
	v_xor_b32_e32 v1, v14, v3
	v_cmp_gt_i32_e32 vcc_lo, 0, v31
	v_lshlrev_b32_e32 v28, 5, v8
	v_lshlrev_b32_e32 v35, 2, v17
	v_xor_b32_e32 v2, v15, v4
	v_mad_u64_u32 v[3:4], null, v9, s0, v[8:9]
	v_min_u32_e32 v4, 0xe0, v30
	v_lshlrev_b32_e32 v38, 2, v13
	s_mov_b32 s21, s20
	v_and_b32_e32 v19, 15, v7
	v_dual_mov_b32 v9, s20 :: v_dual_and_b32 v20, 16, v7
	v_or_b32_e32 v4, 31, v4
	v_lshrrev_b32_e32 v30, 5, v3
	v_cndmask_b32_e32 v3, v31, v7, vcc_lo
	v_add_nc_u32_e32 v29, 32, v28
	v_cmp_eq_u32_e64 s4, 0, v20
	v_cmp_eq_u32_e64 s5, v4, v8
	v_lshrrev_b32_e32 v4, 3, v8
	v_lshlrev_b32_e32 v32, 2, v3
	v_and_b32_e32 v3, 7, v7
	v_cmp_gt_u32_e64 s6, 8, v8
	v_cmp_lt_u32_e64 s7, 31, v8
	v_and_b32_e32 v33, 0x7c, v4
	v_cmp_eq_u32_e64 s8, 0, v7
	v_cmp_eq_u32_e64 s9, 0, v8
	v_mul_i32_i24_e32 v31, 0xffffffe4, v8
	v_cmp_eq_u32_e64 s10, 0, v3
	v_cmp_lt_u32_e64 s11, 1, v3
	v_cmp_lt_u32_e64 s12, 3, v3
	v_add_nc_u32_e32 v34, -4, v33
	v_mov_b32_e32 v10, s21
	v_cmp_eq_u32_e64 s0, 0, v19
	v_cmp_lt_u32_e64 s1, 1, v19
	v_cmp_lt_u32_e64 s2, 3, v19
	;; [unrolled: 1-line block ×3, first 2 shown]
	v_add_nc_u32_e32 v39, v35, v35
	v_add_nc_u32_e32 v40, v36, v36
	;; [unrolled: 1-line block ×4, first 2 shown]
	s_add_i32 s17, s15, s14
	s_branch .LBB122_19
.LBB122_18:                             ;   in Loop: Header=BB122_19 Depth=1
	v_lshl_add_u32 v5, v48, 2, v52
	v_lshl_add_u32 v6, v7, 2, v51
	;; [unrolled: 1-line block ×4, first 2 shown]
	s_barrier
	buffer_gl0_inv
	ds_store_b32 v52, v43
	ds_store_b32 v51, v46
	;; [unrolled: 1-line block ×4, first 2 shown]
	s_waitcnt lgkmcnt(0)
	s_barrier
	buffer_gl0_inv
	ds_load_b32 v47, v35
	ds_load_b32 v0, v36
	;; [unrolled: 1-line block ×4, first 2 shown]
	s_waitcnt lgkmcnt(0)
	s_barrier
	buffer_gl0_inv
	ds_store_b64 v5, v[19:20]
	ds_store_b64 v6, v[17:18]
	;; [unrolled: 1-line block ×4, first 2 shown]
	s_waitcnt lgkmcnt(0)
	s_barrier
	buffer_gl0_inv
	ds_load_b64 v[5:6], v39
	ds_load_b64 v[21:22], v40
	;; [unrolled: 1-line block ×4, first 2 shown]
	s_add_i32 s15, s15, -8
	s_waitcnt lgkmcnt(0)
	s_barrier
	buffer_gl0_inv
	s_cbranch_execz .LBB122_35
.LBB122_19:                             ; =>This Inner Loop Header: Depth=1
	v_mov_b32_e32 v43, v47
	s_min_u32 s13, s15, 8
	ds_store_2addr_b64 v28, v[9:10], v[11:12] offset0:4 offset1:5
	ds_store_2addr_b64 v29, v[9:10], v[11:12] offset0:2 offset1:3
	s_lshl_b32 s13, -1, s13
	s_waitcnt lgkmcnt(0)
	v_cmp_ne_u32_e32 vcc_lo, 0x80000000, v43
	s_not_b32 s20, s13
	s_barrier
	buffer_gl0_inv
	v_cndmask_b32_e32 v3, 0x7fffffff, v43, vcc_lo
	; wave barrier
	v_mov_b32_e32 v44, v2
	v_dual_mov_b32 v46, v0 :: v_dual_mov_b32 v45, v1
	s_delay_alu instid0(VALU_DEP_3) | instskip(NEXT) | instid1(VALU_DEP_1)
	v_lshrrev_b32_e32 v3, s14, v3
	v_and_b32_e32 v3, s20, v3
	s_delay_alu instid0(VALU_DEP_1)
	v_and_b32_e32 v4, 1, v3
	v_lshlrev_b32_e32 v7, 30, v3
	v_lshlrev_b32_e32 v13, 29, v3
	;; [unrolled: 1-line block ×4, first 2 shown]
	v_add_co_u32 v4, s13, v4, -1
	s_delay_alu instid0(VALU_DEP_1)
	v_cndmask_b32_e64 v15, 0, 1, s13
	v_not_b32_e32 v19, v7
	v_cmp_gt_i32_e64 s13, 0, v7
	v_lshlrev_b32_e32 v17, 26, v3
	v_lshlrev_b32_e32 v18, 25, v3
	v_cmp_ne_u32_e32 vcc_lo, 0, v15
	v_ashrrev_i32_e32 v19, 31, v19
	v_lshlrev_b32_e32 v15, 24, v3
	v_lshl_add_u32 v1, v3, 3, v30
	v_xor_b32_e32 v4, vcc_lo, v4
	s_delay_alu instid0(VALU_DEP_4) | instskip(SKIP_1) | instid1(VALU_DEP_3)
	v_xor_b32_e32 v19, s13, v19
	v_cmp_gt_i32_e64 s13, 0, v14
	v_and_b32_e32 v4, exec_lo, v4
	s_delay_alu instid0(VALU_DEP_1)
	v_and_b32_e32 v4, v4, v19
	v_mov_b32_e32 v20, v6
	v_not_b32_e32 v7, v13
	v_cmp_gt_i32_e32 vcc_lo, 0, v13
	v_not_b32_e32 v13, v14
	v_mov_b32_e32 v19, v5
	v_not_b32_e32 v14, v16
	v_ashrrev_i32_e32 v7, 31, v7
	s_delay_alu instid0(VALU_DEP_4) | instskip(NEXT) | instid1(VALU_DEP_3)
	v_ashrrev_i32_e32 v13, 31, v13
	v_ashrrev_i32_e32 v14, 31, v14
	s_delay_alu instid0(VALU_DEP_3)
	v_xor_b32_e32 v7, vcc_lo, v7
	v_cmp_gt_i32_e32 vcc_lo, 0, v16
	v_not_b32_e32 v16, v17
	v_xor_b32_e32 v13, s13, v13
	v_cmp_gt_i32_e64 s13, 0, v17
	v_and_b32_e32 v4, v4, v7
	v_xor_b32_e32 v14, vcc_lo, v14
	v_ashrrev_i32_e32 v16, 31, v16
	s_delay_alu instid0(VALU_DEP_3) | instskip(SKIP_1) | instid1(VALU_DEP_3)
	v_and_b32_e32 v4, v4, v13
	v_not_b32_e32 v13, v15
	v_xor_b32_e32 v16, s13, v16
	v_cmp_gt_i32_e64 s13, 0, v15
	s_delay_alu instid0(VALU_DEP_4) | instskip(NEXT) | instid1(VALU_DEP_4)
	v_and_b32_e32 v4, v4, v14
	v_ashrrev_i32_e32 v13, 31, v13
	s_delay_alu instid0(VALU_DEP_2) | instskip(SKIP_2) | instid1(VALU_DEP_4)
	v_dual_mov_b32 v15, v23 :: v_dual_and_b32 v4, v4, v16
	v_not_b32_e32 v7, v18
	v_cmp_gt_i32_e32 vcc_lo, 0, v18
	v_xor_b32_e32 v13, s13, v13
	v_dual_mov_b32 v17, v21 :: v_dual_mov_b32 v18, v22
	s_delay_alu instid0(VALU_DEP_4) | instskip(SKIP_2) | instid1(VALU_DEP_3)
	v_ashrrev_i32_e32 v7, 31, v7
	v_mov_b32_e32 v16, v24
	v_lshl_add_u32 v22, v1, 2, 32
	v_xor_b32_e32 v7, vcc_lo, v7
	s_delay_alu instid0(VALU_DEP_1) | instskip(NEXT) | instid1(VALU_DEP_1)
	v_and_b32_e32 v4, v4, v7
	v_dual_mov_b32 v13, v25 :: v_dual_and_b32 v0, v4, v13
	v_mov_b32_e32 v14, v26
	s_delay_alu instid0(VALU_DEP_2) | instskip(SKIP_1) | instid1(VALU_DEP_2)
	v_mbcnt_lo_u32_b32 v21, v0, 0
	v_cmp_ne_u32_e64 s13, 0, v0
	v_cmp_eq_u32_e32 vcc_lo, 0, v21
	s_delay_alu instid0(VALU_DEP_2) | instskip(NEXT) | instid1(SALU_CYCLE_1)
	s_and_b32 s21, s13, vcc_lo
	s_and_saveexec_b32 s13, s21
	s_cbranch_execz .LBB122_21
; %bb.20:                               ;   in Loop: Header=BB122_19 Depth=1
	v_bcnt_u32_b32 v0, v0, 0
	ds_store_b32 v22, v0
.LBB122_21:                             ;   in Loop: Header=BB122_19 Depth=1
	s_or_b32 exec_lo, exec_lo, s13
	v_cmp_ne_u32_e32 vcc_lo, 0x80000000, v46
	; wave barrier
	v_cndmask_b32_e32 v0, 0x7fffffff, v46, vcc_lo
	s_delay_alu instid0(VALU_DEP_1) | instskip(NEXT) | instid1(VALU_DEP_1)
	v_lshrrev_b32_e32 v0, s14, v0
	v_and_b32_e32 v0, s20, v0
	s_delay_alu instid0(VALU_DEP_1)
	v_and_b32_e32 v1, 1, v0
	v_lshlrev_b32_e32 v2, 30, v0
	v_lshlrev_b32_e32 v3, 29, v0
	;; [unrolled: 1-line block ×4, first 2 shown]
	v_add_co_u32 v1, s13, v1, -1
	s_delay_alu instid0(VALU_DEP_1)
	v_cndmask_b32_e64 v5, 0, 1, s13
	v_not_b32_e32 v24, v2
	v_cmp_gt_i32_e64 s13, 0, v2
	v_not_b32_e32 v2, v3
	v_lshlrev_b32_e32 v7, 26, v0
	v_cmp_ne_u32_e32 vcc_lo, 0, v5
	v_ashrrev_i32_e32 v24, 31, v24
	v_lshlrev_b32_e32 v23, 25, v0
	v_ashrrev_i32_e32 v2, 31, v2
	v_lshlrev_b32_e32 v5, 24, v0
	v_xor_b32_e32 v1, vcc_lo, v1
	v_cmp_gt_i32_e32 vcc_lo, 0, v3
	v_not_b32_e32 v3, v4
	v_xor_b32_e32 v24, s13, v24
	v_cmp_gt_i32_e64 s13, 0, v4
	v_and_b32_e32 v1, exec_lo, v1
	v_not_b32_e32 v4, v6
	v_ashrrev_i32_e32 v3, 31, v3
	v_xor_b32_e32 v2, vcc_lo, v2
	v_cmp_gt_i32_e32 vcc_lo, 0, v6
	v_and_b32_e32 v1, v1, v24
	v_not_b32_e32 v6, v7
	v_ashrrev_i32_e32 v4, 31, v4
	v_xor_b32_e32 v3, s13, v3
	v_cmp_gt_i32_e64 s13, 0, v7
	v_and_b32_e32 v1, v1, v2
	v_not_b32_e32 v2, v23
	v_ashrrev_i32_e32 v6, 31, v6
	v_xor_b32_e32 v4, vcc_lo, v4
	v_cmp_gt_i32_e32 vcc_lo, 0, v23
	v_and_b32_e32 v1, v1, v3
	v_not_b32_e32 v3, v5
	v_ashrrev_i32_e32 v2, 31, v2
	v_xor_b32_e32 v6, s13, v6
	v_lshlrev_b32_e32 v0, 3, v0
	v_and_b32_e32 v1, v1, v4
	v_cmp_gt_i32_e64 s13, 0, v5
	v_ashrrev_i32_e32 v3, 31, v3
	v_xor_b32_e32 v2, vcc_lo, v2
	v_add_lshl_u32 v4, v0, v30, 2
	v_and_b32_e32 v1, v1, v6
	s_delay_alu instid0(VALU_DEP_4) | instskip(SKIP_3) | instid1(VALU_DEP_2)
	v_xor_b32_e32 v0, s13, v3
	ds_load_b32 v23, v4 offset:32
	v_and_b32_e32 v1, v1, v2
	v_add_nc_u32_e32 v25, 32, v4
	; wave barrier
	v_and_b32_e32 v0, v1, v0
	s_delay_alu instid0(VALU_DEP_1) | instskip(SKIP_1) | instid1(VALU_DEP_2)
	v_mbcnt_lo_u32_b32 v24, v0, 0
	v_cmp_ne_u32_e64 s13, 0, v0
	v_cmp_eq_u32_e32 vcc_lo, 0, v24
	s_delay_alu instid0(VALU_DEP_2) | instskip(NEXT) | instid1(SALU_CYCLE_1)
	s_and_b32 s21, s13, vcc_lo
	s_and_saveexec_b32 s13, s21
	s_cbranch_execz .LBB122_23
; %bb.22:                               ;   in Loop: Header=BB122_19 Depth=1
	s_waitcnt lgkmcnt(0)
	v_bcnt_u32_b32 v0, v0, v23
	ds_store_b32 v25, v0
.LBB122_23:                             ;   in Loop: Header=BB122_19 Depth=1
	s_or_b32 exec_lo, exec_lo, s13
	v_cmp_ne_u32_e32 vcc_lo, 0x80000000, v45
	; wave barrier
	v_cndmask_b32_e32 v0, 0x7fffffff, v45, vcc_lo
	s_delay_alu instid0(VALU_DEP_1) | instskip(NEXT) | instid1(VALU_DEP_1)
	v_lshrrev_b32_e32 v0, s14, v0
	v_and_b32_e32 v0, s20, v0
	s_delay_alu instid0(VALU_DEP_1)
	v_and_b32_e32 v1, 1, v0
	v_lshlrev_b32_e32 v2, 30, v0
	v_lshlrev_b32_e32 v3, 29, v0
	;; [unrolled: 1-line block ×4, first 2 shown]
	v_add_co_u32 v1, s13, v1, -1
	s_delay_alu instid0(VALU_DEP_1)
	v_cndmask_b32_e64 v5, 0, 1, s13
	v_not_b32_e32 v47, v2
	v_cmp_gt_i32_e64 s13, 0, v2
	v_not_b32_e32 v2, v3
	v_lshlrev_b32_e32 v7, 26, v0
	v_cmp_ne_u32_e32 vcc_lo, 0, v5
	v_ashrrev_i32_e32 v47, 31, v47
	v_lshlrev_b32_e32 v26, 25, v0
	v_ashrrev_i32_e32 v2, 31, v2
	v_lshlrev_b32_e32 v5, 24, v0
	v_xor_b32_e32 v1, vcc_lo, v1
	v_cmp_gt_i32_e32 vcc_lo, 0, v3
	v_not_b32_e32 v3, v4
	v_xor_b32_e32 v47, s13, v47
	v_cmp_gt_i32_e64 s13, 0, v4
	v_and_b32_e32 v1, exec_lo, v1
	v_not_b32_e32 v4, v6
	v_ashrrev_i32_e32 v3, 31, v3
	v_xor_b32_e32 v2, vcc_lo, v2
	v_cmp_gt_i32_e32 vcc_lo, 0, v6
	v_and_b32_e32 v1, v1, v47
	v_not_b32_e32 v6, v7
	v_ashrrev_i32_e32 v4, 31, v4
	v_xor_b32_e32 v3, s13, v3
	v_cmp_gt_i32_e64 s13, 0, v7
	v_and_b32_e32 v1, v1, v2
	v_not_b32_e32 v2, v26
	v_ashrrev_i32_e32 v6, 31, v6
	v_xor_b32_e32 v4, vcc_lo, v4
	v_cmp_gt_i32_e32 vcc_lo, 0, v26
	v_and_b32_e32 v1, v1, v3
	v_not_b32_e32 v3, v5
	v_ashrrev_i32_e32 v2, 31, v2
	v_xor_b32_e32 v6, s13, v6
	v_lshlrev_b32_e32 v0, 3, v0
	v_and_b32_e32 v1, v1, v4
	v_cmp_gt_i32_e64 s13, 0, v5
	v_ashrrev_i32_e32 v3, 31, v3
	v_xor_b32_e32 v2, vcc_lo, v2
	v_add_lshl_u32 v4, v0, v30, 2
	v_and_b32_e32 v1, v1, v6
	s_delay_alu instid0(VALU_DEP_4) | instskip(SKIP_3) | instid1(VALU_DEP_2)
	v_xor_b32_e32 v0, s13, v3
	ds_load_b32 v26, v4 offset:32
	v_and_b32_e32 v1, v1, v2
	v_add_nc_u32_e32 v48, 32, v4
	; wave barrier
	v_and_b32_e32 v0, v1, v0
	s_delay_alu instid0(VALU_DEP_1) | instskip(SKIP_1) | instid1(VALU_DEP_2)
	v_mbcnt_lo_u32_b32 v47, v0, 0
	v_cmp_ne_u32_e64 s13, 0, v0
	v_cmp_eq_u32_e32 vcc_lo, 0, v47
	s_delay_alu instid0(VALU_DEP_2) | instskip(NEXT) | instid1(SALU_CYCLE_1)
	s_and_b32 s21, s13, vcc_lo
	s_and_saveexec_b32 s13, s21
	s_cbranch_execz .LBB122_25
; %bb.24:                               ;   in Loop: Header=BB122_19 Depth=1
	s_waitcnt lgkmcnt(0)
	v_bcnt_u32_b32 v0, v0, v26
	ds_store_b32 v48, v0
.LBB122_25:                             ;   in Loop: Header=BB122_19 Depth=1
	s_or_b32 exec_lo, exec_lo, s13
	v_cmp_ne_u32_e32 vcc_lo, 0x80000000, v44
	; wave barrier
	v_cndmask_b32_e32 v0, 0x7fffffff, v44, vcc_lo
	s_delay_alu instid0(VALU_DEP_1) | instskip(NEXT) | instid1(VALU_DEP_1)
	v_lshrrev_b32_e32 v0, s14, v0
	v_and_b32_e32 v0, s20, v0
	s_delay_alu instid0(VALU_DEP_1)
	v_and_b32_e32 v1, 1, v0
	v_lshlrev_b32_e32 v2, 30, v0
	v_lshlrev_b32_e32 v3, 29, v0
	;; [unrolled: 1-line block ×4, first 2 shown]
	v_add_co_u32 v1, s13, v1, -1
	s_delay_alu instid0(VALU_DEP_1)
	v_cndmask_b32_e64 v5, 0, 1, s13
	v_not_b32_e32 v50, v2
	v_cmp_gt_i32_e64 s13, 0, v2
	v_not_b32_e32 v2, v3
	v_lshlrev_b32_e32 v7, 26, v0
	v_cmp_ne_u32_e32 vcc_lo, 0, v5
	v_ashrrev_i32_e32 v50, 31, v50
	v_lshlrev_b32_e32 v49, 25, v0
	v_ashrrev_i32_e32 v2, 31, v2
	v_lshlrev_b32_e32 v5, 24, v0
	v_xor_b32_e32 v1, vcc_lo, v1
	v_cmp_gt_i32_e32 vcc_lo, 0, v3
	v_not_b32_e32 v3, v4
	v_xor_b32_e32 v50, s13, v50
	v_cmp_gt_i32_e64 s13, 0, v4
	v_and_b32_e32 v1, exec_lo, v1
	v_not_b32_e32 v4, v6
	v_ashrrev_i32_e32 v3, 31, v3
	v_xor_b32_e32 v2, vcc_lo, v2
	v_cmp_gt_i32_e32 vcc_lo, 0, v6
	v_and_b32_e32 v1, v1, v50
	v_not_b32_e32 v6, v7
	v_ashrrev_i32_e32 v4, 31, v4
	v_xor_b32_e32 v3, s13, v3
	v_cmp_gt_i32_e64 s13, 0, v7
	v_and_b32_e32 v1, v1, v2
	v_not_b32_e32 v2, v49
	v_ashrrev_i32_e32 v6, 31, v6
	v_xor_b32_e32 v4, vcc_lo, v4
	v_cmp_gt_i32_e32 vcc_lo, 0, v49
	v_and_b32_e32 v1, v1, v3
	v_not_b32_e32 v3, v5
	v_ashrrev_i32_e32 v2, 31, v2
	v_xor_b32_e32 v6, s13, v6
	v_lshlrev_b32_e32 v0, 3, v0
	v_and_b32_e32 v1, v1, v4
	v_cmp_gt_i32_e64 s13, 0, v5
	v_ashrrev_i32_e32 v3, 31, v3
	v_xor_b32_e32 v2, vcc_lo, v2
	v_add_lshl_u32 v4, v0, v30, 2
	v_and_b32_e32 v1, v1, v6
	s_delay_alu instid0(VALU_DEP_4) | instskip(SKIP_3) | instid1(VALU_DEP_2)
	v_xor_b32_e32 v0, s13, v3
	ds_load_b32 v49, v4 offset:32
	v_and_b32_e32 v1, v1, v2
	v_add_nc_u32_e32 v51, 32, v4
	; wave barrier
	v_and_b32_e32 v0, v1, v0
	s_delay_alu instid0(VALU_DEP_1) | instskip(SKIP_1) | instid1(VALU_DEP_2)
	v_mbcnt_lo_u32_b32 v50, v0, 0
	v_cmp_ne_u32_e64 s13, 0, v0
	v_cmp_eq_u32_e32 vcc_lo, 0, v50
	s_delay_alu instid0(VALU_DEP_2) | instskip(NEXT) | instid1(SALU_CYCLE_1)
	s_and_b32 s20, s13, vcc_lo
	s_and_saveexec_b32 s13, s20
	s_cbranch_execz .LBB122_27
; %bb.26:                               ;   in Loop: Header=BB122_19 Depth=1
	s_waitcnt lgkmcnt(0)
	v_bcnt_u32_b32 v0, v0, v49
	ds_store_b32 v51, v0
.LBB122_27:                             ;   in Loop: Header=BB122_19 Depth=1
	s_or_b32 exec_lo, exec_lo, s13
	; wave barrier
	s_waitcnt lgkmcnt(0)
	s_barrier
	buffer_gl0_inv
	ds_load_2addr_b64 v[4:7], v28 offset0:4 offset1:5
	ds_load_2addr_b64 v[0:3], v29 offset0:2 offset1:3
	s_waitcnt lgkmcnt(1)
	v_add_nc_u32_e32 v52, v5, v4
	s_delay_alu instid0(VALU_DEP_1) | instskip(SKIP_1) | instid1(VALU_DEP_1)
	v_add3_u32 v52, v52, v6, v7
	s_waitcnt lgkmcnt(0)
	v_add3_u32 v52, v52, v0, v1
	s_delay_alu instid0(VALU_DEP_1) | instskip(NEXT) | instid1(VALU_DEP_1)
	v_add3_u32 v3, v52, v2, v3
	v_mov_b32_dpp v52, v3 row_shr:1 row_mask:0xf bank_mask:0xf
	s_delay_alu instid0(VALU_DEP_1) | instskip(NEXT) | instid1(VALU_DEP_1)
	v_cndmask_b32_e64 v52, v52, 0, s0
	v_add_nc_u32_e32 v3, v52, v3
	s_delay_alu instid0(VALU_DEP_1) | instskip(NEXT) | instid1(VALU_DEP_1)
	v_mov_b32_dpp v52, v3 row_shr:2 row_mask:0xf bank_mask:0xf
	v_cndmask_b32_e64 v52, 0, v52, s1
	s_delay_alu instid0(VALU_DEP_1) | instskip(NEXT) | instid1(VALU_DEP_1)
	v_add_nc_u32_e32 v3, v3, v52
	v_mov_b32_dpp v52, v3 row_shr:4 row_mask:0xf bank_mask:0xf
	s_delay_alu instid0(VALU_DEP_1) | instskip(NEXT) | instid1(VALU_DEP_1)
	v_cndmask_b32_e64 v52, 0, v52, s2
	v_add_nc_u32_e32 v3, v3, v52
	s_delay_alu instid0(VALU_DEP_1) | instskip(NEXT) | instid1(VALU_DEP_1)
	v_mov_b32_dpp v52, v3 row_shr:8 row_mask:0xf bank_mask:0xf
	v_cndmask_b32_e64 v52, 0, v52, s3
	s_delay_alu instid0(VALU_DEP_1) | instskip(SKIP_3) | instid1(VALU_DEP_1)
	v_add_nc_u32_e32 v3, v3, v52
	ds_swizzle_b32 v52, v3 offset:swizzle(BROADCAST,32,15)
	s_waitcnt lgkmcnt(0)
	v_cndmask_b32_e64 v52, v52, 0, s4
	v_add_nc_u32_e32 v3, v3, v52
	s_and_saveexec_b32 s13, s5
	s_cbranch_execz .LBB122_29
; %bb.28:                               ;   in Loop: Header=BB122_19 Depth=1
	ds_store_b32 v33, v3
.LBB122_29:                             ;   in Loop: Header=BB122_19 Depth=1
	s_or_b32 exec_lo, exec_lo, s13
	s_waitcnt lgkmcnt(0)
	s_barrier
	buffer_gl0_inv
	s_and_saveexec_b32 s13, s6
	s_cbranch_execz .LBB122_31
; %bb.30:                               ;   in Loop: Header=BB122_19 Depth=1
	v_add_nc_u32_e32 v52, v28, v31
	ds_load_b32 v53, v52
	s_waitcnt lgkmcnt(0)
	v_mov_b32_dpp v54, v53 row_shr:1 row_mask:0xf bank_mask:0xf
	s_delay_alu instid0(VALU_DEP_1) | instskip(NEXT) | instid1(VALU_DEP_1)
	v_cndmask_b32_e64 v54, v54, 0, s10
	v_add_nc_u32_e32 v53, v54, v53
	s_delay_alu instid0(VALU_DEP_1) | instskip(NEXT) | instid1(VALU_DEP_1)
	v_mov_b32_dpp v54, v53 row_shr:2 row_mask:0xf bank_mask:0xf
	v_cndmask_b32_e64 v54, 0, v54, s11
	s_delay_alu instid0(VALU_DEP_1) | instskip(NEXT) | instid1(VALU_DEP_1)
	v_add_nc_u32_e32 v53, v53, v54
	v_mov_b32_dpp v54, v53 row_shr:4 row_mask:0xf bank_mask:0xf
	s_delay_alu instid0(VALU_DEP_1) | instskip(NEXT) | instid1(VALU_DEP_1)
	v_cndmask_b32_e64 v54, 0, v54, s12
	v_add_nc_u32_e32 v53, v53, v54
	ds_store_b32 v52, v53
.LBB122_31:                             ;   in Loop: Header=BB122_19 Depth=1
	s_or_b32 exec_lo, exec_lo, s13
	v_mov_b32_e32 v52, 0
	s_waitcnt lgkmcnt(0)
	s_barrier
	buffer_gl0_inv
	s_and_saveexec_b32 s13, s7
	s_cbranch_execz .LBB122_33
; %bb.32:                               ;   in Loop: Header=BB122_19 Depth=1
	ds_load_b32 v52, v34
.LBB122_33:                             ;   in Loop: Header=BB122_19 Depth=1
	s_or_b32 exec_lo, exec_lo, s13
	s_waitcnt lgkmcnt(0)
	v_add_nc_u32_e32 v3, v52, v3
	s_add_i32 s14, s14, 8
	s_delay_alu instid0(SALU_CYCLE_1) | instskip(SKIP_3) | instid1(VALU_DEP_1)
	s_cmp_ge_u32 s14, s17
	ds_bpermute_b32 v3, v32, v3
	s_waitcnt lgkmcnt(0)
	v_cndmask_b32_e64 v3, v3, v52, s8
	v_cndmask_b32_e64 v3, v3, 0, s9
	s_delay_alu instid0(VALU_DEP_1) | instskip(NEXT) | instid1(VALU_DEP_1)
	v_add_nc_u32_e32 v4, v3, v4
	v_add_nc_u32_e32 v5, v4, v5
	s_delay_alu instid0(VALU_DEP_1) | instskip(NEXT) | instid1(VALU_DEP_1)
	v_add_nc_u32_e32 v6, v5, v6
	v_add_nc_u32_e32 v52, v6, v7
	;; [unrolled: 3-line block ×3, first 2 shown]
	s_delay_alu instid0(VALU_DEP_1)
	v_add_nc_u32_e32 v1, v0, v2
	ds_store_2addr_b64 v28, v[3:4], v[5:6] offset0:4 offset1:5
	ds_store_2addr_b64 v29, v[52:53], v[0:1] offset0:2 offset1:3
	s_waitcnt lgkmcnt(0)
	s_barrier
	buffer_gl0_inv
	ds_load_b32 v0, v22
	ds_load_b32 v1, v25
	;; [unrolled: 1-line block ×4, first 2 shown]
	s_waitcnt lgkmcnt(0)
	v_add_nc_u32_e32 v48, v0, v21
	v_add3_u32 v7, v24, v23, v1
	v_add3_u32 v4, v47, v26, v2
	v_add3_u32 v3, v50, v49, v3
	s_delay_alu instid0(VALU_DEP_4) | instskip(NEXT) | instid1(VALU_DEP_4)
	v_lshlrev_b32_e32 v52, 2, v48
	v_lshlrev_b32_e32 v51, 2, v7
	s_delay_alu instid0(VALU_DEP_4) | instskip(NEXT) | instid1(VALU_DEP_4)
	v_lshlrev_b32_e32 v50, 2, v4
	v_lshlrev_b32_e32 v49, 2, v3
	s_cbranch_scc0 .LBB122_18
; %bb.34:
                                        ; implicit-def: $vgpr2
                                        ; implicit-def: $vgpr1
                                        ; implicit-def: $vgpr0
                                        ; implicit-def: $vgpr47
                                        ; implicit-def: $sgpr14
                                        ; implicit-def: $vgpr5_vgpr6
                                        ; implicit-def: $vgpr21_vgpr22
                                        ; implicit-def: $vgpr23_vgpr24
                                        ; implicit-def: $vgpr25_vgpr26
.LBB122_35:
	v_add_nc_u32_e32 v0, v28, v31
	s_barrier
	buffer_gl0_inv
	ds_store_b32 v52, v43
	ds_store_b32 v51, v46
	;; [unrolled: 1-line block ×4, first 2 shown]
	s_waitcnt lgkmcnt(0)
	s_barrier
	buffer_gl0_inv
	ds_load_b32 v11, v0
	ds_load_2addr_stride64_b32 v[9:10], v27 offset0:4 offset1:8
	ds_load_b32 v12, v27 offset:3072
	v_lshl_add_u32 v0, v48, 2, v52
	v_lshl_add_u32 v3, v3, 2, v49
	;; [unrolled: 1-line block ×4, first 2 shown]
	s_waitcnt lgkmcnt(0)
	s_barrier
	buffer_gl0_inv
	ds_store_b64 v0, v[19:20]
	ds_store_b64 v1, v[17:18]
	;; [unrolled: 1-line block ×3, first 2 shown]
	v_add_nc_u32_e32 v0, v27, v27
	ds_store_b64 v3, v[13:14]
	s_waitcnt lgkmcnt(0)
	s_barrier
	buffer_gl0_inv
	ds_load_2addr_stride64_b64 v[4:7], v0 offset1:4
	ds_load_2addr_stride64_b64 v[0:3], v0 offset0:8 offset1:12
	s_add_u32 s0, s18, s26
	s_addc_u32 s1, s19, s27
	s_mov_b32 s2, 0
	v_cmp_gt_i32_e32 vcc_lo, 0, v11
	v_cndmask_b32_e64 v13, 0x7fffffff, 0, vcc_lo
	v_cmp_gt_i32_e32 vcc_lo, 0, v9
	s_delay_alu instid0(VALU_DEP_2) | instskip(SKIP_3) | instid1(VALU_DEP_3)
	v_xor_b32_e32 v15, v13, v11
	v_cndmask_b32_e64 v14, 0x7fffffff, 0, vcc_lo
	v_cmp_gt_i32_e32 vcc_lo, 0, v10
	v_lshlrev_b32_e32 v11, 3, v8
	v_xor_b32_e32 v14, v14, v9
	v_cndmask_b32_e64 v16, 0x7fffffff, 0, vcc_lo
	v_cmp_gt_i32_e32 vcc_lo, 0, v12
	v_add_co_u32 v9, s0, s0, v27
	s_delay_alu instid0(VALU_DEP_3) | instskip(SKIP_4) | instid1(VALU_DEP_2)
	v_xor_b32_e32 v13, v16, v10
	v_cndmask_b32_e64 v17, 0x7fffffff, 0, vcc_lo
	v_add_co_ci_u32_e64 v10, null, s1, 0, s0
	s_and_not1_b32 vcc_lo, exec_lo, s28
	s_mov_b32 s0, -1
	v_xor_b32_e32 v12, v17, v12
	s_cbranch_vccz .LBB122_39
; %bb.36:
	s_and_not1_b32 vcc_lo, exec_lo, s0
	s_cbranch_vccz .LBB122_40
.LBB122_37:
	s_and_saveexec_b32 s0, s2
	s_cbranch_execnz .LBB122_53
.LBB122_38:
	s_nop 0
	s_sendmsg sendmsg(MSG_DEALLOC_VGPRS)
	s_endpgm
.LBB122_39:
	s_lshl_b64 s[0:1], s[24:25], 3
	s_mov_b32 s2, -1
	s_add_u32 s4, s22, s0
	s_addc_u32 s5, s23, s1
	v_add_co_u32 v16, s0, s4, v11
	s_delay_alu instid0(VALU_DEP_1) | instskip(NEXT) | instid1(VALU_DEP_2)
	v_add_co_ci_u32_e64 v17, null, s5, 0, s0
	v_add_co_u32 v16, vcc_lo, 0x1000, v16
	s_delay_alu instid0(VALU_DEP_2)
	v_add_co_ci_u32_e32 v17, vcc_lo, 0, v17, vcc_lo
	s_clause 0x3
	global_store_b32 v[9:10], v15, off
	global_store_b32 v[9:10], v14, off offset:1024
	global_store_b32 v[9:10], v13, off offset:2048
	;; [unrolled: 1-line block ×3, first 2 shown]
	s_waitcnt lgkmcnt(1)
	s_clause 0x1
	global_store_b64 v11, v[6:7], s[4:5] offset:2048
	global_store_b64 v11, v[4:5], s[4:5]
	s_waitcnt lgkmcnt(0)
	global_store_b64 v[16:17], v[0:1], off
	s_cbranch_execnz .LBB122_37
.LBB122_40:
	v_cmp_gt_u32_e32 vcc_lo, s16, v8
	s_and_saveexec_b32 s0, vcc_lo
	s_cbranch_execz .LBB122_42
; %bb.41:
	global_store_b32 v[9:10], v15, off
.LBB122_42:
	s_or_b32 exec_lo, exec_lo, s0
	v_add_nc_u32_e32 v15, 0x100, v8
	s_delay_alu instid0(VALU_DEP_1) | instskip(NEXT) | instid1(VALU_DEP_1)
	v_cmp_gt_u32_e64 s0, s16, v15
	s_and_saveexec_b32 s1, s0
	s_cbranch_execz .LBB122_44
; %bb.43:
	global_store_b32 v[9:10], v14, off offset:1024
.LBB122_44:
	s_or_b32 exec_lo, exec_lo, s1
	v_add_nc_u32_e32 v14, 0x200, v8
	s_delay_alu instid0(VALU_DEP_1) | instskip(NEXT) | instid1(VALU_DEP_1)
	v_cmp_gt_u32_e64 s1, s16, v14
	s_and_saveexec_b32 s2, s1
	s_cbranch_execz .LBB122_46
; %bb.45:
	global_store_b32 v[9:10], v13, off offset:2048
.LBB122_46:
	;; [unrolled: 9-line block ×3, first 2 shown]
	s_or_b32 exec_lo, exec_lo, s3
	s_lshl_b64 s[4:5], s[24:25], 3
	s_delay_alu instid0(SALU_CYCLE_1) | instskip(SKIP_2) | instid1(VALU_DEP_1)
	s_add_u32 s3, s22, s4
	s_addc_u32 s4, s23, s5
	v_add_co_u32 v8, s3, s3, v11
	v_add_co_ci_u32_e64 v9, null, s4, 0, s3
	s_and_saveexec_b32 s3, vcc_lo
	s_cbranch_execnz .LBB122_57
; %bb.49:
	s_or_b32 exec_lo, exec_lo, s3
	s_and_saveexec_b32 s3, s0
	s_cbranch_execnz .LBB122_58
.LBB122_50:
	s_or_b32 exec_lo, exec_lo, s3
	s_and_saveexec_b32 s0, s1
	s_cbranch_execz .LBB122_52
.LBB122_51:
	s_waitcnt lgkmcnt(1)
	v_add_co_u32 v4, vcc_lo, 0x1000, v8
	v_add_co_ci_u32_e32 v5, vcc_lo, 0, v9, vcc_lo
	s_waitcnt lgkmcnt(0)
	global_store_b64 v[4:5], v[0:1], off
.LBB122_52:
	s_or_b32 exec_lo, exec_lo, s0
	s_and_saveexec_b32 s0, s2
	s_cbranch_execz .LBB122_38
.LBB122_53:
	s_lshl_b64 s[0:1], s[24:25], 3
	s_delay_alu instid0(SALU_CYCLE_1) | instskip(SKIP_3) | instid1(VALU_DEP_1)
	s_add_u32 s0, s22, s0
	s_addc_u32 s1, s23, s1
	s_waitcnt lgkmcnt(0)
	v_add_co_u32 v0, s0, s0, v11
	v_add_co_ci_u32_e64 v1, null, s1, 0, s0
	s_delay_alu instid0(VALU_DEP_2) | instskip(NEXT) | instid1(VALU_DEP_2)
	v_add_co_u32 v0, vcc_lo, 0x1000, v0
	v_add_co_ci_u32_e32 v1, vcc_lo, 0, v1, vcc_lo
	global_store_b64 v[0:1], v[2:3], off offset:2048
	s_nop 0
	s_sendmsg sendmsg(MSG_DEALLOC_VGPRS)
	s_endpgm
.LBB122_54:
	global_load_b64 v[5:6], v[9:10], off
	s_or_b32 exec_lo, exec_lo, s5
                                        ; implicit-def: $vgpr21_vgpr22
	s_and_saveexec_b32 s5, s2
	s_cbranch_execz .LBB122_13
.LBB122_55:
	global_load_b64 v[21:22], v[9:10], off offset:256
	s_or_b32 exec_lo, exec_lo, s5
                                        ; implicit-def: $vgpr23_vgpr24
	s_and_saveexec_b32 s2, s3
	s_cbranch_execz .LBB122_14
.LBB122_56:
	global_load_b64 v[23:24], v[9:10], off offset:512
	s_or_b32 exec_lo, exec_lo, s2
                                        ; implicit-def: $vgpr25_vgpr26
	s_and_saveexec_b32 s2, s4
	s_cbranch_execnz .LBB122_15
	s_branch .LBB122_16
.LBB122_57:
	s_waitcnt lgkmcnt(1)
	global_store_b64 v[8:9], v[4:5], off
	s_or_b32 exec_lo, exec_lo, s3
	s_and_saveexec_b32 s3, s0
	s_cbranch_execz .LBB122_50
.LBB122_58:
	s_waitcnt lgkmcnt(1)
	global_store_b64 v[8:9], v[6:7], off offset:2048
	s_or_b32 exec_lo, exec_lo, s3
	s_and_saveexec_b32 s0, s1
	s_cbranch_execnz .LBB122_51
	s_branch .LBB122_52
	.section	.rodata,"a",@progbits
	.p2align	6, 0x0
	.amdhsa_kernel _ZN7rocprim17ROCPRIM_304000_NS6detail28radix_sort_block_sort_kernelINS1_36wrapped_radix_sort_block_sort_configINS0_13kernel_configILj256ELj4ELj4294967295EEEfN2at4cuda3cub6detail10OpaqueTypeILi8EEEEELb1EPKfPfPKSB_PSB_NS0_19identity_decomposerEEEvT1_T2_T3_T4_jT5_jj
		.amdhsa_group_segment_fixed_size 8224
		.amdhsa_private_segment_fixed_size 0
		.amdhsa_kernarg_size 304
		.amdhsa_user_sgpr_count 15
		.amdhsa_user_sgpr_dispatch_ptr 0
		.amdhsa_user_sgpr_queue_ptr 0
		.amdhsa_user_sgpr_kernarg_segment_ptr 1
		.amdhsa_user_sgpr_dispatch_id 0
		.amdhsa_user_sgpr_private_segment_size 0
		.amdhsa_wavefront_size32 1
		.amdhsa_uses_dynamic_stack 0
		.amdhsa_enable_private_segment 0
		.amdhsa_system_sgpr_workgroup_id_x 1
		.amdhsa_system_sgpr_workgroup_id_y 0
		.amdhsa_system_sgpr_workgroup_id_z 0
		.amdhsa_system_sgpr_workgroup_info 0
		.amdhsa_system_vgpr_workitem_id 2
		.amdhsa_next_free_vgpr 55
		.amdhsa_next_free_sgpr 32
		.amdhsa_reserve_vcc 1
		.amdhsa_float_round_mode_32 0
		.amdhsa_float_round_mode_16_64 0
		.amdhsa_float_denorm_mode_32 3
		.amdhsa_float_denorm_mode_16_64 3
		.amdhsa_dx10_clamp 1
		.amdhsa_ieee_mode 1
		.amdhsa_fp16_overflow 0
		.amdhsa_workgroup_processor_mode 1
		.amdhsa_memory_ordered 1
		.amdhsa_forward_progress 0
		.amdhsa_shared_vgpr_count 0
		.amdhsa_exception_fp_ieee_invalid_op 0
		.amdhsa_exception_fp_denorm_src 0
		.amdhsa_exception_fp_ieee_div_zero 0
		.amdhsa_exception_fp_ieee_overflow 0
		.amdhsa_exception_fp_ieee_underflow 0
		.amdhsa_exception_fp_ieee_inexact 0
		.amdhsa_exception_int_div_zero 0
	.end_amdhsa_kernel
	.section	.text._ZN7rocprim17ROCPRIM_304000_NS6detail28radix_sort_block_sort_kernelINS1_36wrapped_radix_sort_block_sort_configINS0_13kernel_configILj256ELj4ELj4294967295EEEfN2at4cuda3cub6detail10OpaqueTypeILi8EEEEELb1EPKfPfPKSB_PSB_NS0_19identity_decomposerEEEvT1_T2_T3_T4_jT5_jj,"axG",@progbits,_ZN7rocprim17ROCPRIM_304000_NS6detail28radix_sort_block_sort_kernelINS1_36wrapped_radix_sort_block_sort_configINS0_13kernel_configILj256ELj4ELj4294967295EEEfN2at4cuda3cub6detail10OpaqueTypeILi8EEEEELb1EPKfPfPKSB_PSB_NS0_19identity_decomposerEEEvT1_T2_T3_T4_jT5_jj,comdat
.Lfunc_end122:
	.size	_ZN7rocprim17ROCPRIM_304000_NS6detail28radix_sort_block_sort_kernelINS1_36wrapped_radix_sort_block_sort_configINS0_13kernel_configILj256ELj4ELj4294967295EEEfN2at4cuda3cub6detail10OpaqueTypeILi8EEEEELb1EPKfPfPKSB_PSB_NS0_19identity_decomposerEEEvT1_T2_T3_T4_jT5_jj, .Lfunc_end122-_ZN7rocprim17ROCPRIM_304000_NS6detail28radix_sort_block_sort_kernelINS1_36wrapped_radix_sort_block_sort_configINS0_13kernel_configILj256ELj4ELj4294967295EEEfN2at4cuda3cub6detail10OpaqueTypeILi8EEEEELb1EPKfPfPKSB_PSB_NS0_19identity_decomposerEEEvT1_T2_T3_T4_jT5_jj
                                        ; -- End function
	.section	.AMDGPU.csdata,"",@progbits
; Kernel info:
; codeLenInByte = 4336
; NumSgprs: 34
; NumVgprs: 55
; ScratchSize: 0
; MemoryBound: 0
; FloatMode: 240
; IeeeMode: 1
; LDSByteSize: 8224 bytes/workgroup (compile time only)
; SGPRBlocks: 4
; VGPRBlocks: 6
; NumSGPRsForWavesPerEU: 34
; NumVGPRsForWavesPerEU: 55
; Occupancy: 16
; WaveLimiterHint : 1
; COMPUTE_PGM_RSRC2:SCRATCH_EN: 0
; COMPUTE_PGM_RSRC2:USER_SGPR: 15
; COMPUTE_PGM_RSRC2:TRAP_HANDLER: 0
; COMPUTE_PGM_RSRC2:TGID_X_EN: 1
; COMPUTE_PGM_RSRC2:TGID_Y_EN: 0
; COMPUTE_PGM_RSRC2:TGID_Z_EN: 0
; COMPUTE_PGM_RSRC2:TIDIG_COMP_CNT: 2
	.section	.text._ZN7rocprim17ROCPRIM_304000_NS6detail39device_merge_sort_compile_time_verifierINS1_36wrapped_merge_sort_block_sort_configINS1_28merge_sort_block_sort_configILj256ELj4ELNS0_20block_sort_algorithmE0EEEfN2at4cuda3cub6detail10OpaqueTypeILi8EEEEENS1_37wrapped_merge_sort_block_merge_configINS0_14default_configEfSC_EEEEvv,"axG",@progbits,_ZN7rocprim17ROCPRIM_304000_NS6detail39device_merge_sort_compile_time_verifierINS1_36wrapped_merge_sort_block_sort_configINS1_28merge_sort_block_sort_configILj256ELj4ELNS0_20block_sort_algorithmE0EEEfN2at4cuda3cub6detail10OpaqueTypeILi8EEEEENS1_37wrapped_merge_sort_block_merge_configINS0_14default_configEfSC_EEEEvv,comdat
	.protected	_ZN7rocprim17ROCPRIM_304000_NS6detail39device_merge_sort_compile_time_verifierINS1_36wrapped_merge_sort_block_sort_configINS1_28merge_sort_block_sort_configILj256ELj4ELNS0_20block_sort_algorithmE0EEEfN2at4cuda3cub6detail10OpaqueTypeILi8EEEEENS1_37wrapped_merge_sort_block_merge_configINS0_14default_configEfSC_EEEEvv ; -- Begin function _ZN7rocprim17ROCPRIM_304000_NS6detail39device_merge_sort_compile_time_verifierINS1_36wrapped_merge_sort_block_sort_configINS1_28merge_sort_block_sort_configILj256ELj4ELNS0_20block_sort_algorithmE0EEEfN2at4cuda3cub6detail10OpaqueTypeILi8EEEEENS1_37wrapped_merge_sort_block_merge_configINS0_14default_configEfSC_EEEEvv
	.globl	_ZN7rocprim17ROCPRIM_304000_NS6detail39device_merge_sort_compile_time_verifierINS1_36wrapped_merge_sort_block_sort_configINS1_28merge_sort_block_sort_configILj256ELj4ELNS0_20block_sort_algorithmE0EEEfN2at4cuda3cub6detail10OpaqueTypeILi8EEEEENS1_37wrapped_merge_sort_block_merge_configINS0_14default_configEfSC_EEEEvv
	.p2align	8
	.type	_ZN7rocprim17ROCPRIM_304000_NS6detail39device_merge_sort_compile_time_verifierINS1_36wrapped_merge_sort_block_sort_configINS1_28merge_sort_block_sort_configILj256ELj4ELNS0_20block_sort_algorithmE0EEEfN2at4cuda3cub6detail10OpaqueTypeILi8EEEEENS1_37wrapped_merge_sort_block_merge_configINS0_14default_configEfSC_EEEEvv,@function
_ZN7rocprim17ROCPRIM_304000_NS6detail39device_merge_sort_compile_time_verifierINS1_36wrapped_merge_sort_block_sort_configINS1_28merge_sort_block_sort_configILj256ELj4ELNS0_20block_sort_algorithmE0EEEfN2at4cuda3cub6detail10OpaqueTypeILi8EEEEENS1_37wrapped_merge_sort_block_merge_configINS0_14default_configEfSC_EEEEvv: ; @_ZN7rocprim17ROCPRIM_304000_NS6detail39device_merge_sort_compile_time_verifierINS1_36wrapped_merge_sort_block_sort_configINS1_28merge_sort_block_sort_configILj256ELj4ELNS0_20block_sort_algorithmE0EEEfN2at4cuda3cub6detail10OpaqueTypeILi8EEEEENS1_37wrapped_merge_sort_block_merge_configINS0_14default_configEfSC_EEEEvv
; %bb.0:
	s_endpgm
	.section	.rodata,"a",@progbits
	.p2align	6, 0x0
	.amdhsa_kernel _ZN7rocprim17ROCPRIM_304000_NS6detail39device_merge_sort_compile_time_verifierINS1_36wrapped_merge_sort_block_sort_configINS1_28merge_sort_block_sort_configILj256ELj4ELNS0_20block_sort_algorithmE0EEEfN2at4cuda3cub6detail10OpaqueTypeILi8EEEEENS1_37wrapped_merge_sort_block_merge_configINS0_14default_configEfSC_EEEEvv
		.amdhsa_group_segment_fixed_size 0
		.amdhsa_private_segment_fixed_size 0
		.amdhsa_kernarg_size 0
		.amdhsa_user_sgpr_count 15
		.amdhsa_user_sgpr_dispatch_ptr 0
		.amdhsa_user_sgpr_queue_ptr 0
		.amdhsa_user_sgpr_kernarg_segment_ptr 0
		.amdhsa_user_sgpr_dispatch_id 0
		.amdhsa_user_sgpr_private_segment_size 0
		.amdhsa_wavefront_size32 1
		.amdhsa_uses_dynamic_stack 0
		.amdhsa_enable_private_segment 0
		.amdhsa_system_sgpr_workgroup_id_x 1
		.amdhsa_system_sgpr_workgroup_id_y 0
		.amdhsa_system_sgpr_workgroup_id_z 0
		.amdhsa_system_sgpr_workgroup_info 0
		.amdhsa_system_vgpr_workitem_id 0
		.amdhsa_next_free_vgpr 1
		.amdhsa_next_free_sgpr 1
		.amdhsa_reserve_vcc 0
		.amdhsa_float_round_mode_32 0
		.amdhsa_float_round_mode_16_64 0
		.amdhsa_float_denorm_mode_32 3
		.amdhsa_float_denorm_mode_16_64 3
		.amdhsa_dx10_clamp 1
		.amdhsa_ieee_mode 1
		.amdhsa_fp16_overflow 0
		.amdhsa_workgroup_processor_mode 1
		.amdhsa_memory_ordered 1
		.amdhsa_forward_progress 0
		.amdhsa_shared_vgpr_count 0
		.amdhsa_exception_fp_ieee_invalid_op 0
		.amdhsa_exception_fp_denorm_src 0
		.amdhsa_exception_fp_ieee_div_zero 0
		.amdhsa_exception_fp_ieee_overflow 0
		.amdhsa_exception_fp_ieee_underflow 0
		.amdhsa_exception_fp_ieee_inexact 0
		.amdhsa_exception_int_div_zero 0
	.end_amdhsa_kernel
	.section	.text._ZN7rocprim17ROCPRIM_304000_NS6detail39device_merge_sort_compile_time_verifierINS1_36wrapped_merge_sort_block_sort_configINS1_28merge_sort_block_sort_configILj256ELj4ELNS0_20block_sort_algorithmE0EEEfN2at4cuda3cub6detail10OpaqueTypeILi8EEEEENS1_37wrapped_merge_sort_block_merge_configINS0_14default_configEfSC_EEEEvv,"axG",@progbits,_ZN7rocprim17ROCPRIM_304000_NS6detail39device_merge_sort_compile_time_verifierINS1_36wrapped_merge_sort_block_sort_configINS1_28merge_sort_block_sort_configILj256ELj4ELNS0_20block_sort_algorithmE0EEEfN2at4cuda3cub6detail10OpaqueTypeILi8EEEEENS1_37wrapped_merge_sort_block_merge_configINS0_14default_configEfSC_EEEEvv,comdat
.Lfunc_end123:
	.size	_ZN7rocprim17ROCPRIM_304000_NS6detail39device_merge_sort_compile_time_verifierINS1_36wrapped_merge_sort_block_sort_configINS1_28merge_sort_block_sort_configILj256ELj4ELNS0_20block_sort_algorithmE0EEEfN2at4cuda3cub6detail10OpaqueTypeILi8EEEEENS1_37wrapped_merge_sort_block_merge_configINS0_14default_configEfSC_EEEEvv, .Lfunc_end123-_ZN7rocprim17ROCPRIM_304000_NS6detail39device_merge_sort_compile_time_verifierINS1_36wrapped_merge_sort_block_sort_configINS1_28merge_sort_block_sort_configILj256ELj4ELNS0_20block_sort_algorithmE0EEEfN2at4cuda3cub6detail10OpaqueTypeILi8EEEEENS1_37wrapped_merge_sort_block_merge_configINS0_14default_configEfSC_EEEEvv
                                        ; -- End function
	.section	.AMDGPU.csdata,"",@progbits
; Kernel info:
; codeLenInByte = 4
; NumSgprs: 0
; NumVgprs: 0
; ScratchSize: 0
; MemoryBound: 0
; FloatMode: 240
; IeeeMode: 1
; LDSByteSize: 0 bytes/workgroup (compile time only)
; SGPRBlocks: 0
; VGPRBlocks: 0
; NumSGPRsForWavesPerEU: 1
; NumVGPRsForWavesPerEU: 1
; Occupancy: 16
; WaveLimiterHint : 0
; COMPUTE_PGM_RSRC2:SCRATCH_EN: 0
; COMPUTE_PGM_RSRC2:USER_SGPR: 15
; COMPUTE_PGM_RSRC2:TRAP_HANDLER: 0
; COMPUTE_PGM_RSRC2:TGID_X_EN: 1
; COMPUTE_PGM_RSRC2:TGID_Y_EN: 0
; COMPUTE_PGM_RSRC2:TGID_Z_EN: 0
; COMPUTE_PGM_RSRC2:TIDIG_COMP_CNT: 0
	.section	.text._ZN7rocprim17ROCPRIM_304000_NS6detail45device_block_merge_mergepath_partition_kernelINS1_37wrapped_merge_sort_block_merge_configINS0_14default_configEfN2at4cuda3cub6detail10OpaqueTypeILi8EEEEEPfjNS1_19radix_merge_compareILb1ELb0EfNS0_19identity_decomposerEEEEEvT0_T1_jPSH_T2_SH_,"axG",@progbits,_ZN7rocprim17ROCPRIM_304000_NS6detail45device_block_merge_mergepath_partition_kernelINS1_37wrapped_merge_sort_block_merge_configINS0_14default_configEfN2at4cuda3cub6detail10OpaqueTypeILi8EEEEEPfjNS1_19radix_merge_compareILb1ELb0EfNS0_19identity_decomposerEEEEEvT0_T1_jPSH_T2_SH_,comdat
	.protected	_ZN7rocprim17ROCPRIM_304000_NS6detail45device_block_merge_mergepath_partition_kernelINS1_37wrapped_merge_sort_block_merge_configINS0_14default_configEfN2at4cuda3cub6detail10OpaqueTypeILi8EEEEEPfjNS1_19radix_merge_compareILb1ELb0EfNS0_19identity_decomposerEEEEEvT0_T1_jPSH_T2_SH_ ; -- Begin function _ZN7rocprim17ROCPRIM_304000_NS6detail45device_block_merge_mergepath_partition_kernelINS1_37wrapped_merge_sort_block_merge_configINS0_14default_configEfN2at4cuda3cub6detail10OpaqueTypeILi8EEEEEPfjNS1_19radix_merge_compareILb1ELb0EfNS0_19identity_decomposerEEEEEvT0_T1_jPSH_T2_SH_
	.globl	_ZN7rocprim17ROCPRIM_304000_NS6detail45device_block_merge_mergepath_partition_kernelINS1_37wrapped_merge_sort_block_merge_configINS0_14default_configEfN2at4cuda3cub6detail10OpaqueTypeILi8EEEEEPfjNS1_19radix_merge_compareILb1ELb0EfNS0_19identity_decomposerEEEEEvT0_T1_jPSH_T2_SH_
	.p2align	8
	.type	_ZN7rocprim17ROCPRIM_304000_NS6detail45device_block_merge_mergepath_partition_kernelINS1_37wrapped_merge_sort_block_merge_configINS0_14default_configEfN2at4cuda3cub6detail10OpaqueTypeILi8EEEEEPfjNS1_19radix_merge_compareILb1ELb0EfNS0_19identity_decomposerEEEEEvT0_T1_jPSH_T2_SH_,@function
_ZN7rocprim17ROCPRIM_304000_NS6detail45device_block_merge_mergepath_partition_kernelINS1_37wrapped_merge_sort_block_merge_configINS0_14default_configEfN2at4cuda3cub6detail10OpaqueTypeILi8EEEEEPfjNS1_19radix_merge_compareILb1ELb0EfNS0_19identity_decomposerEEEEEvT0_T1_jPSH_T2_SH_: ; @_ZN7rocprim17ROCPRIM_304000_NS6detail45device_block_merge_mergepath_partition_kernelINS1_37wrapped_merge_sort_block_merge_configINS0_14default_configEfN2at4cuda3cub6detail10OpaqueTypeILi8EEEEEPfjNS1_19radix_merge_compareILb1ELb0EfNS0_19identity_decomposerEEEEEvT0_T1_jPSH_T2_SH_
; %bb.0:
	s_load_b64 s[2:3], s[0:1], 0x8
	v_lshl_or_b32 v0, s15, 7, v0
	s_waitcnt lgkmcnt(0)
	s_delay_alu instid0(VALU_DEP_1)
	v_cmp_gt_u32_e32 vcc_lo, s3, v0
	s_and_saveexec_b32 s3, vcc_lo
	s_cbranch_execz .LBB124_6
; %bb.1:
	s_load_b32 s3, s[0:1], 0x1c
	s_waitcnt lgkmcnt(0)
	s_lshr_b32 s4, s3, 9
	s_delay_alu instid0(SALU_CYCLE_1) | instskip(NEXT) | instid1(SALU_CYCLE_1)
	s_and_b32 s4, s4, 0x7ffffe
	s_sub_i32 s5, 0, s4
	s_add_i32 s4, s4, -1
	v_and_b32_e32 v1, s5, v0
	v_and_b32_e32 v5, s4, v0
	s_delay_alu instid0(VALU_DEP_2) | instskip(NEXT) | instid1(VALU_DEP_1)
	v_lshlrev_b32_e32 v1, 10, v1
	v_add_nc_u32_e32 v2, s3, v1
	s_delay_alu instid0(VALU_DEP_1) | instskip(SKIP_1) | instid1(VALU_DEP_2)
	v_min_u32_e32 v4, s2, v2
	v_min_u32_e32 v2, s2, v1
	v_add_nc_u32_e32 v3, s3, v4
	s_mov_b32 s3, 0
	s_delay_alu instid0(VALU_DEP_1) | instskip(SKIP_2) | instid1(VALU_DEP_2)
	v_min_u32_e32 v1, s2, v3
	v_lshlrev_b32_e32 v3, 10, v5
	s_mov_b32 s2, exec_lo
	v_sub_nc_u32_e32 v5, v1, v2
	v_sub_nc_u32_e32 v6, v1, v4
	s_delay_alu instid0(VALU_DEP_2) | instskip(SKIP_1) | instid1(VALU_DEP_2)
	v_min_u32_e32 v1, v5, v3
	v_sub_nc_u32_e32 v3, v4, v2
	v_sub_nc_u32_e64 v6, v1, v6 clamp
	s_delay_alu instid0(VALU_DEP_2) | instskip(NEXT) | instid1(VALU_DEP_1)
	v_min_u32_e32 v7, v1, v3
	v_cmpx_lt_u32_e64 v6, v7
	s_cbranch_execz .LBB124_5
; %bb.2:
	s_load_b64 s[4:5], s[0:1], 0x0
	v_mov_b32_e32 v5, 0
	s_delay_alu instid0(VALU_DEP_1) | instskip(SKIP_1) | instid1(VALU_DEP_2)
	v_mov_b32_e32 v3, v5
	v_lshlrev_b64 v[10:11], 2, v[4:5]
	v_lshlrev_b64 v[8:9], 2, v[2:3]
	s_waitcnt lgkmcnt(0)
	s_delay_alu instid0(VALU_DEP_1) | instskip(NEXT) | instid1(VALU_DEP_2)
	v_add_co_u32 v3, vcc_lo, s4, v8
	v_add_co_ci_u32_e32 v8, vcc_lo, s5, v9, vcc_lo
	s_delay_alu instid0(VALU_DEP_4)
	v_add_co_u32 v9, vcc_lo, s4, v10
	v_add_co_ci_u32_e32 v10, vcc_lo, s5, v11, vcc_lo
	s_set_inst_prefetch_distance 0x1
	.p2align	6
.LBB124_3:                              ; =>This Inner Loop Header: Depth=1
	v_add_nc_u32_e32 v4, v7, v6
	s_delay_alu instid0(VALU_DEP_1) | instskip(SKIP_1) | instid1(VALU_DEP_2)
	v_lshrrev_b32_e32 v4, 1, v4
	v_mov_b32_e32 v12, v5
	v_xad_u32 v11, v4, -1, v1
	v_lshlrev_b64 v[13:14], 2, v[4:5]
	s_delay_alu instid0(VALU_DEP_2) | instskip(NEXT) | instid1(VALU_DEP_2)
	v_lshlrev_b64 v[11:12], 2, v[11:12]
	v_add_co_u32 v13, vcc_lo, v3, v13
	s_delay_alu instid0(VALU_DEP_3) | instskip(NEXT) | instid1(VALU_DEP_3)
	v_add_co_ci_u32_e32 v14, vcc_lo, v8, v14, vcc_lo
	v_add_co_u32 v11, vcc_lo, v9, v11
	s_delay_alu instid0(VALU_DEP_4)
	v_add_co_ci_u32_e32 v12, vcc_lo, v10, v12, vcc_lo
	s_clause 0x1
	global_load_b32 v13, v[13:14], off
	global_load_b32 v11, v[11:12], off
	s_waitcnt vmcnt(1)
	v_cmp_ne_u32_e32 vcc_lo, 0x80000000, v13
	v_cndmask_b32_e32 v12, 0, v13, vcc_lo
	s_waitcnt vmcnt(0)
	v_cmp_ne_u32_e32 vcc_lo, 0x80000000, v11
	v_cndmask_b32_e32 v11, 0, v11, vcc_lo
	s_delay_alu instid0(VALU_DEP_3) | instskip(SKIP_1) | instid1(VALU_DEP_3)
	v_cmp_lt_i32_e32 vcc_lo, -1, v12
	v_cndmask_b32_e64 v13, -1, 0x80000000, vcc_lo
	v_cmp_lt_i32_e32 vcc_lo, -1, v11
	s_delay_alu instid0(VALU_DEP_2) | instskip(SKIP_2) | instid1(VALU_DEP_2)
	v_xor_b32_e32 v12, v13, v12
	v_cndmask_b32_e64 v14, -1, 0x80000000, vcc_lo
	v_add_nc_u32_e32 v13, 1, v4
	v_xor_b32_e32 v11, v14, v11
	s_delay_alu instid0(VALU_DEP_1) | instskip(NEXT) | instid1(VALU_DEP_3)
	v_cmp_gt_u32_e32 vcc_lo, v11, v12
	v_dual_cndmask_b32 v7, v7, v4 :: v_dual_cndmask_b32 v6, v13, v6
	s_delay_alu instid0(VALU_DEP_1) | instskip(SKIP_1) | instid1(SALU_CYCLE_1)
	v_cmp_ge_u32_e32 vcc_lo, v6, v7
	s_or_b32 s3, vcc_lo, s3
	s_and_not1_b32 exec_lo, exec_lo, s3
	s_cbranch_execnz .LBB124_3
; %bb.4:
	s_set_inst_prefetch_distance 0x2
	s_or_b32 exec_lo, exec_lo, s3
.LBB124_5:
	s_delay_alu instid0(SALU_CYCLE_1) | instskip(SKIP_2) | instid1(VALU_DEP_1)
	s_or_b32 exec_lo, exec_lo, s2
	s_load_b64 s[0:1], s[0:1], 0x10
	v_dual_mov_b32 v1, 0 :: v_dual_add_nc_u32 v2, v6, v2
	v_lshlrev_b64 v[0:1], 2, v[0:1]
	s_waitcnt lgkmcnt(0)
	s_delay_alu instid0(VALU_DEP_1) | instskip(NEXT) | instid1(VALU_DEP_2)
	v_add_co_u32 v0, vcc_lo, s0, v0
	v_add_co_ci_u32_e32 v1, vcc_lo, s1, v1, vcc_lo
	global_store_b32 v[0:1], v2, off
.LBB124_6:
	s_nop 0
	s_sendmsg sendmsg(MSG_DEALLOC_VGPRS)
	s_endpgm
	.section	.rodata,"a",@progbits
	.p2align	6, 0x0
	.amdhsa_kernel _ZN7rocprim17ROCPRIM_304000_NS6detail45device_block_merge_mergepath_partition_kernelINS1_37wrapped_merge_sort_block_merge_configINS0_14default_configEfN2at4cuda3cub6detail10OpaqueTypeILi8EEEEEPfjNS1_19radix_merge_compareILb1ELb0EfNS0_19identity_decomposerEEEEEvT0_T1_jPSH_T2_SH_
		.amdhsa_group_segment_fixed_size 0
		.amdhsa_private_segment_fixed_size 0
		.amdhsa_kernarg_size 32
		.amdhsa_user_sgpr_count 15
		.amdhsa_user_sgpr_dispatch_ptr 0
		.amdhsa_user_sgpr_queue_ptr 0
		.amdhsa_user_sgpr_kernarg_segment_ptr 1
		.amdhsa_user_sgpr_dispatch_id 0
		.amdhsa_user_sgpr_private_segment_size 0
		.amdhsa_wavefront_size32 1
		.amdhsa_uses_dynamic_stack 0
		.amdhsa_enable_private_segment 0
		.amdhsa_system_sgpr_workgroup_id_x 1
		.amdhsa_system_sgpr_workgroup_id_y 0
		.amdhsa_system_sgpr_workgroup_id_z 0
		.amdhsa_system_sgpr_workgroup_info 0
		.amdhsa_system_vgpr_workitem_id 0
		.amdhsa_next_free_vgpr 15
		.amdhsa_next_free_sgpr 16
		.amdhsa_reserve_vcc 1
		.amdhsa_float_round_mode_32 0
		.amdhsa_float_round_mode_16_64 0
		.amdhsa_float_denorm_mode_32 3
		.amdhsa_float_denorm_mode_16_64 3
		.amdhsa_dx10_clamp 1
		.amdhsa_ieee_mode 1
		.amdhsa_fp16_overflow 0
		.amdhsa_workgroup_processor_mode 1
		.amdhsa_memory_ordered 1
		.amdhsa_forward_progress 0
		.amdhsa_shared_vgpr_count 0
		.amdhsa_exception_fp_ieee_invalid_op 0
		.amdhsa_exception_fp_denorm_src 0
		.amdhsa_exception_fp_ieee_div_zero 0
		.amdhsa_exception_fp_ieee_overflow 0
		.amdhsa_exception_fp_ieee_underflow 0
		.amdhsa_exception_fp_ieee_inexact 0
		.amdhsa_exception_int_div_zero 0
	.end_amdhsa_kernel
	.section	.text._ZN7rocprim17ROCPRIM_304000_NS6detail45device_block_merge_mergepath_partition_kernelINS1_37wrapped_merge_sort_block_merge_configINS0_14default_configEfN2at4cuda3cub6detail10OpaqueTypeILi8EEEEEPfjNS1_19radix_merge_compareILb1ELb0EfNS0_19identity_decomposerEEEEEvT0_T1_jPSH_T2_SH_,"axG",@progbits,_ZN7rocprim17ROCPRIM_304000_NS6detail45device_block_merge_mergepath_partition_kernelINS1_37wrapped_merge_sort_block_merge_configINS0_14default_configEfN2at4cuda3cub6detail10OpaqueTypeILi8EEEEEPfjNS1_19radix_merge_compareILb1ELb0EfNS0_19identity_decomposerEEEEEvT0_T1_jPSH_T2_SH_,comdat
.Lfunc_end124:
	.size	_ZN7rocprim17ROCPRIM_304000_NS6detail45device_block_merge_mergepath_partition_kernelINS1_37wrapped_merge_sort_block_merge_configINS0_14default_configEfN2at4cuda3cub6detail10OpaqueTypeILi8EEEEEPfjNS1_19radix_merge_compareILb1ELb0EfNS0_19identity_decomposerEEEEEvT0_T1_jPSH_T2_SH_, .Lfunc_end124-_ZN7rocprim17ROCPRIM_304000_NS6detail45device_block_merge_mergepath_partition_kernelINS1_37wrapped_merge_sort_block_merge_configINS0_14default_configEfN2at4cuda3cub6detail10OpaqueTypeILi8EEEEEPfjNS1_19radix_merge_compareILb1ELb0EfNS0_19identity_decomposerEEEEEvT0_T1_jPSH_T2_SH_
                                        ; -- End function
	.section	.AMDGPU.csdata,"",@progbits
; Kernel info:
; codeLenInByte = 548
; NumSgprs: 18
; NumVgprs: 15
; ScratchSize: 0
; MemoryBound: 0
; FloatMode: 240
; IeeeMode: 1
; LDSByteSize: 0 bytes/workgroup (compile time only)
; SGPRBlocks: 2
; VGPRBlocks: 1
; NumSGPRsForWavesPerEU: 18
; NumVGPRsForWavesPerEU: 15
; Occupancy: 16
; WaveLimiterHint : 0
; COMPUTE_PGM_RSRC2:SCRATCH_EN: 0
; COMPUTE_PGM_RSRC2:USER_SGPR: 15
; COMPUTE_PGM_RSRC2:TRAP_HANDLER: 0
; COMPUTE_PGM_RSRC2:TGID_X_EN: 1
; COMPUTE_PGM_RSRC2:TGID_Y_EN: 0
; COMPUTE_PGM_RSRC2:TGID_Z_EN: 0
; COMPUTE_PGM_RSRC2:TIDIG_COMP_CNT: 0
	.section	.text._ZN7rocprim17ROCPRIM_304000_NS6detail35device_block_merge_mergepath_kernelINS1_37wrapped_merge_sort_block_merge_configINS0_14default_configEfN2at4cuda3cub6detail10OpaqueTypeILi8EEEEEPfSC_PSA_SD_jNS1_19radix_merge_compareILb1ELb0EfNS0_19identity_decomposerEEEEEvT0_T1_T2_T3_T4_SL_jT5_PKSL_NS1_7vsmem_tE,"axG",@progbits,_ZN7rocprim17ROCPRIM_304000_NS6detail35device_block_merge_mergepath_kernelINS1_37wrapped_merge_sort_block_merge_configINS0_14default_configEfN2at4cuda3cub6detail10OpaqueTypeILi8EEEEEPfSC_PSA_SD_jNS1_19radix_merge_compareILb1ELb0EfNS0_19identity_decomposerEEEEEvT0_T1_T2_T3_T4_SL_jT5_PKSL_NS1_7vsmem_tE,comdat
	.protected	_ZN7rocprim17ROCPRIM_304000_NS6detail35device_block_merge_mergepath_kernelINS1_37wrapped_merge_sort_block_merge_configINS0_14default_configEfN2at4cuda3cub6detail10OpaqueTypeILi8EEEEEPfSC_PSA_SD_jNS1_19radix_merge_compareILb1ELb0EfNS0_19identity_decomposerEEEEEvT0_T1_T2_T3_T4_SL_jT5_PKSL_NS1_7vsmem_tE ; -- Begin function _ZN7rocprim17ROCPRIM_304000_NS6detail35device_block_merge_mergepath_kernelINS1_37wrapped_merge_sort_block_merge_configINS0_14default_configEfN2at4cuda3cub6detail10OpaqueTypeILi8EEEEEPfSC_PSA_SD_jNS1_19radix_merge_compareILb1ELb0EfNS0_19identity_decomposerEEEEEvT0_T1_T2_T3_T4_SL_jT5_PKSL_NS1_7vsmem_tE
	.globl	_ZN7rocprim17ROCPRIM_304000_NS6detail35device_block_merge_mergepath_kernelINS1_37wrapped_merge_sort_block_merge_configINS0_14default_configEfN2at4cuda3cub6detail10OpaqueTypeILi8EEEEEPfSC_PSA_SD_jNS1_19radix_merge_compareILb1ELb0EfNS0_19identity_decomposerEEEEEvT0_T1_T2_T3_T4_SL_jT5_PKSL_NS1_7vsmem_tE
	.p2align	8
	.type	_ZN7rocprim17ROCPRIM_304000_NS6detail35device_block_merge_mergepath_kernelINS1_37wrapped_merge_sort_block_merge_configINS0_14default_configEfN2at4cuda3cub6detail10OpaqueTypeILi8EEEEEPfSC_PSA_SD_jNS1_19radix_merge_compareILb1ELb0EfNS0_19identity_decomposerEEEEEvT0_T1_T2_T3_T4_SL_jT5_PKSL_NS1_7vsmem_tE,@function
_ZN7rocprim17ROCPRIM_304000_NS6detail35device_block_merge_mergepath_kernelINS1_37wrapped_merge_sort_block_merge_configINS0_14default_configEfN2at4cuda3cub6detail10OpaqueTypeILi8EEEEEPfSC_PSA_SD_jNS1_19radix_merge_compareILb1ELb0EfNS0_19identity_decomposerEEEEEvT0_T1_T2_T3_T4_SL_jT5_PKSL_NS1_7vsmem_tE: ; @_ZN7rocprim17ROCPRIM_304000_NS6detail35device_block_merge_mergepath_kernelINS1_37wrapped_merge_sort_block_merge_configINS0_14default_configEfN2at4cuda3cub6detail10OpaqueTypeILi8EEEEEPfSC_PSA_SD_jNS1_19radix_merge_compareILb1ELb0EfNS0_19identity_decomposerEEEEEvT0_T1_T2_T3_T4_SL_jT5_PKSL_NS1_7vsmem_tE
; %bb.0:
	s_clause 0x1
	s_load_b64 s[22:23], s[0:1], 0x40
	s_load_b128 s[8:11], s[0:1], 0x20
	s_add_u32 s20, s0, 64
	s_addc_u32 s21, s1, 0
	s_waitcnt lgkmcnt(0)
	s_mul_i32 s2, s23, s15
	s_delay_alu instid0(SALU_CYCLE_1) | instskip(NEXT) | instid1(SALU_CYCLE_1)
	s_add_i32 s2, s2, s14
	s_mul_i32 s2, s2, s22
	s_delay_alu instid0(SALU_CYCLE_1) | instskip(NEXT) | instid1(SALU_CYCLE_1)
	s_add_i32 s18, s2, s13
	s_cmp_ge_u32 s18, s10
	s_cbranch_scc1 .LBB125_59
; %bb.1:
	s_load_b64 s[2:3], s[0:1], 0x30
	s_lshr_b32 s28, s8, 10
	s_mov_b32 s15, 0
	s_cmp_lg_u32 s18, s28
	s_mov_b32 s19, s15
	s_cselect_b32 s12, -1, 0
	s_lshl_b64 s[4:5], s[18:19], 2
	v_mov_b32_e32 v4, 0
	s_mov_b32 s17, s15
	v_lshlrev_b32_e32 v5, 2, v0
	s_waitcnt lgkmcnt(0)
	s_add_u32 s2, s2, s4
	s_addc_u32 s3, s3, s5
	s_lshr_b32 s10, s9, 9
	s_load_b64 s[24:25], s[2:3], 0x0
	s_load_b256 s[0:7], s[0:1], 0x0
	global_load_b32 v1, v4, s[20:21] offset:14
	s_and_b32 s10, s10, 0x7ffffe
	s_delay_alu instid0(SALU_CYCLE_1)
	s_sub_i32 s11, 0, s10
	s_lshl_b32 s10, s18, 10
	s_and_b32 s14, s18, s11
	s_or_b32 s11, s18, s11
	s_lshl_b32 s16, s14, 11
	s_lshl_b32 s14, s14, 10
	s_add_i32 s16, s16, s9
	s_sub_i32 s19, s10, s14
	s_sub_i32 s14, s16, s14
	s_add_i32 s16, s16, s19
	s_min_u32 s19, s8, s14
	s_add_i32 s9, s14, s9
	s_waitcnt lgkmcnt(0)
	s_sub_i32 s14, s16, s24
	s_sub_i32 s23, s16, s25
	s_min_u32 s16, s8, s14
	s_addk_i32 s23, 0x400
	s_cmp_eq_u32 s11, -1
	s_mov_b32 s14, s24
	s_cselect_b32 s9, s9, s23
	s_cselect_b32 s11, s19, s25
	s_min_u32 s9, s9, s8
	s_lshl_b64 s[26:27], s[14:15], 2
	s_sub_i32 s11, s11, s24
	s_sub_i32 s19, s9, s16
	s_add_u32 s24, s0, s26
	s_addc_u32 s25, s1, s27
	s_lshl_b64 s[26:27], s[16:17], 2
	v_cmp_gt_u32_e32 vcc_lo, s11, v0
	s_add_u32 s23, s0, s26
	s_addc_u32 s1, s1, s27
	s_cmp_lt_u32 s13, s22
	s_cselect_b32 s0, 12, 18
	s_delay_alu instid0(SALU_CYCLE_1)
	s_add_u32 s20, s20, s0
	s_addc_u32 s21, s21, 0
	s_cmp_eq_u32 s18, s28
	s_mov_b32 s0, -1
	s_waitcnt vmcnt(0)
	v_lshrrev_b32_e32 v3, 16, v1
	v_and_b32_e32 v1, 0xffff, v1
	global_load_u16 v2, v4, s[20:21]
	v_mul_lo_u32 v1, v1, v3
	s_waitcnt vmcnt(0)
	s_delay_alu instid0(VALU_DEP_1) | instskip(NEXT) | instid1(VALU_DEP_1)
	v_mul_lo_u32 v1, v1, v2
	v_add_nc_u32_e32 v1, v1, v0
	s_cbranch_scc1 .LBB125_3
; %bb.2:
	v_subrev_nc_u32_e32 v3, s11, v0
	v_add_co_u32 v10, s0, s24, v5
	s_delay_alu instid0(VALU_DEP_1) | instskip(NEXT) | instid1(VALU_DEP_3)
	v_add_co_ci_u32_e64 v11, null, s25, 0, s0
	v_lshlrev_b64 v[6:7], 2, v[3:4]
	v_subrev_nc_u32_e32 v3, s11, v1
	s_add_i32 s9, s19, s11
	s_delay_alu instid0(VALU_DEP_2) | instskip(NEXT) | instid1(VALU_DEP_1)
	v_add_co_u32 v6, s0, s23, v6
	v_add_co_ci_u32_e64 v7, s0, s1, v7, s0
	v_mov_b32_e32 v2, v4
	s_delay_alu instid0(VALU_DEP_1) | instskip(SKIP_1) | instid1(VALU_DEP_2)
	v_lshlrev_b64 v[8:9], 2, v[1:2]
	v_lshlrev_b64 v[2:3], 2, v[3:4]
	v_add_co_u32 v4, s0, s24, v8
	s_delay_alu instid0(VALU_DEP_1) | instskip(NEXT) | instid1(VALU_DEP_3)
	v_add_co_ci_u32_e64 v8, s0, s25, v9, s0
	v_add_co_u32 v12, s0, s23, v2
	s_delay_alu instid0(VALU_DEP_1) | instskip(SKIP_3) | instid1(VALU_DEP_2)
	v_add_co_ci_u32_e64 v9, s0, s1, v3, s0
	v_cndmask_b32_e32 v3, v7, v11, vcc_lo
	v_cmp_gt_u32_e64 s0, s11, v1
	v_cndmask_b32_e32 v2, v6, v10, vcc_lo
	v_cndmask_b32_e64 v9, v9, v8, s0
	v_cndmask_b32_e64 v8, v12, v4, s0
	global_load_b32 v7, v[2:3], off
	global_load_b32 v8, v[8:9], off
	s_mov_b32 s0, s15
	s_delay_alu instid0(SALU_CYCLE_1)
	s_and_not1_b32 vcc_lo, exec_lo, s0
	s_cbranch_vccz .LBB125_4
	s_branch .LBB125_9
.LBB125_3:
                                        ; implicit-def: $vgpr8
                                        ; implicit-def: $vgpr7
                                        ; implicit-def: $sgpr9
	s_and_not1_b32 vcc_lo, exec_lo, s0
	s_cbranch_vccnz .LBB125_9
.LBB125_4:
	s_add_i32 s9, s19, s11
	s_mov_b32 s0, exec_lo
                                        ; implicit-def: $vgpr7
	v_cmpx_gt_u32_e64 s9, v0
	s_cbranch_execz .LBB125_6
; %bb.5:
	v_subrev_nc_u32_e32 v2, s11, v0
	v_add_co_u32 v4, s13, s24, v5
	v_mov_b32_e32 v3, 0
	v_add_co_ci_u32_e64 v6, null, s25, 0, s13
	s_delay_alu instid0(VALU_DEP_2) | instskip(NEXT) | instid1(VALU_DEP_1)
	v_lshlrev_b64 v[2:3], 2, v[2:3]
	v_add_co_u32 v2, vcc_lo, s23, v2
	s_delay_alu instid0(VALU_DEP_2) | instskip(SKIP_1) | instid1(VALU_DEP_2)
	v_add_co_ci_u32_e32 v3, vcc_lo, s1, v3, vcc_lo
	v_cmp_gt_u32_e32 vcc_lo, s11, v0
	v_dual_cndmask_b32 v2, v2, v4 :: v_dual_cndmask_b32 v3, v3, v6
	global_load_b32 v7, v[2:3], off
.LBB125_6:
	s_or_b32 exec_lo, exec_lo, s0
	s_delay_alu instid0(SALU_CYCLE_1)
	s_mov_b32 s13, exec_lo
                                        ; implicit-def: $vgpr8
	v_cmpx_gt_u32_e64 s9, v1
	s_cbranch_execz .LBB125_8
; %bb.7:
	v_mov_b32_e32 v2, 0
	s_delay_alu instid0(VALU_DEP_1) | instskip(NEXT) | instid1(VALU_DEP_1)
	v_lshlrev_b64 v[3:4], 2, v[1:2]
	v_add_co_u32 v3, vcc_lo, s24, v3
	s_delay_alu instid0(VALU_DEP_2) | instskip(SKIP_2) | instid1(VALU_DEP_1)
	v_add_co_ci_u32_e32 v4, vcc_lo, s25, v4, vcc_lo
	v_cmp_gt_u32_e32 vcc_lo, s11, v1
	v_subrev_nc_u32_e32 v1, s11, v1
	v_lshlrev_b64 v[1:2], 2, v[1:2]
	s_delay_alu instid0(VALU_DEP_1) | instskip(NEXT) | instid1(VALU_DEP_1)
	v_add_co_u32 v1, s0, s23, v1
	v_add_co_ci_u32_e64 v2, s0, s1, v2, s0
	s_delay_alu instid0(VALU_DEP_1)
	v_dual_cndmask_b32 v1, v1, v3 :: v_dual_cndmask_b32 v2, v2, v4
	global_load_b32 v8, v[1:2], off
.LBB125_8:
	s_or_b32 exec_lo, exec_lo, s13
.LBB125_9:
	v_lshlrev_b32_e32 v6, 1, v0
	s_mov_b32 s0, exec_lo
	s_waitcnt vmcnt(0)
	ds_store_2addr_stride64_b32 v5, v7, v8 offset1:8
	s_waitcnt lgkmcnt(0)
	s_barrier
	v_min_u32_e32 v2, s9, v6
	buffer_gl0_inv
	v_sub_nc_u32_e64 v1, v2, s19 clamp
	v_min_u32_e32 v3, s11, v2
	s_delay_alu instid0(VALU_DEP_1)
	v_cmpx_lt_u32_e64 v1, v3
	s_cbranch_execz .LBB125_13
; %bb.10:
	v_lshlrev_b32_e32 v4, 2, v2
	s_mov_b32 s1, 0
	s_delay_alu instid0(VALU_DEP_1)
	v_lshl_add_u32 v4, s11, 2, v4
	s_set_inst_prefetch_distance 0x1
	.p2align	6
.LBB125_11:                             ; =>This Inner Loop Header: Depth=1
	v_add_nc_u32_e32 v9, v3, v1
	s_delay_alu instid0(VALU_DEP_1) | instskip(NEXT) | instid1(VALU_DEP_1)
	v_lshrrev_b32_e32 v9, 1, v9
	v_not_b32_e32 v10, v9
	v_lshlrev_b32_e32 v11, 2, v9
	s_delay_alu instid0(VALU_DEP_2)
	v_lshl_add_u32 v10, v10, 2, v4
	ds_load_b32 v11, v11
	ds_load_b32 v10, v10
	s_waitcnt lgkmcnt(1)
	v_cmp_ne_u32_e32 vcc_lo, 0x80000000, v11
	v_cndmask_b32_e32 v11, 0, v11, vcc_lo
	s_waitcnt lgkmcnt(0)
	v_cmp_ne_u32_e32 vcc_lo, 0x80000000, v10
	v_cndmask_b32_e32 v10, 0, v10, vcc_lo
	s_delay_alu instid0(VALU_DEP_3) | instskip(SKIP_1) | instid1(VALU_DEP_3)
	v_cmp_lt_i32_e32 vcc_lo, -1, v11
	v_cndmask_b32_e64 v12, -1, 0x80000000, vcc_lo
	v_cmp_lt_i32_e32 vcc_lo, -1, v10
	s_delay_alu instid0(VALU_DEP_2) | instskip(SKIP_2) | instid1(VALU_DEP_1)
	v_xor_b32_e32 v11, v12, v11
	v_add_nc_u32_e32 v12, 1, v9
	v_cndmask_b32_e64 v13, -1, 0x80000000, vcc_lo
	v_xor_b32_e32 v10, v13, v10
	s_delay_alu instid0(VALU_DEP_1) | instskip(SKIP_2) | instid1(VALU_DEP_1)
	v_cmp_gt_u32_e32 vcc_lo, v10, v11
	v_cndmask_b32_e32 v3, v3, v9, vcc_lo
	v_cndmask_b32_e32 v1, v12, v1, vcc_lo
	v_cmp_ge_u32_e32 vcc_lo, v1, v3
	s_or_b32 s1, vcc_lo, s1
	s_delay_alu instid0(SALU_CYCLE_1)
	s_and_not1_b32 exec_lo, exec_lo, s1
	s_cbranch_execnz .LBB125_11
; %bb.12:
	s_set_inst_prefetch_distance 0x2
	s_or_b32 exec_lo, exec_lo, s1
.LBB125_13:
	s_delay_alu instid0(SALU_CYCLE_1) | instskip(SKIP_2) | instid1(VALU_DEP_2)
	s_or_b32 exec_lo, exec_lo, s0
	v_sub_nc_u32_e32 v2, v2, v1
	v_cmp_ge_u32_e32 vcc_lo, s11, v1
                                        ; implicit-def: $vgpr10
                                        ; implicit-def: $vgpr11
	v_add_nc_u32_e32 v4, s11, v2
	s_delay_alu instid0(VALU_DEP_1) | instskip(NEXT) | instid1(VALU_DEP_1)
	v_cmp_ge_u32_e64 s0, s9, v4
	s_or_b32 s0, vcc_lo, s0
	s_delay_alu instid0(SALU_CYCLE_1)
	s_and_saveexec_b32 s1, s0
	s_cbranch_execz .LBB125_25
; %bb.14:
	v_cmp_le_u32_e32 vcc_lo, s11, v1
	s_mov_b32 s13, exec_lo
                                        ; implicit-def: $vgpr2
	v_cmpx_gt_u32_e64 s11, v1
	s_cbranch_execz .LBB125_16
; %bb.15:
	v_lshlrev_b32_e32 v2, 2, v1
	ds_load_b32 v2, v2
.LBB125_16:
	s_or_b32 exec_lo, exec_lo, s13
	v_cmp_le_u32_e64 s13, s9, v4
	s_mov_b32 s18, exec_lo
                                        ; implicit-def: $vgpr3
	v_cmpx_gt_u32_e64 s9, v4
	s_cbranch_execz .LBB125_18
; %bb.17:
	v_lshlrev_b32_e32 v3, 2, v4
	ds_load_b32 v3, v3
.LBB125_18:
	s_or_b32 exec_lo, exec_lo, s18
	s_or_b32 s18, vcc_lo, s13
	s_mov_b32 s0, -1
	s_xor_b32 s20, s18, -1
	s_delay_alu instid0(SALU_CYCLE_1)
	s_and_saveexec_b32 s18, s20
	s_cbranch_execz .LBB125_20
; %bb.19:
	s_waitcnt lgkmcnt(0)
	v_cmp_ne_u32_e32 vcc_lo, 0x80000000, v3
	s_and_not1_b32 s13, s13, exec_lo
	v_cndmask_b32_e32 v7, 0, v3, vcc_lo
	v_cmp_ne_u32_e32 vcc_lo, 0x80000000, v2
	v_cndmask_b32_e32 v8, 0, v2, vcc_lo
	s_delay_alu instid0(VALU_DEP_3) | instskip(SKIP_1) | instid1(VALU_DEP_3)
	v_cmp_lt_i32_e32 vcc_lo, -1, v7
	v_cndmask_b32_e64 v9, -1, 0x80000000, vcc_lo
	v_cmp_lt_i32_e32 vcc_lo, -1, v8
	s_delay_alu instid0(VALU_DEP_2) | instskip(SKIP_1) | instid1(VALU_DEP_1)
	v_xor_b32_e32 v7, v9, v7
	v_cndmask_b32_e64 v10, -1, 0x80000000, vcc_lo
	v_xor_b32_e32 v8, v10, v8
	s_delay_alu instid0(VALU_DEP_1) | instskip(SKIP_1) | instid1(SALU_CYCLE_1)
	v_cmp_le_u32_e32 vcc_lo, v7, v8
	s_and_b32 s20, vcc_lo, exec_lo
	s_or_b32 s13, s13, s20
.LBB125_20:
	s_or_b32 exec_lo, exec_lo, s18
	v_cndmask_b32_e64 v11, v4, v1, s13
	v_mov_b32_e32 v7, s11
	s_mov_b32 s18, exec_lo
	s_delay_alu instid0(VALU_DEP_2) | instskip(NEXT) | instid1(VALU_DEP_2)
	v_add_nc_u32_e32 v8, 1, v11
	v_cndmask_b32_e64 v7, s9, v7, s13
	s_delay_alu instid0(VALU_DEP_2) | instskip(NEXT) | instid1(VALU_DEP_2)
	v_cndmask_b32_e64 v4, v8, v4, s13
	v_add_nc_u32_e32 v7, -1, v7
	s_delay_alu instid0(VALU_DEP_1) | instskip(SKIP_1) | instid1(VALU_DEP_2)
	v_min_u32_e32 v7, v8, v7
	v_cndmask_b32_e64 v8, v1, v8, s13
	v_lshlrev_b32_e32 v7, 2, v7
	ds_load_b32 v7, v7
	s_waitcnt lgkmcnt(0)
	v_cndmask_b32_e64 v1, v7, v3, s13
	v_cndmask_b32_e64 v9, v2, v7, s13
	v_cmpx_gt_u32_e64 s9, v4
	s_cbranch_execz .LBB125_24
; %bb.21:
	s_mov_b32 s20, 0
	s_mov_b32 s0, exec_lo
	v_cmpx_gt_u32_e64 s11, v8
	s_cbranch_execz .LBB125_23
; %bb.22:
	v_cmp_ne_u32_e32 vcc_lo, 0x80000000, v1
	v_cndmask_b32_e32 v7, 0, v1, vcc_lo
	v_cmp_ne_u32_e32 vcc_lo, 0x80000000, v9
	v_cndmask_b32_e32 v10, 0, v9, vcc_lo
	s_delay_alu instid0(VALU_DEP_3) | instskip(SKIP_1) | instid1(VALU_DEP_3)
	v_cmp_lt_i32_e32 vcc_lo, -1, v7
	v_cndmask_b32_e64 v12, -1, 0x80000000, vcc_lo
	v_cmp_lt_i32_e32 vcc_lo, -1, v10
	s_delay_alu instid0(VALU_DEP_2) | instskip(SKIP_1) | instid1(VALU_DEP_1)
	v_xor_b32_e32 v7, v12, v7
	v_cndmask_b32_e64 v13, -1, 0x80000000, vcc_lo
	v_xor_b32_e32 v10, v13, v10
	s_delay_alu instid0(VALU_DEP_1)
	v_cmp_le_u32_e32 vcc_lo, v7, v10
	s_and_b32 s20, vcc_lo, exec_lo
.LBB125_23:
	s_or_b32 exec_lo, exec_lo, s0
	s_delay_alu instid0(SALU_CYCLE_1)
	s_or_not1_b32 s0, s20, exec_lo
.LBB125_24:
	s_or_b32 exec_lo, exec_lo, s18
	v_cndmask_b32_e64 v7, v3, v2, s13
	v_cndmask_b32_e64 v10, v4, v8, s0
	;; [unrolled: 1-line block ×3, first 2 shown]
.LBB125_25:
	s_or_b32 exec_lo, exec_lo, s1
	s_lshl_b64 s[0:1], s[14:15], 3
	v_or_b32_e32 v9, 0x200, v0
	s_add_u32 s13, s4, s0
	s_addc_u32 s14, s5, s1
	s_lshl_b64 s[16:17], s[16:17], 3
	v_cmp_gt_u32_e64 s1, s11, v0
	v_cmp_le_u32_e64 s0, s11, v0
	s_add_u32 s4, s4, s16
	s_mov_b32 s15, 0
	s_addc_u32 s5, s5, s17
	s_and_not1_b32 vcc_lo, exec_lo, s12
	s_barrier
	buffer_gl0_inv
	s_cbranch_vccnz .LBB125_27
; %bb.26:
	v_subrev_nc_u32_e32 v1, s11, v0
	v_mov_b32_e32 v2, 0
	v_lshlrev_b32_e32 v14, 3, v0
	s_delay_alu instid0(VALU_DEP_2) | instskip(NEXT) | instid1(VALU_DEP_2)
	v_lshlrev_b64 v[3:4], 3, v[1:2]
	v_add_co_u32 v15, s15, s13, v14
	s_delay_alu instid0(VALU_DEP_1) | instskip(SKIP_1) | instid1(VALU_DEP_3)
	v_add_co_ci_u32_e64 v16, null, s14, 0, s15
	s_mov_b32 s15, -1
	v_add_co_u32 v1, vcc_lo, s4, v3
	s_delay_alu instid0(VALU_DEP_4) | instskip(NEXT) | instid1(VALU_DEP_1)
	v_add_co_ci_u32_e32 v3, vcc_lo, s5, v4, vcc_lo
	v_cndmask_b32_e64 v4, v3, v16, s1
	s_delay_alu instid0(VALU_DEP_3)
	v_cndmask_b32_e64 v3, v1, v15, s1
	v_subrev_nc_u32_e32 v1, s11, v9
	global_load_b64 v[12:13], v[3:4], off
	v_lshlrev_b64 v[1:2], 3, v[1:2]
	v_add_co_u32 v3, vcc_lo, 0x1000, v15
	v_add_co_ci_u32_e32 v4, vcc_lo, 0, v16, vcc_lo
	s_delay_alu instid0(VALU_DEP_3) | instskip(NEXT) | instid1(VALU_DEP_4)
	v_add_co_u32 v1, vcc_lo, s4, v1
	v_add_co_ci_u32_e32 v2, vcc_lo, s5, v2, vcc_lo
	v_cmp_gt_u32_e32 vcc_lo, s11, v9
	s_delay_alu instid0(VALU_DEP_2)
	v_dual_cndmask_b32 v1, v1, v3 :: v_dual_cndmask_b32 v2, v2, v4
	v_or_b32_e32 v4, 0x1000, v14
	s_waitcnt vmcnt(0)
	ds_store_b64 v14, v[12:13]
	s_cbranch_execz .LBB125_28
	s_branch .LBB125_39
.LBB125_27:
                                        ; implicit-def: $vgpr4
                                        ; implicit-def: $vgpr1_vgpr2
.LBB125_28:
	s_mov_b32 s1, 0
                                        ; implicit-def: $vgpr1_vgpr2
	s_and_saveexec_b32 s16, s0
	s_delay_alu instid0(SALU_CYCLE_1)
	s_xor_b32 s0, exec_lo, s16
	s_cbranch_execnz .LBB125_60
; %bb.29:
	s_and_not1_saveexec_b32 s0, s0
	s_cbranch_execnz .LBB125_63
.LBB125_30:
	s_or_b32 exec_lo, exec_lo, s0
	v_lshl_add_u32 v12, v0, 2, v5
	s_and_saveexec_b32 s0, s1
	s_cbranch_execz .LBB125_32
.LBB125_31:
	global_load_b64 v[1:2], v[1:2], off
	s_waitcnt vmcnt(0)
	ds_store_b64 v12, v[1:2]
.LBB125_32:
	s_or_b32 exec_lo, exec_lo, s0
	s_delay_alu instid0(SALU_CYCLE_1)
	s_mov_b32 s0, exec_lo
                                        ; implicit-def: $vgpr4
                                        ; implicit-def: $vgpr1_vgpr2
	v_cmpx_le_u32_e64 s11, v9
	s_xor_b32 s0, exec_lo, s0
	s_cbranch_execz .LBB125_36
; %bb.33:
	v_subrev_nc_u32_e32 v3, s11, v9
	s_mov_b32 s11, s15
	s_mov_b32 s1, exec_lo
                                        ; implicit-def: $vgpr4
                                        ; implicit-def: $vgpr1_vgpr2
	s_delay_alu instid0(VALU_DEP_1)
	v_cmpx_gt_u32_e64 s19, v3
; %bb.34:
	v_mov_b32_e32 v4, 0
	s_or_b32 s11, s15, exec_lo
	s_delay_alu instid0(VALU_DEP_1) | instskip(SKIP_1) | instid1(VALU_DEP_2)
	v_lshlrev_b64 v[1:2], 3, v[3:4]
	v_or_b32_e32 v4, 0x1000, v12
	v_add_co_u32 v1, vcc_lo, s4, v1
	s_delay_alu instid0(VALU_DEP_3)
	v_add_co_ci_u32_e32 v2, vcc_lo, s5, v2, vcc_lo
; %bb.35:
	s_or_b32 exec_lo, exec_lo, s1
	s_delay_alu instid0(SALU_CYCLE_1) | instskip(SKIP_1) | instid1(SALU_CYCLE_1)
	s_and_not1_b32 s1, s15, exec_lo
	s_and_b32 s4, s11, exec_lo
                                        ; implicit-def: $vgpr12
	s_or_b32 s15, s1, s4
.LBB125_36:
	s_and_not1_saveexec_b32 s0, s0
; %bb.37:
	v_lshlrev_b32_e32 v1, 3, v9
	v_or_b32_e32 v4, 0x1000, v12
	s_or_b32 s15, s15, exec_lo
	s_delay_alu instid0(VALU_DEP_2) | instskip(NEXT) | instid1(VALU_DEP_1)
	v_add_co_u32 v1, s1, s13, v1
	v_add_co_ci_u32_e64 v2, null, s14, 0, s1
; %bb.38:
	s_or_b32 exec_lo, exec_lo, s0
.LBB125_39:
	s_and_saveexec_b32 s0, s15
	s_cbranch_execz .LBB125_41
; %bb.40:
	global_load_b64 v[1:2], v[1:2], off
	s_waitcnt vmcnt(0)
	ds_store_b64 v4, v[1:2]
.LBB125_41:
	s_or_b32 exec_lo, exec_lo, s0
	v_add_nc_u32_e32 v1, s10, v6
	s_and_not1_b32 vcc_lo, exec_lo, s12
	s_waitcnt lgkmcnt(0)
	s_barrier
	buffer_gl0_inv
	s_cbranch_vccnz .LBB125_43
; %bb.42:
	v_lshlrev_b32_e32 v2, 3, v11
	s_mov_b32 s0, -1
	ds_load_b64 v[3:4], v2
	v_mov_b32_e32 v2, 0
	s_delay_alu instid0(VALU_DEP_1) | instskip(NEXT) | instid1(VALU_DEP_1)
	v_lshlrev_b64 v[12:13], 3, v[1:2]
	v_add_co_u32 v12, vcc_lo, s6, v12
	s_delay_alu instid0(VALU_DEP_2)
	v_add_co_ci_u32_e32 v13, vcc_lo, s7, v13, vcc_lo
	s_waitcnt lgkmcnt(0)
	global_store_b64 v[12:13], v[3:4], off
	s_cbranch_execz .LBB125_44
	s_branch .LBB125_49
.LBB125_43:
	s_mov_b32 s0, 0
.LBB125_44:
	s_mov_b32 s1, exec_lo
	v_cmpx_gt_u32_e64 s9, v6
	s_cbranch_execz .LBB125_46
; %bb.45:
	v_lshlrev_b32_e32 v2, 3, v11
	ds_load_b64 v[3:4], v2
	v_mov_b32_e32 v2, 0
	s_delay_alu instid0(VALU_DEP_1) | instskip(NEXT) | instid1(VALU_DEP_1)
	v_lshlrev_b64 v[11:12], 3, v[1:2]
	v_add_co_u32 v11, vcc_lo, s6, v11
	s_delay_alu instid0(VALU_DEP_2)
	v_add_co_ci_u32_e32 v12, vcc_lo, s7, v12, vcc_lo
	s_waitcnt lgkmcnt(0)
	global_store_b64 v[11:12], v[3:4], off
.LBB125_46:
	s_or_b32 exec_lo, exec_lo, s1
	v_or_b32_e32 v2, 1, v6
	s_mov_b32 s1, exec_lo
	s_delay_alu instid0(VALU_DEP_1)
	v_cmpx_gt_u32_e64 s9, v2
; %bb.47:
	v_mov_b32_e32 v2, 0
	s_or_b32 s0, s0, exec_lo
; %bb.48:
	s_or_b32 exec_lo, exec_lo, s1
.LBB125_49:
	s_and_saveexec_b32 s1, s0
	s_cbranch_execz .LBB125_51
; %bb.50:
	v_lshlrev_b32_e32 v3, 3, v10
	v_lshlrev_b64 v[1:2], 3, v[1:2]
	ds_load_b64 v[3:4], v3
	v_add_co_u32 v1, vcc_lo, s6, v1
	v_add_co_ci_u32_e32 v2, vcc_lo, s7, v2, vcc_lo
	s_waitcnt lgkmcnt(0)
	global_store_b64 v[1:2], v[3:4], off offset:8
.LBB125_51:
	s_or_b32 exec_lo, exec_lo, s1
	v_lshrrev_b32_e32 v1, 2, v0
	v_lshrrev_b32_e32 v2, 3, v0
	;; [unrolled: 1-line block ×3, first 2 shown]
	s_mov_b32 s11, 0
	s_waitcnt_vscnt null, 0x0
	v_and_b32_e32 v1, 0x7c, v1
	s_lshl_b64 s[0:1], s[10:11], 2
	v_and_b32_e32 v2, 60, v2
	v_and_b32_e32 v4, 0x7c, v3
	s_add_u32 s0, s2, s0
	v_lshl_add_u32 v1, v6, 2, v1
	s_barrier
	buffer_gl0_inv
	s_barrier
	buffer_gl0_inv
	s_addc_u32 s1, s3, s1
	ds_store_2addr_b32 v1, v7, v8 offset1:1
	v_add_co_u32 v1, s0, s0, v5
	v_add_nc_u32_e32 v3, v5, v2
	v_add_nc_u32_e32 v6, v5, v4
	v_add_co_ci_u32_e64 v2, null, s1, 0, s0
	s_and_b32 vcc_lo, exec_lo, s12
	s_waitcnt lgkmcnt(0)
	s_cbranch_vccz .LBB125_53
; %bb.52:
	s_barrier
	buffer_gl0_inv
	ds_load_b32 v5, v3
	ds_load_b32 v4, v6 offset:2048
	s_mov_b32 s11, -1
	s_waitcnt lgkmcnt(1)
	global_store_b32 v[1:2], v5, off
	s_cbranch_execz .LBB125_54
	s_branch .LBB125_57
.LBB125_53:
                                        ; implicit-def: $vgpr4
.LBB125_54:
	s_waitcnt lgkmcnt(0)
	s_waitcnt_vscnt null, 0x0
	s_barrier
	buffer_gl0_inv
	ds_load_b32 v4, v6 offset:2048
	s_sub_i32 s0, s8, s10
	s_mov_b32 s1, exec_lo
	v_cmpx_gt_u32_e64 s0, v0
	s_cbranch_execz .LBB125_56
; %bb.55:
	ds_load_b32 v0, v3
	s_waitcnt lgkmcnt(0)
	global_store_b32 v[1:2], v0, off
.LBB125_56:
	s_or_b32 exec_lo, exec_lo, s1
	v_cmp_gt_u32_e64 s11, s0, v9
.LBB125_57:
	s_delay_alu instid0(VALU_DEP_1)
	s_and_saveexec_b32 s0, s11
	s_cbranch_execz .LBB125_59
; %bb.58:
	s_waitcnt lgkmcnt(0)
	global_store_b32 v[1:2], v4, off offset:2048
.LBB125_59:
	s_nop 0
	s_sendmsg sendmsg(MSG_DEALLOC_VGPRS)
	s_endpgm
.LBB125_60:
	v_subrev_nc_u32_e32 v3, s11, v0
	s_mov_b32 s16, exec_lo
                                        ; implicit-def: $vgpr1_vgpr2
	s_delay_alu instid0(VALU_DEP_1)
	v_cmpx_gt_u32_e64 s19, v3
	s_xor_b32 s16, exec_lo, s16
; %bb.61:
	v_mov_b32_e32 v4, 0
	s_mov_b32 s1, exec_lo
	s_delay_alu instid0(VALU_DEP_1) | instskip(NEXT) | instid1(VALU_DEP_1)
	v_lshlrev_b64 v[1:2], 3, v[3:4]
	v_add_co_u32 v1, vcc_lo, s4, v1
	s_delay_alu instid0(VALU_DEP_2)
	v_add_co_ci_u32_e32 v2, vcc_lo, s5, v2, vcc_lo
; %bb.62:
	s_or_b32 exec_lo, exec_lo, s16
	s_delay_alu instid0(SALU_CYCLE_1)
	s_and_b32 s1, s1, exec_lo
	s_and_not1_saveexec_b32 s0, s0
	s_cbranch_execz .LBB125_30
.LBB125_63:
	v_lshlrev_b32_e32 v1, 3, v0
	s_or_b32 s1, s1, exec_lo
	s_delay_alu instid0(VALU_DEP_1) | instskip(NEXT) | instid1(VALU_DEP_1)
	v_add_co_u32 v1, s16, s13, v1
	v_add_co_ci_u32_e64 v2, null, s14, 0, s16
	s_or_b32 exec_lo, exec_lo, s0
	v_lshl_add_u32 v12, v0, 2, v5
	s_and_saveexec_b32 s0, s1
	s_cbranch_execnz .LBB125_31
	s_branch .LBB125_32
	.section	.rodata,"a",@progbits
	.p2align	6, 0x0
	.amdhsa_kernel _ZN7rocprim17ROCPRIM_304000_NS6detail35device_block_merge_mergepath_kernelINS1_37wrapped_merge_sort_block_merge_configINS0_14default_configEfN2at4cuda3cub6detail10OpaqueTypeILi8EEEEEPfSC_PSA_SD_jNS1_19radix_merge_compareILb1ELb0EfNS0_19identity_decomposerEEEEEvT0_T1_T2_T3_T4_SL_jT5_PKSL_NS1_7vsmem_tE
		.amdhsa_group_segment_fixed_size 8208
		.amdhsa_private_segment_fixed_size 0
		.amdhsa_kernarg_size 320
		.amdhsa_user_sgpr_count 13
		.amdhsa_user_sgpr_dispatch_ptr 0
		.amdhsa_user_sgpr_queue_ptr 0
		.amdhsa_user_sgpr_kernarg_segment_ptr 1
		.amdhsa_user_sgpr_dispatch_id 0
		.amdhsa_user_sgpr_private_segment_size 0
		.amdhsa_wavefront_size32 1
		.amdhsa_uses_dynamic_stack 0
		.amdhsa_enable_private_segment 0
		.amdhsa_system_sgpr_workgroup_id_x 1
		.amdhsa_system_sgpr_workgroup_id_y 1
		.amdhsa_system_sgpr_workgroup_id_z 1
		.amdhsa_system_sgpr_workgroup_info 0
		.amdhsa_system_vgpr_workitem_id 0
		.amdhsa_next_free_vgpr 17
		.amdhsa_next_free_sgpr 29
		.amdhsa_reserve_vcc 1
		.amdhsa_float_round_mode_32 0
		.amdhsa_float_round_mode_16_64 0
		.amdhsa_float_denorm_mode_32 3
		.amdhsa_float_denorm_mode_16_64 3
		.amdhsa_dx10_clamp 1
		.amdhsa_ieee_mode 1
		.amdhsa_fp16_overflow 0
		.amdhsa_workgroup_processor_mode 1
		.amdhsa_memory_ordered 1
		.amdhsa_forward_progress 0
		.amdhsa_shared_vgpr_count 0
		.amdhsa_exception_fp_ieee_invalid_op 0
		.amdhsa_exception_fp_denorm_src 0
		.amdhsa_exception_fp_ieee_div_zero 0
		.amdhsa_exception_fp_ieee_overflow 0
		.amdhsa_exception_fp_ieee_underflow 0
		.amdhsa_exception_fp_ieee_inexact 0
		.amdhsa_exception_int_div_zero 0
	.end_amdhsa_kernel
	.section	.text._ZN7rocprim17ROCPRIM_304000_NS6detail35device_block_merge_mergepath_kernelINS1_37wrapped_merge_sort_block_merge_configINS0_14default_configEfN2at4cuda3cub6detail10OpaqueTypeILi8EEEEEPfSC_PSA_SD_jNS1_19radix_merge_compareILb1ELb0EfNS0_19identity_decomposerEEEEEvT0_T1_T2_T3_T4_SL_jT5_PKSL_NS1_7vsmem_tE,"axG",@progbits,_ZN7rocprim17ROCPRIM_304000_NS6detail35device_block_merge_mergepath_kernelINS1_37wrapped_merge_sort_block_merge_configINS0_14default_configEfN2at4cuda3cub6detail10OpaqueTypeILi8EEEEEPfSC_PSA_SD_jNS1_19radix_merge_compareILb1ELb0EfNS0_19identity_decomposerEEEEEvT0_T1_T2_T3_T4_SL_jT5_PKSL_NS1_7vsmem_tE,comdat
.Lfunc_end125:
	.size	_ZN7rocprim17ROCPRIM_304000_NS6detail35device_block_merge_mergepath_kernelINS1_37wrapped_merge_sort_block_merge_configINS0_14default_configEfN2at4cuda3cub6detail10OpaqueTypeILi8EEEEEPfSC_PSA_SD_jNS1_19radix_merge_compareILb1ELb0EfNS0_19identity_decomposerEEEEEvT0_T1_T2_T3_T4_SL_jT5_PKSL_NS1_7vsmem_tE, .Lfunc_end125-_ZN7rocprim17ROCPRIM_304000_NS6detail35device_block_merge_mergepath_kernelINS1_37wrapped_merge_sort_block_merge_configINS0_14default_configEfN2at4cuda3cub6detail10OpaqueTypeILi8EEEEEPfSC_PSA_SD_jNS1_19radix_merge_compareILb1ELb0EfNS0_19identity_decomposerEEEEEvT0_T1_T2_T3_T4_SL_jT5_PKSL_NS1_7vsmem_tE
                                        ; -- End function
	.section	.AMDGPU.csdata,"",@progbits
; Kernel info:
; codeLenInByte = 2752
; NumSgprs: 31
; NumVgprs: 17
; ScratchSize: 0
; MemoryBound: 1
; FloatMode: 240
; IeeeMode: 1
; LDSByteSize: 8208 bytes/workgroup (compile time only)
; SGPRBlocks: 3
; VGPRBlocks: 2
; NumSGPRsForWavesPerEU: 31
; NumVGPRsForWavesPerEU: 17
; Occupancy: 16
; WaveLimiterHint : 1
; COMPUTE_PGM_RSRC2:SCRATCH_EN: 0
; COMPUTE_PGM_RSRC2:USER_SGPR: 13
; COMPUTE_PGM_RSRC2:TRAP_HANDLER: 0
; COMPUTE_PGM_RSRC2:TGID_X_EN: 1
; COMPUTE_PGM_RSRC2:TGID_Y_EN: 1
; COMPUTE_PGM_RSRC2:TGID_Z_EN: 1
; COMPUTE_PGM_RSRC2:TIDIG_COMP_CNT: 0
	.section	.text._ZN7rocprim17ROCPRIM_304000_NS6detail33device_block_merge_oddeven_kernelINS1_37wrapped_merge_sort_block_merge_configINS0_14default_configEfN2at4cuda3cub6detail10OpaqueTypeILi8EEEEEPfSC_PSA_SD_jNS1_19radix_merge_compareILb1ELb0EfNS0_19identity_decomposerEEEEEvT0_T1_T2_T3_T4_SL_T5_,"axG",@progbits,_ZN7rocprim17ROCPRIM_304000_NS6detail33device_block_merge_oddeven_kernelINS1_37wrapped_merge_sort_block_merge_configINS0_14default_configEfN2at4cuda3cub6detail10OpaqueTypeILi8EEEEEPfSC_PSA_SD_jNS1_19radix_merge_compareILb1ELb0EfNS0_19identity_decomposerEEEEEvT0_T1_T2_T3_T4_SL_T5_,comdat
	.protected	_ZN7rocprim17ROCPRIM_304000_NS6detail33device_block_merge_oddeven_kernelINS1_37wrapped_merge_sort_block_merge_configINS0_14default_configEfN2at4cuda3cub6detail10OpaqueTypeILi8EEEEEPfSC_PSA_SD_jNS1_19radix_merge_compareILb1ELb0EfNS0_19identity_decomposerEEEEEvT0_T1_T2_T3_T4_SL_T5_ ; -- Begin function _ZN7rocprim17ROCPRIM_304000_NS6detail33device_block_merge_oddeven_kernelINS1_37wrapped_merge_sort_block_merge_configINS0_14default_configEfN2at4cuda3cub6detail10OpaqueTypeILi8EEEEEPfSC_PSA_SD_jNS1_19radix_merge_compareILb1ELb0EfNS0_19identity_decomposerEEEEEvT0_T1_T2_T3_T4_SL_T5_
	.globl	_ZN7rocprim17ROCPRIM_304000_NS6detail33device_block_merge_oddeven_kernelINS1_37wrapped_merge_sort_block_merge_configINS0_14default_configEfN2at4cuda3cub6detail10OpaqueTypeILi8EEEEEPfSC_PSA_SD_jNS1_19radix_merge_compareILb1ELb0EfNS0_19identity_decomposerEEEEEvT0_T1_T2_T3_T4_SL_T5_
	.p2align	8
	.type	_ZN7rocprim17ROCPRIM_304000_NS6detail33device_block_merge_oddeven_kernelINS1_37wrapped_merge_sort_block_merge_configINS0_14default_configEfN2at4cuda3cub6detail10OpaqueTypeILi8EEEEEPfSC_PSA_SD_jNS1_19radix_merge_compareILb1ELb0EfNS0_19identity_decomposerEEEEEvT0_T1_T2_T3_T4_SL_T5_,@function
_ZN7rocprim17ROCPRIM_304000_NS6detail33device_block_merge_oddeven_kernelINS1_37wrapped_merge_sort_block_merge_configINS0_14default_configEfN2at4cuda3cub6detail10OpaqueTypeILi8EEEEEPfSC_PSA_SD_jNS1_19radix_merge_compareILb1ELb0EfNS0_19identity_decomposerEEEEEvT0_T1_T2_T3_T4_SL_T5_: ; @_ZN7rocprim17ROCPRIM_304000_NS6detail33device_block_merge_oddeven_kernelINS1_37wrapped_merge_sort_block_merge_configINS0_14default_configEfN2at4cuda3cub6detail10OpaqueTypeILi8EEEEEPfSC_PSA_SD_jNS1_19radix_merge_compareILb1ELb0EfNS0_19identity_decomposerEEEEEvT0_T1_T2_T3_T4_SL_T5_
; %bb.0:
	s_load_b64 s[16:17], s[0:1], 0x20
	s_waitcnt lgkmcnt(0)
	s_lshr_b32 s2, s16, 8
	s_delay_alu instid0(SALU_CYCLE_1) | instskip(SKIP_4) | instid1(SALU_CYCLE_1)
	s_cmp_lg_u32 s15, s2
	s_cselect_b32 s4, -1, 0
	s_cmp_eq_u32 s15, s2
	s_cselect_b32 s3, -1, 0
	s_lshl_b32 s12, s15, 8
	s_sub_i32 s2, s16, s12
	s_delay_alu instid0(SALU_CYCLE_1) | instskip(NEXT) | instid1(VALU_DEP_1)
	v_cmp_gt_u32_e64 s2, s2, v0
	s_or_b32 s4, s4, s2
	s_delay_alu instid0(SALU_CYCLE_1)
	s_and_saveexec_b32 s5, s4
	s_cbranch_execz .LBB126_26
; %bb.1:
	s_load_b256 s[4:11], s[0:1], 0x0
	s_mov_b32 s13, 0
	v_lshlrev_b32_e32 v1, 3, v0
	s_lshl_b64 s[0:1], s[12:13], 2
	v_lshlrev_b32_e32 v3, 2, v0
	v_add_nc_u32_e32 v5, s12, v0
	s_waitcnt lgkmcnt(0)
	s_add_u32 s0, s4, s0
	s_addc_u32 s1, s5, s1
	s_lshl_b64 s[18:19], s[12:13], 3
	s_delay_alu instid0(SALU_CYCLE_1) | instskip(SKIP_4) | instid1(SALU_CYCLE_1)
	s_add_u32 s8, s8, s18
	s_addc_u32 s9, s9, s19
	global_load_b64 v[1:2], v1, s[8:9]
	global_load_b32 v7, v3, s[0:1]
	s_lshr_b32 s0, s17, 8
	s_sub_i32 s1, 0, s0
	s_delay_alu instid0(SALU_CYCLE_1) | instskip(NEXT) | instid1(SALU_CYCLE_1)
	s_and_b32 s1, s15, s1
	s_and_b32 s0, s1, s0
	s_lshl_b32 s9, s1, 8
	s_sub_i32 s1, 0, s17
	s_cmp_eq_u32 s0, 0
	s_cselect_b32 s0, -1, 0
	s_delay_alu instid0(SALU_CYCLE_1) | instskip(SKIP_1) | instid1(SALU_CYCLE_1)
	s_and_b32 s8, s0, exec_lo
	s_cselect_b32 s1, s17, s1
	s_add_i32 s1, s1, s9
	s_delay_alu instid0(SALU_CYCLE_1)
	s_cmp_lt_u32 s1, s16
	s_cbranch_scc1 .LBB126_6
; %bb.2:
	s_and_b32 vcc_lo, exec_lo, s3
	s_cbranch_vccz .LBB126_7
; %bb.3:
	s_mov_b32 s8, 0
	s_mov_b32 s12, exec_lo
                                        ; implicit-def: $vgpr3_vgpr4
	v_cmpx_gt_u32_e64 s16, v5
	s_cbranch_execz .LBB126_5
; %bb.4:
	v_mov_b32_e32 v6, 0
	s_mov_b32 s13, exec_lo
	s_delay_alu instid0(VALU_DEP_1) | instskip(SKIP_1) | instid1(VALU_DEP_2)
	v_lshlrev_b64 v[3:4], 2, v[5:6]
	v_lshlrev_b64 v[8:9], 3, v[5:6]
	v_add_co_u32 v10, vcc_lo, s6, v3
	s_delay_alu instid0(VALU_DEP_3) | instskip(NEXT) | instid1(VALU_DEP_3)
	v_add_co_ci_u32_e32 v11, vcc_lo, s7, v4, vcc_lo
	v_add_co_u32 v3, vcc_lo, s10, v8
	s_delay_alu instid0(VALU_DEP_4)
	v_add_co_ci_u32_e32 v4, vcc_lo, s11, v9, vcc_lo
	s_waitcnt vmcnt(0)
	global_store_b32 v[10:11], v7, off
.LBB126_5:
	s_or_b32 exec_lo, exec_lo, s12
	s_delay_alu instid0(SALU_CYCLE_1)
	s_and_b32 vcc_lo, exec_lo, s8
	s_cbranch_vccnz .LBB126_8
	s_branch .LBB126_9
.LBB126_6:
                                        ; implicit-def: $vgpr3_vgpr4
	s_cbranch_execnz .LBB126_10
	s_branch .LBB126_24
.LBB126_7:
                                        ; implicit-def: $vgpr3_vgpr4
	s_cbranch_execz .LBB126_9
.LBB126_8:
	v_mov_b32_e32 v6, 0
	s_or_b32 s13, s13, exec_lo
	s_delay_alu instid0(VALU_DEP_1) | instskip(SKIP_1) | instid1(VALU_DEP_2)
	v_lshlrev_b64 v[3:4], 2, v[5:6]
	v_lshlrev_b64 v[8:9], 3, v[5:6]
	v_add_co_u32 v10, vcc_lo, s6, v3
	s_delay_alu instid0(VALU_DEP_3) | instskip(NEXT) | instid1(VALU_DEP_3)
	v_add_co_ci_u32_e32 v11, vcc_lo, s7, v4, vcc_lo
	v_add_co_u32 v3, vcc_lo, s10, v8
	s_delay_alu instid0(VALU_DEP_4)
	v_add_co_ci_u32_e32 v4, vcc_lo, s11, v9, vcc_lo
	s_waitcnt vmcnt(0)
	global_store_b32 v[10:11], v7, off
.LBB126_9:
	s_branch .LBB126_24
.LBB126_10:
	s_min_u32 s8, s1, s16
	s_and_b32 vcc_lo, exec_lo, s3
	s_add_i32 s12, s9, s8
	s_min_u32 s9, s9, s8
	v_subrev_nc_u32_e32 v0, s12, v5
	s_add_i32 s12, s8, s17
	s_delay_alu instid0(SALU_CYCLE_1) | instskip(NEXT) | instid1(VALU_DEP_1)
	s_min_u32 s3, s12, s16
	v_add_nc_u32_e32 v0, s9, v0
	s_cbranch_vccz .LBB126_18
; %bb.11:
                                        ; implicit-def: $vgpr3_vgpr4
	s_and_saveexec_b32 s9, s2
	s_cbranch_execz .LBB126_17
; %bb.12:
	v_mov_b32_e32 v5, s8
	s_cmp_ge_u32 s1, s3
	s_cbranch_scc1 .LBB126_16
; %bb.13:
	s_waitcnt vmcnt(0)
	v_cmp_ne_u32_e32 vcc_lo, 0x80000000, v7
	v_mov_b32_e32 v5, s8
	s_mov_b32 s2, 0
	v_dual_mov_b32 v6, s3 :: v_dual_cndmask_b32 v3, 0, v7
	s_delay_alu instid0(VALU_DEP_1) | instskip(SKIP_1) | instid1(VALU_DEP_1)
	v_cmp_lt_i32_e32 vcc_lo, -1, v3
	v_cndmask_b32_e64 v4, -1, 0x80000000, vcc_lo
	v_xor_b32_e32 v8, v4, v3
	v_mov_b32_e32 v4, 0
	s_set_inst_prefetch_distance 0x1
	.p2align	6
.LBB126_14:                             ; =>This Inner Loop Header: Depth=1
	v_add_nc_u32_e32 v3, v5, v6
	s_delay_alu instid0(VALU_DEP_1) | instskip(NEXT) | instid1(VALU_DEP_1)
	v_lshrrev_b32_e32 v3, 1, v3
	v_lshlrev_b64 v[9:10], 2, v[3:4]
	s_delay_alu instid0(VALU_DEP_1) | instskip(NEXT) | instid1(VALU_DEP_2)
	v_add_co_u32 v9, vcc_lo, s4, v9
	v_add_co_ci_u32_e32 v10, vcc_lo, s5, v10, vcc_lo
	global_load_b32 v9, v[9:10], off
	s_waitcnt vmcnt(0)
	v_cmp_ne_u32_e32 vcc_lo, 0x80000000, v9
	v_cndmask_b32_e32 v9, 0, v9, vcc_lo
	s_delay_alu instid0(VALU_DEP_1) | instskip(SKIP_1) | instid1(VALU_DEP_1)
	v_cmp_lt_i32_e32 vcc_lo, -1, v9
	v_cndmask_b32_e64 v10, -1, 0x80000000, vcc_lo
	v_xor_b32_e32 v9, v10, v9
	s_delay_alu instid0(VALU_DEP_1) | instskip(SKIP_3) | instid1(VALU_DEP_1)
	v_cmp_gt_u32_e32 vcc_lo, v9, v8
	v_cndmask_b32_e64 v10, 0, 1, vcc_lo
	v_cmp_le_u32_e32 vcc_lo, v8, v9
	v_cndmask_b32_e64 v9, 0, 1, vcc_lo
	v_cndmask_b32_e64 v9, v9, v10, s0
	v_add_nc_u32_e32 v10, 1, v3
	s_delay_alu instid0(VALU_DEP_2) | instskip(NEXT) | instid1(VALU_DEP_1)
	v_and_b32_e32 v9, 1, v9
	v_cmp_eq_u32_e32 vcc_lo, 1, v9
	v_cndmask_b32_e32 v6, v3, v6, vcc_lo
	s_delay_alu instid0(VALU_DEP_4) | instskip(NEXT) | instid1(VALU_DEP_1)
	v_cndmask_b32_e32 v5, v5, v10, vcc_lo
	v_cmp_ge_u32_e32 vcc_lo, v5, v6
	s_or_b32 s2, vcc_lo, s2
	s_delay_alu instid0(SALU_CYCLE_1)
	s_and_not1_b32 exec_lo, exec_lo, s2
	s_cbranch_execnz .LBB126_14
; %bb.15:
	s_set_inst_prefetch_distance 0x2
	s_or_b32 exec_lo, exec_lo, s2
.LBB126_16:
	s_delay_alu instid0(VALU_DEP_1) | instskip(SKIP_1) | instid1(VALU_DEP_1)
	v_dual_mov_b32 v4, 0 :: v_dual_add_nc_u32 v3, v5, v0
	s_or_b32 s13, s13, exec_lo
	v_lshlrev_b64 v[5:6], 2, v[3:4]
	v_lshlrev_b64 v[3:4], 3, v[3:4]
	s_delay_alu instid0(VALU_DEP_2) | instskip(NEXT) | instid1(VALU_DEP_3)
	v_add_co_u32 v5, vcc_lo, s6, v5
	v_add_co_ci_u32_e32 v6, vcc_lo, s7, v6, vcc_lo
	s_delay_alu instid0(VALU_DEP_3) | instskip(NEXT) | instid1(VALU_DEP_4)
	v_add_co_u32 v3, vcc_lo, s10, v3
	v_add_co_ci_u32_e32 v4, vcc_lo, s11, v4, vcc_lo
	s_waitcnt vmcnt(0)
	global_store_b32 v[5:6], v7, off
.LBB126_17:
	s_or_b32 exec_lo, exec_lo, s9
	s_branch .LBB126_24
.LBB126_18:
                                        ; implicit-def: $vgpr3_vgpr4
	s_cbranch_execz .LBB126_24
; %bb.19:
	v_mov_b32_e32 v5, s8
	s_cmp_ge_u32 s1, s3
	s_cbranch_scc1 .LBB126_23
; %bb.20:
	s_waitcnt vmcnt(0)
	v_cmp_ne_u32_e32 vcc_lo, 0x80000000, v7
	v_mov_b32_e32 v5, s8
	s_mov_b32 s1, 0
	v_dual_mov_b32 v6, s3 :: v_dual_cndmask_b32 v3, 0, v7
	s_delay_alu instid0(VALU_DEP_1) | instskip(SKIP_1) | instid1(VALU_DEP_1)
	v_cmp_lt_i32_e32 vcc_lo, -1, v3
	v_cndmask_b32_e64 v4, -1, 0x80000000, vcc_lo
	v_xor_b32_e32 v8, v4, v3
	v_mov_b32_e32 v4, 0
	s_set_inst_prefetch_distance 0x1
	.p2align	6
.LBB126_21:                             ; =>This Inner Loop Header: Depth=1
	v_add_nc_u32_e32 v3, v5, v6
	s_delay_alu instid0(VALU_DEP_1) | instskip(NEXT) | instid1(VALU_DEP_1)
	v_lshrrev_b32_e32 v3, 1, v3
	v_lshlrev_b64 v[9:10], 2, v[3:4]
	s_delay_alu instid0(VALU_DEP_1) | instskip(NEXT) | instid1(VALU_DEP_2)
	v_add_co_u32 v9, vcc_lo, s4, v9
	v_add_co_ci_u32_e32 v10, vcc_lo, s5, v10, vcc_lo
	global_load_b32 v9, v[9:10], off
	s_waitcnt vmcnt(0)
	v_cmp_ne_u32_e32 vcc_lo, 0x80000000, v9
	v_cndmask_b32_e32 v9, 0, v9, vcc_lo
	s_delay_alu instid0(VALU_DEP_1) | instskip(SKIP_1) | instid1(VALU_DEP_1)
	v_cmp_lt_i32_e32 vcc_lo, -1, v9
	v_cndmask_b32_e64 v10, -1, 0x80000000, vcc_lo
	v_xor_b32_e32 v9, v10, v9
	s_delay_alu instid0(VALU_DEP_1) | instskip(SKIP_3) | instid1(VALU_DEP_1)
	v_cmp_gt_u32_e32 vcc_lo, v9, v8
	v_cndmask_b32_e64 v10, 0, 1, vcc_lo
	v_cmp_le_u32_e32 vcc_lo, v8, v9
	v_cndmask_b32_e64 v9, 0, 1, vcc_lo
	v_cndmask_b32_e64 v9, v9, v10, s0
	v_add_nc_u32_e32 v10, 1, v3
	s_delay_alu instid0(VALU_DEP_2) | instskip(NEXT) | instid1(VALU_DEP_1)
	v_and_b32_e32 v9, 1, v9
	v_cmp_eq_u32_e32 vcc_lo, 1, v9
	v_cndmask_b32_e32 v6, v3, v6, vcc_lo
	s_delay_alu instid0(VALU_DEP_4) | instskip(NEXT) | instid1(VALU_DEP_1)
	v_cndmask_b32_e32 v5, v5, v10, vcc_lo
	v_cmp_ge_u32_e32 vcc_lo, v5, v6
	s_or_b32 s1, vcc_lo, s1
	s_delay_alu instid0(SALU_CYCLE_1)
	s_and_not1_b32 exec_lo, exec_lo, s1
	s_cbranch_execnz .LBB126_21
; %bb.22:
	s_set_inst_prefetch_distance 0x2
	s_or_b32 exec_lo, exec_lo, s1
.LBB126_23:
	s_delay_alu instid0(VALU_DEP_1) | instskip(SKIP_1) | instid1(VALU_DEP_1)
	v_dual_mov_b32 v4, 0 :: v_dual_add_nc_u32 v3, v5, v0
	s_mov_b32 s13, -1
	v_lshlrev_b64 v[5:6], 2, v[3:4]
	v_lshlrev_b64 v[3:4], 3, v[3:4]
	s_delay_alu instid0(VALU_DEP_2) | instskip(NEXT) | instid1(VALU_DEP_3)
	v_add_co_u32 v5, vcc_lo, s6, v5
	v_add_co_ci_u32_e32 v6, vcc_lo, s7, v6, vcc_lo
	s_delay_alu instid0(VALU_DEP_3) | instskip(NEXT) | instid1(VALU_DEP_4)
	v_add_co_u32 v3, vcc_lo, s10, v3
	v_add_co_ci_u32_e32 v4, vcc_lo, s11, v4, vcc_lo
	s_waitcnt vmcnt(0)
	global_store_b32 v[5:6], v7, off
.LBB126_24:
	s_and_b32 exec_lo, exec_lo, s13
	s_cbranch_execz .LBB126_26
; %bb.25:
	s_waitcnt vmcnt(1)
	global_store_b64 v[3:4], v[1:2], off
.LBB126_26:
	s_nop 0
	s_sendmsg sendmsg(MSG_DEALLOC_VGPRS)
	s_endpgm
	.section	.rodata,"a",@progbits
	.p2align	6, 0x0
	.amdhsa_kernel _ZN7rocprim17ROCPRIM_304000_NS6detail33device_block_merge_oddeven_kernelINS1_37wrapped_merge_sort_block_merge_configINS0_14default_configEfN2at4cuda3cub6detail10OpaqueTypeILi8EEEEEPfSC_PSA_SD_jNS1_19radix_merge_compareILb1ELb0EfNS0_19identity_decomposerEEEEEvT0_T1_T2_T3_T4_SL_T5_
		.amdhsa_group_segment_fixed_size 0
		.amdhsa_private_segment_fixed_size 0
		.amdhsa_kernarg_size 44
		.amdhsa_user_sgpr_count 15
		.amdhsa_user_sgpr_dispatch_ptr 0
		.amdhsa_user_sgpr_queue_ptr 0
		.amdhsa_user_sgpr_kernarg_segment_ptr 1
		.amdhsa_user_sgpr_dispatch_id 0
		.amdhsa_user_sgpr_private_segment_size 0
		.amdhsa_wavefront_size32 1
		.amdhsa_uses_dynamic_stack 0
		.amdhsa_enable_private_segment 0
		.amdhsa_system_sgpr_workgroup_id_x 1
		.amdhsa_system_sgpr_workgroup_id_y 0
		.amdhsa_system_sgpr_workgroup_id_z 0
		.amdhsa_system_sgpr_workgroup_info 0
		.amdhsa_system_vgpr_workitem_id 0
		.amdhsa_next_free_vgpr 12
		.amdhsa_next_free_sgpr 20
		.amdhsa_reserve_vcc 1
		.amdhsa_float_round_mode_32 0
		.amdhsa_float_round_mode_16_64 0
		.amdhsa_float_denorm_mode_32 3
		.amdhsa_float_denorm_mode_16_64 3
		.amdhsa_dx10_clamp 1
		.amdhsa_ieee_mode 1
		.amdhsa_fp16_overflow 0
		.amdhsa_workgroup_processor_mode 1
		.amdhsa_memory_ordered 1
		.amdhsa_forward_progress 0
		.amdhsa_shared_vgpr_count 0
		.amdhsa_exception_fp_ieee_invalid_op 0
		.amdhsa_exception_fp_denorm_src 0
		.amdhsa_exception_fp_ieee_div_zero 0
		.amdhsa_exception_fp_ieee_overflow 0
		.amdhsa_exception_fp_ieee_underflow 0
		.amdhsa_exception_fp_ieee_inexact 0
		.amdhsa_exception_int_div_zero 0
	.end_amdhsa_kernel
	.section	.text._ZN7rocprim17ROCPRIM_304000_NS6detail33device_block_merge_oddeven_kernelINS1_37wrapped_merge_sort_block_merge_configINS0_14default_configEfN2at4cuda3cub6detail10OpaqueTypeILi8EEEEEPfSC_PSA_SD_jNS1_19radix_merge_compareILb1ELb0EfNS0_19identity_decomposerEEEEEvT0_T1_T2_T3_T4_SL_T5_,"axG",@progbits,_ZN7rocprim17ROCPRIM_304000_NS6detail33device_block_merge_oddeven_kernelINS1_37wrapped_merge_sort_block_merge_configINS0_14default_configEfN2at4cuda3cub6detail10OpaqueTypeILi8EEEEEPfSC_PSA_SD_jNS1_19radix_merge_compareILb1ELb0EfNS0_19identity_decomposerEEEEEvT0_T1_T2_T3_T4_SL_T5_,comdat
.Lfunc_end126:
	.size	_ZN7rocprim17ROCPRIM_304000_NS6detail33device_block_merge_oddeven_kernelINS1_37wrapped_merge_sort_block_merge_configINS0_14default_configEfN2at4cuda3cub6detail10OpaqueTypeILi8EEEEEPfSC_PSA_SD_jNS1_19radix_merge_compareILb1ELb0EfNS0_19identity_decomposerEEEEEvT0_T1_T2_T3_T4_SL_T5_, .Lfunc_end126-_ZN7rocprim17ROCPRIM_304000_NS6detail33device_block_merge_oddeven_kernelINS1_37wrapped_merge_sort_block_merge_configINS0_14default_configEfN2at4cuda3cub6detail10OpaqueTypeILi8EEEEEPfSC_PSA_SD_jNS1_19radix_merge_compareILb1ELb0EfNS0_19identity_decomposerEEEEEvT0_T1_T2_T3_T4_SL_T5_
                                        ; -- End function
	.section	.AMDGPU.csdata,"",@progbits
; Kernel info:
; codeLenInByte = 1156
; NumSgprs: 22
; NumVgprs: 12
; ScratchSize: 0
; MemoryBound: 0
; FloatMode: 240
; IeeeMode: 1
; LDSByteSize: 0 bytes/workgroup (compile time only)
; SGPRBlocks: 2
; VGPRBlocks: 1
; NumSGPRsForWavesPerEU: 22
; NumVGPRsForWavesPerEU: 12
; Occupancy: 16
; WaveLimiterHint : 0
; COMPUTE_PGM_RSRC2:SCRATCH_EN: 0
; COMPUTE_PGM_RSRC2:USER_SGPR: 15
; COMPUTE_PGM_RSRC2:TRAP_HANDLER: 0
; COMPUTE_PGM_RSRC2:TGID_X_EN: 1
; COMPUTE_PGM_RSRC2:TGID_Y_EN: 0
; COMPUTE_PGM_RSRC2:TGID_Z_EN: 0
; COMPUTE_PGM_RSRC2:TIDIG_COMP_CNT: 0
	.section	.text._ZN7rocprim17ROCPRIM_304000_NS6detail16transform_kernelINS1_24wrapped_transform_configINS0_14default_configEfEEfPfS6_NS0_8identityIfEEEEvT1_mT2_T3_,"axG",@progbits,_ZN7rocprim17ROCPRIM_304000_NS6detail16transform_kernelINS1_24wrapped_transform_configINS0_14default_configEfEEfPfS6_NS0_8identityIfEEEEvT1_mT2_T3_,comdat
	.protected	_ZN7rocprim17ROCPRIM_304000_NS6detail16transform_kernelINS1_24wrapped_transform_configINS0_14default_configEfEEfPfS6_NS0_8identityIfEEEEvT1_mT2_T3_ ; -- Begin function _ZN7rocprim17ROCPRIM_304000_NS6detail16transform_kernelINS1_24wrapped_transform_configINS0_14default_configEfEEfPfS6_NS0_8identityIfEEEEvT1_mT2_T3_
	.globl	_ZN7rocprim17ROCPRIM_304000_NS6detail16transform_kernelINS1_24wrapped_transform_configINS0_14default_configEfEEfPfS6_NS0_8identityIfEEEEvT1_mT2_T3_
	.p2align	8
	.type	_ZN7rocprim17ROCPRIM_304000_NS6detail16transform_kernelINS1_24wrapped_transform_configINS0_14default_configEfEEfPfS6_NS0_8identityIfEEEEvT1_mT2_T3_,@function
_ZN7rocprim17ROCPRIM_304000_NS6detail16transform_kernelINS1_24wrapped_transform_configINS0_14default_configEfEEfPfS6_NS0_8identityIfEEEEvT1_mT2_T3_: ; @_ZN7rocprim17ROCPRIM_304000_NS6detail16transform_kernelINS1_24wrapped_transform_configINS0_14default_configEfEEfPfS6_NS0_8identityIfEEEEvT1_mT2_T3_
; %bb.0:
	s_clause 0x2
	s_load_b32 s3, s[0:1], 0x20
	s_load_b128 s[4:7], s[0:1], 0x0
	s_load_b64 s[0:1], s[0:1], 0x10
	v_lshlrev_b32_e32 v1, 2, v0
	s_lshl_b32 s2, s15, 10
	s_waitcnt lgkmcnt(0)
	s_add_i32 s7, s3, -1
	s_mov_b32 s3, 0
	s_cmp_lg_u32 s15, s7
	s_mov_b32 s7, -1
	s_cbranch_scc0 .LBB127_2
; %bb.1:
	s_lshl_b64 s[8:9], s[2:3], 2
	s_mov_b32 s7, s3
	s_add_u32 s10, s4, s8
	s_addc_u32 s11, s5, s9
	s_add_u32 s8, s0, s8
	global_load_b32 v2, v1, s[10:11]
	s_addc_u32 s9, s1, s9
	s_waitcnt vmcnt(0)
	global_store_b32 v1, v2, s[8:9]
.LBB127_2:
	s_and_not1_b32 vcc_lo, exec_lo, s7
	s_cbranch_vccnz .LBB127_7
; %bb.3:
	s_sub_i32 s6, s6, s2
	s_delay_alu instid0(SALU_CYCLE_1)
	v_cmp_gt_u32_e32 vcc_lo, s6, v0
                                        ; implicit-def: $vgpr0
	s_and_saveexec_b32 s6, vcc_lo
	s_cbranch_execz .LBB127_5
; %bb.4:
	s_lshl_b64 s[8:9], s[2:3], 2
	s_delay_alu instid0(SALU_CYCLE_1)
	s_add_u32 s4, s4, s8
	s_addc_u32 s5, s5, s9
	global_load_b32 v0, v1, s[4:5]
.LBB127_5:
	s_or_b32 exec_lo, exec_lo, s6
	s_and_saveexec_b32 s4, vcc_lo
	s_cbranch_execz .LBB127_7
; %bb.6:
	s_lshl_b64 s[2:3], s[2:3], 2
	s_delay_alu instid0(SALU_CYCLE_1)
	s_add_u32 s0, s0, s2
	s_addc_u32 s1, s1, s3
	s_waitcnt vmcnt(0)
	global_store_b32 v1, v0, s[0:1]
.LBB127_7:
	s_nop 0
	s_sendmsg sendmsg(MSG_DEALLOC_VGPRS)
	s_endpgm
	.section	.rodata,"a",@progbits
	.p2align	6, 0x0
	.amdhsa_kernel _ZN7rocprim17ROCPRIM_304000_NS6detail16transform_kernelINS1_24wrapped_transform_configINS0_14default_configEfEEfPfS6_NS0_8identityIfEEEEvT1_mT2_T3_
		.amdhsa_group_segment_fixed_size 0
		.amdhsa_private_segment_fixed_size 0
		.amdhsa_kernarg_size 288
		.amdhsa_user_sgpr_count 15
		.amdhsa_user_sgpr_dispatch_ptr 0
		.amdhsa_user_sgpr_queue_ptr 0
		.amdhsa_user_sgpr_kernarg_segment_ptr 1
		.amdhsa_user_sgpr_dispatch_id 0
		.amdhsa_user_sgpr_private_segment_size 0
		.amdhsa_wavefront_size32 1
		.amdhsa_uses_dynamic_stack 0
		.amdhsa_enable_private_segment 0
		.amdhsa_system_sgpr_workgroup_id_x 1
		.amdhsa_system_sgpr_workgroup_id_y 0
		.amdhsa_system_sgpr_workgroup_id_z 0
		.amdhsa_system_sgpr_workgroup_info 0
		.amdhsa_system_vgpr_workitem_id 0
		.amdhsa_next_free_vgpr 3
		.amdhsa_next_free_sgpr 16
		.amdhsa_reserve_vcc 1
		.amdhsa_float_round_mode_32 0
		.amdhsa_float_round_mode_16_64 0
		.amdhsa_float_denorm_mode_32 3
		.amdhsa_float_denorm_mode_16_64 3
		.amdhsa_dx10_clamp 1
		.amdhsa_ieee_mode 1
		.amdhsa_fp16_overflow 0
		.amdhsa_workgroup_processor_mode 1
		.amdhsa_memory_ordered 1
		.amdhsa_forward_progress 0
		.amdhsa_shared_vgpr_count 0
		.amdhsa_exception_fp_ieee_invalid_op 0
		.amdhsa_exception_fp_denorm_src 0
		.amdhsa_exception_fp_ieee_div_zero 0
		.amdhsa_exception_fp_ieee_overflow 0
		.amdhsa_exception_fp_ieee_underflow 0
		.amdhsa_exception_fp_ieee_inexact 0
		.amdhsa_exception_int_div_zero 0
	.end_amdhsa_kernel
	.section	.text._ZN7rocprim17ROCPRIM_304000_NS6detail16transform_kernelINS1_24wrapped_transform_configINS0_14default_configEfEEfPfS6_NS0_8identityIfEEEEvT1_mT2_T3_,"axG",@progbits,_ZN7rocprim17ROCPRIM_304000_NS6detail16transform_kernelINS1_24wrapped_transform_configINS0_14default_configEfEEfPfS6_NS0_8identityIfEEEEvT1_mT2_T3_,comdat
.Lfunc_end127:
	.size	_ZN7rocprim17ROCPRIM_304000_NS6detail16transform_kernelINS1_24wrapped_transform_configINS0_14default_configEfEEfPfS6_NS0_8identityIfEEEEvT1_mT2_T3_, .Lfunc_end127-_ZN7rocprim17ROCPRIM_304000_NS6detail16transform_kernelINS1_24wrapped_transform_configINS0_14default_configEfEEfPfS6_NS0_8identityIfEEEEvT1_mT2_T3_
                                        ; -- End function
	.section	.AMDGPU.csdata,"",@progbits
; Kernel info:
; codeLenInByte = 208
; NumSgprs: 18
; NumVgprs: 3
; ScratchSize: 0
; MemoryBound: 0
; FloatMode: 240
; IeeeMode: 1
; LDSByteSize: 0 bytes/workgroup (compile time only)
; SGPRBlocks: 2
; VGPRBlocks: 0
; NumSGPRsForWavesPerEU: 18
; NumVGPRsForWavesPerEU: 3
; Occupancy: 16
; WaveLimiterHint : 0
; COMPUTE_PGM_RSRC2:SCRATCH_EN: 0
; COMPUTE_PGM_RSRC2:USER_SGPR: 15
; COMPUTE_PGM_RSRC2:TRAP_HANDLER: 0
; COMPUTE_PGM_RSRC2:TGID_X_EN: 1
; COMPUTE_PGM_RSRC2:TGID_Y_EN: 0
; COMPUTE_PGM_RSRC2:TGID_Z_EN: 0
; COMPUTE_PGM_RSRC2:TIDIG_COMP_CNT: 0
	.section	.text._ZN7rocprim17ROCPRIM_304000_NS6detail26onesweep_histograms_kernelINS1_34wrapped_radix_sort_onesweep_configINS0_14default_configEfN2at4cuda3cub6detail10OpaqueTypeILi8EEEEELb1EPKfmNS0_19identity_decomposerEEEvT1_PT2_SG_SG_T3_jj,"axG",@progbits,_ZN7rocprim17ROCPRIM_304000_NS6detail26onesweep_histograms_kernelINS1_34wrapped_radix_sort_onesweep_configINS0_14default_configEfN2at4cuda3cub6detail10OpaqueTypeILi8EEEEELb1EPKfmNS0_19identity_decomposerEEEvT1_PT2_SG_SG_T3_jj,comdat
	.protected	_ZN7rocprim17ROCPRIM_304000_NS6detail26onesweep_histograms_kernelINS1_34wrapped_radix_sort_onesweep_configINS0_14default_configEfN2at4cuda3cub6detail10OpaqueTypeILi8EEEEELb1EPKfmNS0_19identity_decomposerEEEvT1_PT2_SG_SG_T3_jj ; -- Begin function _ZN7rocprim17ROCPRIM_304000_NS6detail26onesweep_histograms_kernelINS1_34wrapped_radix_sort_onesweep_configINS0_14default_configEfN2at4cuda3cub6detail10OpaqueTypeILi8EEEEELb1EPKfmNS0_19identity_decomposerEEEvT1_PT2_SG_SG_T3_jj
	.globl	_ZN7rocprim17ROCPRIM_304000_NS6detail26onesweep_histograms_kernelINS1_34wrapped_radix_sort_onesweep_configINS0_14default_configEfN2at4cuda3cub6detail10OpaqueTypeILi8EEEEELb1EPKfmNS0_19identity_decomposerEEEvT1_PT2_SG_SG_T3_jj
	.p2align	8
	.type	_ZN7rocprim17ROCPRIM_304000_NS6detail26onesweep_histograms_kernelINS1_34wrapped_radix_sort_onesweep_configINS0_14default_configEfN2at4cuda3cub6detail10OpaqueTypeILi8EEEEELb1EPKfmNS0_19identity_decomposerEEEvT1_PT2_SG_SG_T3_jj,@function
_ZN7rocprim17ROCPRIM_304000_NS6detail26onesweep_histograms_kernelINS1_34wrapped_radix_sort_onesweep_configINS0_14default_configEfN2at4cuda3cub6detail10OpaqueTypeILi8EEEEELb1EPKfmNS0_19identity_decomposerEEEvT1_PT2_SG_SG_T3_jj: ; @_ZN7rocprim17ROCPRIM_304000_NS6detail26onesweep_histograms_kernelINS1_34wrapped_radix_sort_onesweep_configINS0_14default_configEfN2at4cuda3cub6detail10OpaqueTypeILi8EEEEELb1EPKfmNS0_19identity_decomposerEEEvT1_PT2_SG_SG_T3_jj
; %bb.0:
	s_clause 0x1
	s_load_b256 s[4:11], s[0:1], 0x0
	s_load_b64 s[12:13], s[0:1], 0x24
	s_mov_b32 s2, s15
	s_mov_b32 s3, 0
	v_lshlrev_b32_e32 v7, 2, v0
	s_lshl_b64 s[0:1], s[2:3], 14
	s_waitcnt lgkmcnt(0)
	v_cmp_ge_u64_e64 s9, s[2:3], s[10:11]
	s_add_u32 s4, s4, s0
	s_addc_u32 s5, s5, s1
	s_mov_b32 s0, -1
	s_delay_alu instid0(VALU_DEP_1)
	s_and_b32 vcc_lo, exec_lo, s9
	s_cbranch_vccz .LBB128_34
; %bb.1:
	v_lshlrev_b32_e32 v8, 2, v0
	s_lshl_b32 s0, s10, 12
                                        ; implicit-def: $vgpr1_vgpr2_vgpr3_vgpr4
	s_delay_alu instid0(SALU_CYCLE_1) | instskip(NEXT) | instid1(SALU_CYCLE_1)
	s_sub_i32 s3, s8, s0
	v_cmp_gt_u32_e64 s2, s3, v0
	s_delay_alu instid0(VALU_DEP_2) | instskip(NEXT) | instid1(VALU_DEP_1)
	v_add_co_u32 v5, s0, s4, v8
	v_add_co_ci_u32_e64 v6, null, s5, 0, s0
	s_delay_alu instid0(VALU_DEP_3)
	s_and_saveexec_b32 s0, s2
	s_cbranch_execz .LBB128_3
; %bb.2:
	global_load_b32 v1, v[5:6], off
.LBB128_3:
	s_or_b32 exec_lo, exec_lo, s0
	v_or_b32_e32 v9, 0x400, v0
	s_delay_alu instid0(VALU_DEP_1) | instskip(NEXT) | instid1(VALU_DEP_1)
	v_cmp_gt_u32_e64 s1, s3, v9
	s_and_saveexec_b32 s0, s1
	s_cbranch_execz .LBB128_5
; %bb.4:
	v_add_co_u32 v9, vcc_lo, 0x1000, v5
	v_add_co_ci_u32_e32 v10, vcc_lo, 0, v6, vcc_lo
	global_load_b32 v2, v[9:10], off
.LBB128_5:
	s_or_b32 exec_lo, exec_lo, s0
	v_or_b32_e32 v9, 0x800, v0
	s_delay_alu instid0(VALU_DEP_1) | instskip(NEXT) | instid1(VALU_DEP_1)
	v_cmp_gt_u32_e64 s0, s3, v9
	s_and_saveexec_b32 s8, s0
	s_cbranch_execz .LBB128_7
; %bb.6:
	v_add_co_u32 v9, vcc_lo, 0x2000, v5
	v_add_co_ci_u32_e32 v10, vcc_lo, 0, v6, vcc_lo
	global_load_b32 v3, v[9:10], off
.LBB128_7:
	s_or_b32 exec_lo, exec_lo, s8
	v_or_b32_e32 v9, 0xc00, v0
	s_delay_alu instid0(VALU_DEP_1)
	v_cmp_gt_u32_e32 vcc_lo, s3, v9
	s_and_saveexec_b32 s8, vcc_lo
	s_cbranch_execz .LBB128_9
; %bb.8:
	v_add_co_u32 v4, s3, 0x3000, v5
	s_delay_alu instid0(VALU_DEP_1)
	v_add_co_ci_u32_e64 v5, s3, 0, v6, s3
	global_load_b32 v4, v[4:5], off
.LBB128_9:
	s_or_b32 exec_lo, exec_lo, s8
	v_or_b32_e32 v5, 0xfffffc00, v0
	v_mov_b32_e32 v6, 0
	s_mov_b32 s8, 0
.LBB128_10:                             ; =>This Inner Loop Header: Depth=1
	s_delay_alu instid0(VALU_DEP_2) | instskip(SKIP_3) | instid1(VALU_DEP_1)
	v_add_nc_u32_e32 v5, 0x400, v5
	ds_store_b32 v8, v6
	v_add_nc_u32_e32 v8, 0x1000, v8
	v_cmp_lt_u32_e64 s3, 0xbff, v5
	s_or_b32 s8, s3, s8
	s_delay_alu instid0(SALU_CYCLE_1)
	s_and_not1_b32 exec_lo, exec_lo, s8
	s_cbranch_execnz .LBB128_10
; %bb.11:
	s_or_b32 exec_lo, exec_lo, s8
	s_cmp_gt_u32 s13, s12
	s_waitcnt vmcnt(0) lgkmcnt(0)
	s_cselect_b32 s8, -1, 0
	s_cmp_le_u32 s13, s12
	s_barrier
	buffer_gl0_inv
	s_cbranch_scc1 .LBB128_28
; %bb.12:
	v_cmp_gt_i32_e64 s3, 0, v1
	v_and_b32_e32 v6, 3, v0
	s_sub_i32 s9, s13, s12
	s_mov_b32 s10, s12
	s_delay_alu instid0(VALU_DEP_2) | instskip(NEXT) | instid1(VALU_DEP_1)
	v_cndmask_b32_e64 v5, 0x7fffffff, 0, s3
	v_xor_b32_e32 v8, v5, v1
	v_mov_b32_e32 v5, 1
	v_lshlrev_b32_e32 v1, 2, v6
	s_delay_alu instid0(VALU_DEP_3) | instskip(NEXT) | instid1(VALU_DEP_1)
	v_cmp_ne_u32_e64 s3, 0x80000000, v8
	v_cndmask_b32_e64 v6, 0x7fffffff, v8, s3
	s_delay_alu instid0(VALU_DEP_3)
	v_mov_b32_e32 v8, v1
	s_mov_b32 s3, s9
	s_branch .LBB128_14
	.p2align	6
.LBB128_13:                             ;   in Loop: Header=BB128_14 Depth=1
	s_or_b32 exec_lo, exec_lo, s11
	v_add_nc_u32_e32 v8, 0x1000, v8
	s_add_i32 s10, s10, 8
	s_add_i32 s3, s3, -8
	s_cmp_ge_u32 s10, s13
	s_cbranch_scc1 .LBB128_16
.LBB128_14:                             ; =>This Inner Loop Header: Depth=1
	s_and_saveexec_b32 s11, s2
	s_cbranch_execz .LBB128_13
; %bb.15:                               ;   in Loop: Header=BB128_14 Depth=1
	v_lshrrev_b32_e32 v9, s10, v6
	s_min_u32 s14, s3, 8
	s_delay_alu instid0(VALU_DEP_1) | instid1(SALU_CYCLE_1)
	v_bfe_u32 v9, v9, 0, s14
	s_delay_alu instid0(VALU_DEP_1)
	v_lshl_add_u32 v9, v9, 4, v8
	ds_add_u32 v9, v5
	s_branch .LBB128_13
.LBB128_16:
	v_cmp_gt_i32_e64 s2, 0, v2
	v_mov_b32_e32 v6, v1
	s_mov_b32 s3, s12
	s_delay_alu instid0(VALU_DEP_2) | instskip(NEXT) | instid1(VALU_DEP_1)
	v_cndmask_b32_e64 v5, 0x7fffffff, 0, s2
	v_xor_b32_e32 v5, v5, v2
	v_mov_b32_e32 v2, 1
	s_delay_alu instid0(VALU_DEP_2) | instskip(NEXT) | instid1(VALU_DEP_1)
	v_cmp_ne_u32_e64 s2, 0x80000000, v5
	v_cndmask_b32_e64 v5, 0x7fffffff, v5, s2
	s_mov_b32 s2, s9
	s_branch .LBB128_18
	.p2align	6
.LBB128_17:                             ;   in Loop: Header=BB128_18 Depth=1
	s_or_b32 exec_lo, exec_lo, s10
	v_add_nc_u32_e32 v6, 0x1000, v6
	s_add_i32 s3, s3, 8
	s_add_i32 s2, s2, -8
	s_cmp_lt_u32 s3, s13
	s_cbranch_scc0 .LBB128_20
.LBB128_18:                             ; =>This Inner Loop Header: Depth=1
	s_and_saveexec_b32 s10, s1
	s_cbranch_execz .LBB128_17
; %bb.19:                               ;   in Loop: Header=BB128_18 Depth=1
	v_lshrrev_b32_e32 v8, s3, v5
	s_min_u32 s11, s2, 8
	s_delay_alu instid0(VALU_DEP_1) | instid1(SALU_CYCLE_1)
	v_bfe_u32 v8, v8, 0, s11
	s_delay_alu instid0(VALU_DEP_1)
	v_lshl_add_u32 v8, v8, 4, v6
	ds_add_u32 v8, v2
	s_branch .LBB128_17
.LBB128_20:
	v_cmp_gt_i32_e64 s1, 0, v3
	s_mov_b32 s2, s12
	v_mov_b32_e32 v5, v1
	s_delay_alu instid0(VALU_DEP_2) | instskip(NEXT) | instid1(VALU_DEP_1)
	v_cndmask_b32_e64 v2, 0x7fffffff, 0, s1
	v_xor_b32_e32 v3, v2, v3
	v_mov_b32_e32 v2, 1
	s_delay_alu instid0(VALU_DEP_2) | instskip(NEXT) | instid1(VALU_DEP_1)
	v_cmp_ne_u32_e64 s1, 0x80000000, v3
	v_cndmask_b32_e64 v3, 0x7fffffff, v3, s1
	s_mov_b32 s1, s9
	s_branch .LBB128_22
	.p2align	6
.LBB128_21:                             ;   in Loop: Header=BB128_22 Depth=1
	s_or_b32 exec_lo, exec_lo, s3
	v_add_nc_u32_e32 v5, 0x1000, v5
	s_add_i32 s2, s2, 8
	s_add_i32 s1, s1, -8
	s_cmp_lt_u32 s2, s13
	s_cbranch_scc0 .LBB128_24
.LBB128_22:                             ; =>This Inner Loop Header: Depth=1
	s_and_saveexec_b32 s3, s0
	s_cbranch_execz .LBB128_21
; %bb.23:                               ;   in Loop: Header=BB128_22 Depth=1
	v_lshrrev_b32_e32 v6, s2, v3
	s_min_u32 s10, s1, 8
	s_delay_alu instid0(VALU_DEP_1) | instid1(SALU_CYCLE_1)
	v_bfe_u32 v6, v6, 0, s10
	s_delay_alu instid0(VALU_DEP_1)
	v_lshl_add_u32 v6, v6, 4, v5
	ds_add_u32 v6, v2
	s_branch .LBB128_21
.LBB128_24:
	v_cmp_gt_i32_e64 s0, 0, v4
	v_mov_b32_e32 v3, 1
	s_delay_alu instid0(VALU_DEP_2) | instskip(NEXT) | instid1(VALU_DEP_1)
	v_cndmask_b32_e64 v2, 0x7fffffff, 0, s0
	v_xor_b32_e32 v2, v2, v4
	s_delay_alu instid0(VALU_DEP_1) | instskip(NEXT) | instid1(VALU_DEP_1)
	v_cmp_ne_u32_e64 s0, 0x80000000, v2
	v_cndmask_b32_e64 v2, 0x7fffffff, v2, s0
	s_mov_b32 s0, s12
	s_branch .LBB128_26
	.p2align	6
.LBB128_25:                             ;   in Loop: Header=BB128_26 Depth=1
	s_or_b32 exec_lo, exec_lo, s1
	v_add_nc_u32_e32 v1, 0x1000, v1
	s_add_i32 s0, s0, 8
	s_add_i32 s9, s9, -8
	s_cmp_lt_u32 s0, s13
	s_cbranch_scc0 .LBB128_28
.LBB128_26:                             ; =>This Inner Loop Header: Depth=1
	s_and_saveexec_b32 s1, vcc_lo
	s_cbranch_execz .LBB128_25
; %bb.27:                               ;   in Loop: Header=BB128_26 Depth=1
	v_lshrrev_b32_e32 v4, s0, v2
	s_min_u32 s2, s9, 8
	s_delay_alu instid0(VALU_DEP_1) | instid1(SALU_CYCLE_1)
	v_bfe_u32 v4, v4, 0, s2
	s_delay_alu instid0(VALU_DEP_1)
	v_lshl_add_u32 v4, v4, 4, v1
	ds_add_u32 v4, v3
	s_branch .LBB128_25
.LBB128_28:
	s_and_b32 vcc_lo, exec_lo, s8
	s_waitcnt lgkmcnt(0)
	s_barrier
	buffer_gl0_inv
	s_cbranch_vccz .LBB128_33
; %bb.29:
	v_cmp_gt_u32_e32 vcc_lo, 0x100, v0
	v_dual_mov_b32 v2, 0 :: v_dual_lshlrev_b32 v3, 4, v0
	v_mov_b32_e32 v1, v0
	s_mov_b32 s1, s12
	s_set_inst_prefetch_distance 0x1
	s_branch .LBB128_31
	.p2align	6
.LBB128_30:                             ;   in Loop: Header=BB128_31 Depth=1
	s_or_b32 exec_lo, exec_lo, s2
	v_add_nc_u32_e32 v1, 0x100, v1
	v_add_nc_u32_e32 v3, 0x1000, v3
	s_add_i32 s1, s1, 8
	s_delay_alu instid0(SALU_CYCLE_1)
	s_cmp_lt_u32 s1, s13
	s_cbranch_scc0 .LBB128_33
.LBB128_31:                             ; =>This Inner Loop Header: Depth=1
	s_and_saveexec_b32 s2, vcc_lo
	s_cbranch_execz .LBB128_30
; %bb.32:                               ;   in Loop: Header=BB128_31 Depth=1
	ds_load_2addr_b32 v[4:5], v3 offset1:1
	ds_load_2addr_b32 v[8:9], v3 offset0:2 offset1:3
	v_lshlrev_b64 v[10:11], 3, v[1:2]
	s_waitcnt lgkmcnt(1)
	v_add_nc_u32_e32 v6, v5, v4
	s_delay_alu instid0(VALU_DEP_2) | instskip(NEXT) | instid1(VALU_DEP_1)
	v_add_co_u32 v4, s0, s6, v10
	v_add_co_ci_u32_e64 v5, s0, s7, v11, s0
	s_waitcnt lgkmcnt(0)
	s_delay_alu instid0(VALU_DEP_3)
	v_add3_u32 v8, v6, v8, v9
	v_mov_b32_e32 v9, v2
	global_atomic_add_u64 v[4:5], v[8:9], off
	s_branch .LBB128_30
.LBB128_33:
	s_set_inst_prefetch_distance 0x2
	s_mov_b32 s0, 0
.LBB128_34:
	s_delay_alu instid0(SALU_CYCLE_1)
	s_and_b32 vcc_lo, exec_lo, s0
	s_cbranch_vccz .LBB128_58
; %bb.35:
	v_add_co_u32 v3, s0, s4, v7
	s_delay_alu instid0(VALU_DEP_1) | instskip(SKIP_1) | instid1(VALU_DEP_2)
	v_add_co_ci_u32_e64 v4, null, s5, 0, s0
	s_cmp_eq_u32 s12, 0
	v_add_co_u32 v1, vcc_lo, v3, 0x2000
	s_delay_alu instid0(VALU_DEP_2)
	v_add_co_ci_u32_e32 v2, vcc_lo, 0, v4, vcc_lo
	v_add_co_u32 v8, vcc_lo, 0x3000, v3
	v_add_co_ci_u32_e32 v9, vcc_lo, 0, v4, vcc_lo
	s_clause 0x3
	global_load_b32 v6, v7, s[4:5]
	global_load_b32 v3, v[1:2], off
	global_load_b32 v4, v[1:2], off offset:-4096
	global_load_b32 v5, v[8:9], off
	s_cselect_b32 s0, -1, 0
	s_cmp_eq_u32 s13, 32
	v_or_b32_e32 v8, 0xfffffc00, v0
	s_cselect_b32 s1, -1, 0
	s_delay_alu instid0(SALU_CYCLE_1)
	s_and_b32 s1, s0, s1
	s_mov_b32 s0, 0
	s_and_b32 vcc_lo, exec_lo, s1
	s_mov_b32 s1, -1
	s_cbranch_vccnz .LBB128_53
; %bb.36:
	v_or_b32_e32 v1, 0xfffffc00, v0
	v_mov_b32_e32 v2, 0
.LBB128_37:                             ; =>This Inner Loop Header: Depth=1
	s_delay_alu instid0(VALU_DEP_2) | instskip(SKIP_4) | instid1(SALU_CYCLE_1)
	v_add_nc_u32_e32 v1, 0x400, v1
	ds_store_b32 v7, v2
	v_add_nc_u32_e32 v7, 0x1000, v7
	v_cmp_lt_u32_e32 vcc_lo, 0xbff, v1
	s_or_b32 s0, vcc_lo, s0
	s_and_not1_b32 exec_lo, exec_lo, s0
	s_cbranch_execnz .LBB128_37
; %bb.38:
	s_or_b32 exec_lo, exec_lo, s0
	s_cmp_gt_u32 s13, s12
	s_waitcnt vmcnt(0) lgkmcnt(0)
	s_waitcnt_vscnt null, 0x0
	s_cselect_b32 s0, -1, 0
	s_cmp_le_u32 s13, s12
	s_barrier
	buffer_gl0_inv
	s_cbranch_scc1 .LBB128_47
; %bb.39:
	v_cmp_gt_i32_e32 vcc_lo, 0, v6
	s_sub_i32 s1, s13, s12
	s_mov_b32 s3, s12
	s_mov_b32 s2, s1
	v_cndmask_b32_e64 v1, 0x7fffffff, 0, vcc_lo
	s_delay_alu instid0(VALU_DEP_1) | instskip(NEXT) | instid1(VALU_DEP_1)
	v_xor_b32_e32 v7, v1, v6
	v_cmp_ne_u32_e32 vcc_lo, 0x80000000, v7
	v_dual_cndmask_b32 v7, 0x7fffffff, v7 :: v_dual_and_b32 v2, 3, v0
	s_delay_alu instid0(VALU_DEP_1) | instskip(NEXT) | instid1(VALU_DEP_1)
	v_dual_mov_b32 v2, 1 :: v_dual_lshlrev_b32 v1, 2, v2
	v_mov_b32_e32 v9, v1
.LBB128_40:                             ; =>This Inner Loop Header: Depth=1
	s_delay_alu instid0(VALU_DEP_3)
	v_lshrrev_b32_e32 v10, s3, v7
	s_min_u32 s4, s2, 8
	s_add_i32 s3, s3, 8
	s_add_i32 s2, s2, -8
	s_cmp_ge_u32 s3, s13
	v_bfe_u32 v10, v10, 0, s4
	s_delay_alu instid0(VALU_DEP_1)
	v_lshl_add_u32 v10, v10, 4, v9
	v_add_nc_u32_e32 v9, 0x1000, v9
	ds_add_u32 v10, v2
	s_cbranch_scc0 .LBB128_40
; %bb.41:
	v_cmp_gt_i32_e32 vcc_lo, 0, v4
	v_mov_b32_e32 v9, v1
	s_mov_b32 s2, s1
	s_mov_b32 s3, s12
	v_cndmask_b32_e64 v2, 0x7fffffff, 0, vcc_lo
	s_delay_alu instid0(VALU_DEP_1) | instskip(NEXT) | instid1(VALU_DEP_1)
	v_xor_b32_e32 v7, v2, v4
	v_cmp_ne_u32_e32 vcc_lo, 0x80000000, v7
	v_dual_mov_b32 v2, 1 :: v_dual_cndmask_b32 v7, 0x7fffffff, v7
.LBB128_42:                             ; =>This Inner Loop Header: Depth=1
	s_delay_alu instid0(VALU_DEP_1)
	v_lshrrev_b32_e32 v10, s3, v7
	s_min_u32 s4, s2, 8
	s_add_i32 s3, s3, 8
	s_add_i32 s2, s2, -8
	s_cmp_lt_u32 s3, s13
	v_bfe_u32 v10, v10, 0, s4
	s_delay_alu instid0(VALU_DEP_1)
	v_lshl_add_u32 v10, v10, 4, v9
	v_add_nc_u32_e32 v9, 0x1000, v9
	ds_add_u32 v10, v2
	s_cbranch_scc1 .LBB128_42
; %bb.43:
	v_cmp_gt_i32_e32 vcc_lo, 0, v3
	v_mov_b32_e32 v9, v1
	s_mov_b32 s2, s1
	s_mov_b32 s3, s12
	v_cndmask_b32_e64 v2, 0x7fffffff, 0, vcc_lo
	s_delay_alu instid0(VALU_DEP_1) | instskip(NEXT) | instid1(VALU_DEP_1)
	v_xor_b32_e32 v7, v2, v3
	v_cmp_ne_u32_e32 vcc_lo, 0x80000000, v7
	v_dual_mov_b32 v2, 1 :: v_dual_cndmask_b32 v7, 0x7fffffff, v7
.LBB128_44:                             ; =>This Inner Loop Header: Depth=1
	s_delay_alu instid0(VALU_DEP_1)
	v_lshrrev_b32_e32 v10, s3, v7
	s_min_u32 s4, s2, 8
	s_add_i32 s3, s3, 8
	s_add_i32 s2, s2, -8
	s_cmp_lt_u32 s3, s13
	v_bfe_u32 v10, v10, 0, s4
	s_delay_alu instid0(VALU_DEP_1)
	v_lshl_add_u32 v10, v10, 4, v9
	v_add_nc_u32_e32 v9, 0x1000, v9
	ds_add_u32 v10, v2
	s_cbranch_scc1 .LBB128_44
; %bb.45:
	v_cmp_gt_i32_e32 vcc_lo, 0, v5
	s_mov_b32 s2, s12
	v_mov_b32_e32 v7, 1
	v_cndmask_b32_e64 v2, 0x7fffffff, 0, vcc_lo
	s_delay_alu instid0(VALU_DEP_1) | instskip(NEXT) | instid1(VALU_DEP_1)
	v_xor_b32_e32 v2, v2, v5
	v_cmp_ne_u32_e32 vcc_lo, 0x80000000, v2
	v_cndmask_b32_e32 v2, 0x7fffffff, v2, vcc_lo
.LBB128_46:                             ; =>This Inner Loop Header: Depth=1
	s_delay_alu instid0(VALU_DEP_1)
	v_lshrrev_b32_e32 v9, s2, v2
	s_min_u32 s3, s1, 8
	s_add_i32 s2, s2, 8
	s_add_i32 s1, s1, -8
	s_cmp_lt_u32 s2, s13
	v_bfe_u32 v9, v9, 0, s3
	s_delay_alu instid0(VALU_DEP_1)
	v_lshl_add_u32 v9, v9, 4, v1
	v_add_nc_u32_e32 v1, 0x1000, v1
	ds_add_u32 v9, v7
	s_cbranch_scc1 .LBB128_46
.LBB128_47:
	s_and_b32 vcc_lo, exec_lo, s0
	s_waitcnt lgkmcnt(0)
	s_barrier
	buffer_gl0_inv
	s_cbranch_vccz .LBB128_52
; %bb.48:
	v_cmp_gt_u32_e32 vcc_lo, 0x100, v0
	v_dual_mov_b32 v2, 0 :: v_dual_lshlrev_b32 v7, 4, v0
	v_mov_b32_e32 v1, v0
	s_set_inst_prefetch_distance 0x1
	s_branch .LBB128_50
	.p2align	6
.LBB128_49:                             ;   in Loop: Header=BB128_50 Depth=1
	s_or_b32 exec_lo, exec_lo, s1
	v_add_nc_u32_e32 v1, 0x100, v1
	v_add_nc_u32_e32 v7, 0x1000, v7
	s_add_i32 s12, s12, 8
	s_delay_alu instid0(SALU_CYCLE_1)
	s_cmp_ge_u32 s12, s13
	s_cbranch_scc1 .LBB128_52
.LBB128_50:                             ; =>This Inner Loop Header: Depth=1
	s_and_saveexec_b32 s1, vcc_lo
	s_cbranch_execz .LBB128_49
; %bb.51:                               ;   in Loop: Header=BB128_50 Depth=1
	ds_load_2addr_b32 v[9:10], v7 offset1:1
	ds_load_2addr_b32 v[11:12], v7 offset0:2 offset1:3
	v_lshlrev_b64 v[13:14], 3, v[1:2]
	s_waitcnt lgkmcnt(1)
	v_add_nc_u32_e32 v15, v10, v9
	s_delay_alu instid0(VALU_DEP_2) | instskip(NEXT) | instid1(VALU_DEP_1)
	v_add_co_u32 v9, s0, s6, v13
	v_add_co_ci_u32_e64 v10, s0, s7, v14, s0
	s_waitcnt lgkmcnt(0)
	s_delay_alu instid0(VALU_DEP_3)
	v_add3_u32 v11, v15, v11, v12
	v_mov_b32_e32 v12, v2
	global_atomic_add_u64 v[9:10], v[11:12], off
	s_branch .LBB128_49
.LBB128_52:
	s_set_inst_prefetch_distance 0x2
	s_mov_b32 s1, 0
.LBB128_53:
	s_delay_alu instid0(SALU_CYCLE_1)
	s_and_b32 vcc_lo, exec_lo, s1
	s_cbranch_vccz .LBB128_58
; %bb.54:
	v_dual_mov_b32 v2, 0 :: v_dual_lshlrev_b32 v1, 2, v0
	s_mov_b32 s0, 0
	s_delay_alu instid0(VALU_DEP_1)
	v_mov_b32_e32 v7, v1
.LBB128_55:                             ; =>This Inner Loop Header: Depth=1
	v_add_nc_u32_e32 v8, 0x400, v8
	ds_store_b32 v7, v2
	v_add_nc_u32_e32 v7, 0x1000, v7
	v_cmp_lt_u32_e32 vcc_lo, 0xbff, v8
	s_or_b32 s0, vcc_lo, s0
	s_delay_alu instid0(SALU_CYCLE_1)
	s_and_not1_b32 exec_lo, exec_lo, s0
	s_cbranch_execnz .LBB128_55
; %bb.56:
	s_or_b32 exec_lo, exec_lo, s0
	s_waitcnt vmcnt(3)
	v_cmp_gt_i32_e32 vcc_lo, 0, v6
	s_waitcnt vmcnt(0) lgkmcnt(0)
	s_waitcnt_vscnt null, 0x0
	s_barrier
	buffer_gl0_inv
	s_mov_b32 s0, exec_lo
	v_cndmask_b32_e64 v2, 0x7fffffff, 0, vcc_lo
	v_mov_b32_e32 v11, 1
	s_delay_alu instid0(VALU_DEP_2) | instskip(NEXT) | instid1(VALU_DEP_1)
	v_xor_b32_e32 v2, v2, v6
	v_cmp_ne_u32_e32 vcc_lo, 0x80000000, v2
	v_cndmask_b32_e32 v2, 0x7fffffff, v2, vcc_lo
	v_cmp_gt_i32_e32 vcc_lo, 0, v4
	v_cndmask_b32_e64 v6, 0x7fffffff, 0, vcc_lo
	v_cmp_gt_i32_e32 vcc_lo, 0, v3
	s_delay_alu instid0(VALU_DEP_2) | instskip(SKIP_2) | instid1(VALU_DEP_2)
	v_xor_b32_e32 v4, v6, v4
	v_cndmask_b32_e64 v7, 0x7fffffff, 0, vcc_lo
	v_cmp_gt_i32_e32 vcc_lo, 0, v5
	v_xor_b32_e32 v3, v7, v3
	v_cndmask_b32_e64 v10, 0x7fffffff, 0, vcc_lo
	v_cmp_ne_u32_e32 vcc_lo, 0x80000000, v4
	v_lshlrev_b32_e32 v9, 2, v2
	v_lshrrev_b32_e32 v7, 6, v2
	s_delay_alu instid0(VALU_DEP_4) | instskip(SKIP_3) | instid1(VALU_DEP_3)
	v_xor_b32_e32 v5, v10, v5
	v_cndmask_b32_e32 v4, 0x7fffffff, v4, vcc_lo
	v_cmp_ne_u32_e32 vcc_lo, 0x80000000, v3
	v_and_b32_e32 v8, 3, v0
	v_lshrrev_b32_e32 v10, 6, v4
	v_cndmask_b32_e32 v3, 0x7fffffff, v3, vcc_lo
	s_delay_alu instid0(VALU_DEP_3)
	v_and_or_b32 v6, 0x3fc, v9, v8
	v_cmp_ne_u32_e32 vcc_lo, 0x80000000, v5
	v_lshrrev_b32_e32 v9, 14, v2
	v_lshrrev_b32_e32 v2, 22, v2
	v_and_or_b32 v7, 0x3fc, v7, v8
	v_dual_cndmask_b32 v5, 0x7fffffff, v5 :: v_dual_lshlrev_b32 v6, 2, v6
	s_delay_alu instid0(VALU_DEP_4) | instskip(NEXT) | instid1(VALU_DEP_4)
	v_and_or_b32 v9, 0x3fc, v9, v8
	v_and_or_b32 v2, 0x3fc, v2, v8
	s_delay_alu instid0(VALU_DEP_4)
	v_lshlrev_b32_e32 v7, 2, v7
	ds_add_u32 v6, v11
	v_lshlrev_b32_e32 v6, 2, v4
	v_lshlrev_b32_e32 v9, 2, v9
	v_and_or_b32 v10, 0x3fc, v10, v8
	v_lshlrev_b32_e32 v2, 2, v2
	ds_add_u32 v7, v11 offset:4096
	ds_add_u32 v9, v11 offset:8192
	;; [unrolled: 1-line block ×3, first 2 shown]
	v_and_or_b32 v6, 0x3fc, v6, v8
	v_lshrrev_b32_e32 v7, 14, v4
	v_lshrrev_b32_e32 v4, 22, v4
	;; [unrolled: 1-line block ×3, first 2 shown]
	s_delay_alu instid0(VALU_DEP_4)
	v_lshlrev_b32_e32 v2, 2, v6
	v_lshlrev_b32_e32 v6, 2, v10
	ds_add_u32 v2, v11
	ds_add_u32 v6, v11 offset:4096
	v_and_or_b32 v2, 0x3fc, v7, v8
	v_lshlrev_b32_e32 v6, 2, v3
	v_and_or_b32 v4, 0x3fc, v4, v8
	v_lshrrev_b32_e32 v7, 6, v3
	v_and_or_b32 v9, 0x3fc, v9, v8
	v_lshlrev_b32_e32 v2, 2, v2
	v_and_or_b32 v6, 0x3fc, v6, v8
	v_lshlrev_b32_e32 v4, 2, v4
	v_and_or_b32 v7, 0x3fc, v7, v8
	ds_add_u32 v2, v11 offset:8192
	ds_add_u32 v4, v11 offset:12288
	v_lshlrev_b32_e32 v2, 2, v6
	v_lshlrev_b32_e32 v4, 2, v7
	;; [unrolled: 1-line block ×3, first 2 shown]
	ds_add_u32 v2, v11
	ds_add_u32 v4, v11 offset:4096
	ds_add_u32 v6, v11 offset:8192
	v_lshrrev_b32_e32 v2, 22, v3
	v_lshlrev_b32_e32 v3, 2, v5
	v_lshrrev_b32_e32 v4, 6, v5
	v_lshrrev_b32_e32 v6, 14, v5
	v_lshrrev_b32_e32 v5, 22, v5
	v_and_or_b32 v2, 0x3fc, v2, v8
	v_and_or_b32 v3, 0x3fc, v3, v8
	v_and_or_b32 v4, 0x3fc, v4, v8
	v_and_or_b32 v6, 0x3fc, v6, v8
	v_and_or_b32 v5, 0x3fc, v5, v8
	v_lshlrev_b32_e32 v2, 2, v2
	v_lshlrev_b32_e32 v3, 2, v3
	;; [unrolled: 1-line block ×5, first 2 shown]
	ds_add_u32 v2, v11 offset:12288
	ds_add_u32 v3, v11
	ds_add_u32 v4, v11 offset:4096
	ds_add_u32 v6, v11 offset:8192
	;; [unrolled: 1-line block ×3, first 2 shown]
	s_waitcnt lgkmcnt(0)
	s_barrier
	buffer_gl0_inv
	v_cmpx_gt_u32_e32 0x100, v0
	s_cbranch_execz .LBB128_58
; %bb.57:
	v_lshlrev_b32_e32 v6, 2, v1
	v_lshlrev_b32_e32 v7, 3, v0
	ds_load_2addr_b32 v[1:2], v6 offset1:1
	ds_load_2addr_b32 v[3:4], v6 offset0:2 offset1:3
	s_waitcnt lgkmcnt(1)
	v_dual_mov_b32 v1, 0 :: v_dual_add_nc_u32 v2, v2, v1
	s_waitcnt lgkmcnt(0)
	s_delay_alu instid0(VALU_DEP_1)
	v_add3_u32 v0, v2, v3, v4
	v_add_nc_u32_e32 v2, 0x1000, v6
	v_add_nc_u32_e32 v4, 0x1008, v6
	global_atomic_add_u64 v7, v[0:1], s[6:7]
	ds_load_2addr_b32 v[2:3], v2 offset1:1
	ds_load_2addr_b32 v[4:5], v4 offset1:1
	s_waitcnt lgkmcnt(1)
	v_add_nc_u32_e32 v0, v3, v2
	v_add_nc_u32_e32 v2, 0x2000, v6
	s_waitcnt lgkmcnt(0)
	s_delay_alu instid0(VALU_DEP_2)
	v_add3_u32 v0, v0, v4, v5
	v_add_nc_u32_e32 v4, 0x2008, v6
	global_atomic_add_u64 v7, v[0:1], s[6:7] offset:2048
	ds_load_2addr_b32 v[2:3], v2 offset1:1
	ds_load_2addr_b32 v[4:5], v4 offset1:1
	s_waitcnt lgkmcnt(1)
	v_add_nc_u32_e32 v0, v3, v2
	v_or_b32_e32 v2, 0x1000, v7
	v_add_nc_u32_e32 v3, 0x3000, v6
	s_waitcnt lgkmcnt(0)
	s_delay_alu instid0(VALU_DEP_3)
	v_add3_u32 v0, v0, v4, v5
	v_add_nc_u32_e32 v4, 0x3008, v6
	global_atomic_add_u64 v2, v[0:1], s[6:7]
	ds_load_2addr_b32 v[2:3], v3 offset1:1
	ds_load_2addr_b32 v[4:5], v4 offset1:1
	s_waitcnt lgkmcnt(1)
	v_add_nc_u32_e32 v0, v3, v2
	v_or_b32_e32 v2, 0x1800, v7
	s_waitcnt lgkmcnt(0)
	s_delay_alu instid0(VALU_DEP_2)
	v_add3_u32 v0, v0, v4, v5
	global_atomic_add_u64 v2, v[0:1], s[6:7]
.LBB128_58:
	s_nop 0
	s_sendmsg sendmsg(MSG_DEALLOC_VGPRS)
	s_endpgm
	.section	.rodata,"a",@progbits
	.p2align	6, 0x0
	.amdhsa_kernel _ZN7rocprim17ROCPRIM_304000_NS6detail26onesweep_histograms_kernelINS1_34wrapped_radix_sort_onesweep_configINS0_14default_configEfN2at4cuda3cub6detail10OpaqueTypeILi8EEEEELb1EPKfmNS0_19identity_decomposerEEEvT1_PT2_SG_SG_T3_jj
		.amdhsa_group_segment_fixed_size 16384
		.amdhsa_private_segment_fixed_size 0
		.amdhsa_kernarg_size 44
		.amdhsa_user_sgpr_count 15
		.amdhsa_user_sgpr_dispatch_ptr 0
		.amdhsa_user_sgpr_queue_ptr 0
		.amdhsa_user_sgpr_kernarg_segment_ptr 1
		.amdhsa_user_sgpr_dispatch_id 0
		.amdhsa_user_sgpr_private_segment_size 0
		.amdhsa_wavefront_size32 1
		.amdhsa_uses_dynamic_stack 0
		.amdhsa_enable_private_segment 0
		.amdhsa_system_sgpr_workgroup_id_x 1
		.amdhsa_system_sgpr_workgroup_id_y 0
		.amdhsa_system_sgpr_workgroup_id_z 0
		.amdhsa_system_sgpr_workgroup_info 0
		.amdhsa_system_vgpr_workitem_id 0
		.amdhsa_next_free_vgpr 16
		.amdhsa_next_free_sgpr 16
		.amdhsa_reserve_vcc 1
		.amdhsa_float_round_mode_32 0
		.amdhsa_float_round_mode_16_64 0
		.amdhsa_float_denorm_mode_32 3
		.amdhsa_float_denorm_mode_16_64 3
		.amdhsa_dx10_clamp 1
		.amdhsa_ieee_mode 1
		.amdhsa_fp16_overflow 0
		.amdhsa_workgroup_processor_mode 1
		.amdhsa_memory_ordered 1
		.amdhsa_forward_progress 0
		.amdhsa_shared_vgpr_count 0
		.amdhsa_exception_fp_ieee_invalid_op 0
		.amdhsa_exception_fp_denorm_src 0
		.amdhsa_exception_fp_ieee_div_zero 0
		.amdhsa_exception_fp_ieee_overflow 0
		.amdhsa_exception_fp_ieee_underflow 0
		.amdhsa_exception_fp_ieee_inexact 0
		.amdhsa_exception_int_div_zero 0
	.end_amdhsa_kernel
	.section	.text._ZN7rocprim17ROCPRIM_304000_NS6detail26onesweep_histograms_kernelINS1_34wrapped_radix_sort_onesweep_configINS0_14default_configEfN2at4cuda3cub6detail10OpaqueTypeILi8EEEEELb1EPKfmNS0_19identity_decomposerEEEvT1_PT2_SG_SG_T3_jj,"axG",@progbits,_ZN7rocprim17ROCPRIM_304000_NS6detail26onesweep_histograms_kernelINS1_34wrapped_radix_sort_onesweep_configINS0_14default_configEfN2at4cuda3cub6detail10OpaqueTypeILi8EEEEELb1EPKfmNS0_19identity_decomposerEEEvT1_PT2_SG_SG_T3_jj,comdat
.Lfunc_end128:
	.size	_ZN7rocprim17ROCPRIM_304000_NS6detail26onesweep_histograms_kernelINS1_34wrapped_radix_sort_onesweep_configINS0_14default_configEfN2at4cuda3cub6detail10OpaqueTypeILi8EEEEELb1EPKfmNS0_19identity_decomposerEEEvT1_PT2_SG_SG_T3_jj, .Lfunc_end128-_ZN7rocprim17ROCPRIM_304000_NS6detail26onesweep_histograms_kernelINS1_34wrapped_radix_sort_onesweep_configINS0_14default_configEfN2at4cuda3cub6detail10OpaqueTypeILi8EEEEELb1EPKfmNS0_19identity_decomposerEEEvT1_PT2_SG_SG_T3_jj
                                        ; -- End function
	.section	.AMDGPU.csdata,"",@progbits
; Kernel info:
; codeLenInByte = 3220
; NumSgprs: 18
; NumVgprs: 16
; ScratchSize: 0
; MemoryBound: 0
; FloatMode: 240
; IeeeMode: 1
; LDSByteSize: 16384 bytes/workgroup (compile time only)
; SGPRBlocks: 2
; VGPRBlocks: 1
; NumSGPRsForWavesPerEU: 18
; NumVGPRsForWavesPerEU: 16
; Occupancy: 16
; WaveLimiterHint : 1
; COMPUTE_PGM_RSRC2:SCRATCH_EN: 0
; COMPUTE_PGM_RSRC2:USER_SGPR: 15
; COMPUTE_PGM_RSRC2:TRAP_HANDLER: 0
; COMPUTE_PGM_RSRC2:TGID_X_EN: 1
; COMPUTE_PGM_RSRC2:TGID_Y_EN: 0
; COMPUTE_PGM_RSRC2:TGID_Z_EN: 0
; COMPUTE_PGM_RSRC2:TIDIG_COMP_CNT: 0
	.section	.text._ZN7rocprim17ROCPRIM_304000_NS6detail31onesweep_scan_histograms_kernelINS1_34wrapped_radix_sort_onesweep_configINS0_14default_configEfN2at4cuda3cub6detail10OpaqueTypeILi8EEEEEmEEvPT0_,"axG",@progbits,_ZN7rocprim17ROCPRIM_304000_NS6detail31onesweep_scan_histograms_kernelINS1_34wrapped_radix_sort_onesweep_configINS0_14default_configEfN2at4cuda3cub6detail10OpaqueTypeILi8EEEEEmEEvPT0_,comdat
	.protected	_ZN7rocprim17ROCPRIM_304000_NS6detail31onesweep_scan_histograms_kernelINS1_34wrapped_radix_sort_onesweep_configINS0_14default_configEfN2at4cuda3cub6detail10OpaqueTypeILi8EEEEEmEEvPT0_ ; -- Begin function _ZN7rocprim17ROCPRIM_304000_NS6detail31onesweep_scan_histograms_kernelINS1_34wrapped_radix_sort_onesweep_configINS0_14default_configEfN2at4cuda3cub6detail10OpaqueTypeILi8EEEEEmEEvPT0_
	.globl	_ZN7rocprim17ROCPRIM_304000_NS6detail31onesweep_scan_histograms_kernelINS1_34wrapped_radix_sort_onesweep_configINS0_14default_configEfN2at4cuda3cub6detail10OpaqueTypeILi8EEEEEmEEvPT0_
	.p2align	8
	.type	_ZN7rocprim17ROCPRIM_304000_NS6detail31onesweep_scan_histograms_kernelINS1_34wrapped_radix_sort_onesweep_configINS0_14default_configEfN2at4cuda3cub6detail10OpaqueTypeILi8EEEEEmEEvPT0_,@function
_ZN7rocprim17ROCPRIM_304000_NS6detail31onesweep_scan_histograms_kernelINS1_34wrapped_radix_sort_onesweep_configINS0_14default_configEfN2at4cuda3cub6detail10OpaqueTypeILi8EEEEEmEEvPT0_: ; @_ZN7rocprim17ROCPRIM_304000_NS6detail31onesweep_scan_histograms_kernelINS1_34wrapped_radix_sort_onesweep_configINS0_14default_configEfN2at4cuda3cub6detail10OpaqueTypeILi8EEEEEmEEvPT0_
; %bb.0:
	s_load_b64 s[0:1], s[0:1], 0x0
	s_lshl_b32 s2, s15, 8
	s_mov_b32 s3, 0
	v_cmp_gt_u32_e32 vcc_lo, 0x100, v0
	s_lshl_b64 s[2:3], s[2:3], 3
	v_lshlrev_b32_e32 v5, 3, v0
                                        ; implicit-def: $vgpr1_vgpr2
	s_waitcnt lgkmcnt(0)
	s_add_u32 s8, s0, s2
	s_addc_u32 s9, s1, s3
	s_and_saveexec_b32 s0, vcc_lo
	s_cbranch_execz .LBB129_2
; %bb.1:
	global_load_b64 v[1:2], v5, s[8:9]
.LBB129_2:
	s_or_b32 exec_lo, exec_lo, s0
	v_mbcnt_lo_u32_b32 v6, -1, 0
	s_waitcnt vmcnt(0)
	v_mov_b32_dpp v8, v1 row_shr:1 row_mask:0xf bank_mask:0xf
	v_mov_b32_dpp v7, v2 row_shr:1 row_mask:0xf bank_mask:0xf
	s_delay_alu instid0(VALU_DEP_3) | instskip(NEXT) | instid1(VALU_DEP_1)
	v_dual_mov_b32 v3, v1 :: v_dual_and_b32 v4, 15, v6
	v_cmp_ne_u32_e64 s0, 0, v4
	s_delay_alu instid0(VALU_DEP_1)
	s_and_saveexec_b32 s2, s0
; %bb.3:
	v_add_co_u32 v3, s1, v1, v8
	s_delay_alu instid0(VALU_DEP_1) | instskip(NEXT) | instid1(VALU_DEP_2)
	v_add_co_ci_u32_e64 v2, s1, 0, v2, s1
	v_add_co_u32 v1, s1, 0, v3
	s_delay_alu instid0(VALU_DEP_1)
	v_add_co_ci_u32_e64 v2, s1, v7, v2, s1
; %bb.4:
	s_or_b32 exec_lo, exec_lo, s2
	v_mov_b32_dpp v8, v3 row_shr:2 row_mask:0xf bank_mask:0xf
	s_delay_alu instid0(VALU_DEP_2) | instskip(SKIP_1) | instid1(VALU_DEP_1)
	v_mov_b32_dpp v7, v2 row_shr:2 row_mask:0xf bank_mask:0xf
	v_cmp_lt_u32_e64 s1, 1, v4
	s_and_saveexec_b32 s3, s1
; %bb.5:
	s_delay_alu instid0(VALU_DEP_3) | instskip(NEXT) | instid1(VALU_DEP_1)
	v_add_co_u32 v3, s2, v1, v8
	v_add_co_ci_u32_e64 v2, s2, 0, v2, s2
	s_delay_alu instid0(VALU_DEP_2) | instskip(NEXT) | instid1(VALU_DEP_1)
	v_add_co_u32 v1, s2, 0, v3
	v_add_co_ci_u32_e64 v2, s2, v7, v2, s2
; %bb.6:
	s_or_b32 exec_lo, exec_lo, s3
	v_mov_b32_dpp v8, v3 row_shr:4 row_mask:0xf bank_mask:0xf
	s_delay_alu instid0(VALU_DEP_2) | instskip(SKIP_1) | instid1(VALU_DEP_1)
	v_mov_b32_dpp v7, v2 row_shr:4 row_mask:0xf bank_mask:0xf
	v_cmp_lt_u32_e64 s2, 3, v4
	s_and_saveexec_b32 s4, s2
; %bb.7:
	s_delay_alu instid0(VALU_DEP_3) | instskip(NEXT) | instid1(VALU_DEP_1)
	v_add_co_u32 v3, s3, v1, v8
	v_add_co_ci_u32_e64 v2, s3, 0, v2, s3
	s_delay_alu instid0(VALU_DEP_2) | instskip(NEXT) | instid1(VALU_DEP_1)
	v_add_co_u32 v1, s3, 0, v3
	;; [unrolled: 14-line block ×3, first 2 shown]
	v_add_co_ci_u32_e64 v2, s4, v7, v2, s4
; %bb.10:
	s_or_b32 exec_lo, exec_lo, s5
	ds_swizzle_b32 v4, v3 offset:swizzle(BROADCAST,32,15)
	ds_swizzle_b32 v3, v2 offset:swizzle(BROADCAST,32,15)
	v_and_b32_e32 v7, 16, v6
	s_delay_alu instid0(VALU_DEP_1) | instskip(NEXT) | instid1(VALU_DEP_1)
	v_cmp_ne_u32_e64 s4, 0, v7
	s_and_saveexec_b32 s6, s4
	s_cbranch_execz .LBB129_12
; %bb.11:
	s_waitcnt lgkmcnt(1)
	v_add_co_u32 v1, s5, v1, v4
	s_delay_alu instid0(VALU_DEP_1) | instskip(NEXT) | instid1(VALU_DEP_2)
	v_add_co_ci_u32_e64 v2, s5, 0, v2, s5
	v_add_co_u32 v1, s5, v1, 0
	s_waitcnt lgkmcnt(0)
	s_delay_alu instid0(VALU_DEP_2)
	v_add_co_ci_u32_e64 v2, s5, v2, v3, s5
.LBB129_12:
	s_or_b32 exec_lo, exec_lo, s6
	s_waitcnt lgkmcnt(0)
	v_and_b32_e32 v3, 31, v0
	v_lshrrev_b32_e32 v7, 5, v0
	s_mov_b32 s6, exec_lo
	s_delay_alu instid0(VALU_DEP_2)
	v_cmpx_eq_u32_e32 31, v3
	s_cbranch_execz .LBB129_14
; %bb.13:
	s_delay_alu instid0(VALU_DEP_2)
	v_lshlrev_b32_e32 v3, 3, v7
	ds_store_b64 v3, v[1:2]
.LBB129_14:
	s_or_b32 exec_lo, exec_lo, s6
	v_cmp_lt_u32_e64 s5, 31, v0
	s_mov_b32 s7, exec_lo
	s_waitcnt lgkmcnt(0)
	s_barrier
	buffer_gl0_inv
	v_cmpx_gt_u32_e32 32, v0
	s_cbranch_execz .LBB129_26
; %bb.15:
	ds_load_b64 v[3:4], v5
	s_waitcnt lgkmcnt(0)
	v_mov_b32_dpp v9, v3 row_shr:1 row_mask:0xf bank_mask:0xf
	v_mov_b32_dpp v8, v4 row_shr:1 row_mask:0xf bank_mask:0xf
	v_mov_b32_e32 v0, v3
	s_and_saveexec_b32 s6, s0
; %bb.16:
	s_delay_alu instid0(VALU_DEP_3) | instskip(NEXT) | instid1(VALU_DEP_1)
	v_add_co_u32 v0, s0, v3, v9
	v_add_co_ci_u32_e64 v4, s0, 0, v4, s0
	s_delay_alu instid0(VALU_DEP_2) | instskip(NEXT) | instid1(VALU_DEP_1)
	v_add_co_u32 v3, s0, 0, v0
	v_add_co_ci_u32_e64 v4, s0, v8, v4, s0
; %bb.17:
	s_or_b32 exec_lo, exec_lo, s6
	v_mov_b32_dpp v9, v0 row_shr:2 row_mask:0xf bank_mask:0xf
	s_delay_alu instid0(VALU_DEP_2)
	v_mov_b32_dpp v8, v4 row_shr:2 row_mask:0xf bank_mask:0xf
	s_and_saveexec_b32 s6, s1
; %bb.18:
	s_delay_alu instid0(VALU_DEP_2) | instskip(NEXT) | instid1(VALU_DEP_1)
	v_add_co_u32 v0, s0, v3, v9
	v_add_co_ci_u32_e64 v4, s0, 0, v4, s0
	s_delay_alu instid0(VALU_DEP_2) | instskip(NEXT) | instid1(VALU_DEP_1)
	v_add_co_u32 v3, s0, 0, v0
	v_add_co_ci_u32_e64 v4, s0, v8, v4, s0
; %bb.19:
	s_or_b32 exec_lo, exec_lo, s6
	v_mov_b32_dpp v9, v0 row_shr:4 row_mask:0xf bank_mask:0xf
	s_delay_alu instid0(VALU_DEP_2)
	v_mov_b32_dpp v8, v4 row_shr:4 row_mask:0xf bank_mask:0xf
	s_and_saveexec_b32 s1, s2
; %bb.20:
	s_delay_alu instid0(VALU_DEP_2) | instskip(NEXT) | instid1(VALU_DEP_1)
	;; [unrolled: 13-line block ×3, first 2 shown]
	v_add_co_u32 v0, s0, v3, v9
	v_add_co_ci_u32_e64 v4, s0, 0, v4, s0
	s_delay_alu instid0(VALU_DEP_2) | instskip(NEXT) | instid1(VALU_DEP_1)
	v_add_co_u32 v3, s0, 0, v0
	v_add_co_ci_u32_e64 v4, s0, v8, v4, s0
; %bb.23:
	s_or_b32 exec_lo, exec_lo, s1
	ds_swizzle_b32 v8, v0 offset:swizzle(BROADCAST,32,15)
	ds_swizzle_b32 v0, v4 offset:swizzle(BROADCAST,32,15)
	s_and_saveexec_b32 s1, s4
	s_cbranch_execz .LBB129_25
; %bb.24:
	s_waitcnt lgkmcnt(1)
	v_add_co_u32 v3, s0, v3, v8
	s_delay_alu instid0(VALU_DEP_1) | instskip(NEXT) | instid1(VALU_DEP_2)
	v_add_co_ci_u32_e64 v4, s0, 0, v4, s0
	v_add_co_u32 v3, s0, v3, 0
	s_waitcnt lgkmcnt(0)
	s_delay_alu instid0(VALU_DEP_2)
	v_add_co_ci_u32_e64 v4, s0, v4, v0, s0
.LBB129_25:
	s_or_b32 exec_lo, exec_lo, s1
	ds_store_b64 v5, v[3:4]
.LBB129_26:
	s_or_b32 exec_lo, exec_lo, s7
	v_mov_b32_e32 v3, 0
	v_mov_b32_e32 v4, 0
	s_waitcnt lgkmcnt(0)
	s_barrier
	buffer_gl0_inv
	s_and_saveexec_b32 s0, s5
	s_cbranch_execz .LBB129_28
; %bb.27:
	v_lshl_add_u32 v0, v7, 3, -8
	ds_load_b64 v[3:4], v0
.LBB129_28:
	s_or_b32 exec_lo, exec_lo, s0
	v_add_nc_u32_e32 v0, -1, v6
	s_delay_alu instid0(VALU_DEP_1) | instskip(NEXT) | instid1(VALU_DEP_1)
	v_cmp_gt_i32_e64 s0, 0, v0
	v_cndmask_b32_e64 v0, v0, v6, s0
	s_delay_alu instid0(VALU_DEP_1) | instskip(SKIP_2) | instid1(VALU_DEP_1)
	v_lshlrev_b32_e32 v7, 2, v0
	s_waitcnt lgkmcnt(0)
	v_add_co_u32 v0, s0, v3, v1
	v_add_co_ci_u32_e64 v1, s0, v4, v2, s0
	ds_bpermute_b32 v0, v7, v0
	ds_bpermute_b32 v1, v7, v1
	s_and_saveexec_b32 s0, vcc_lo
	s_cbranch_execz .LBB129_30
; %bb.29:
	v_cmp_eq_u32_e32 vcc_lo, 0, v6
	s_waitcnt lgkmcnt(0)
	v_dual_cndmask_b32 v1, v1, v4 :: v_dual_cndmask_b32 v0, v0, v3
	global_store_b64 v5, v[0:1], s[8:9]
.LBB129_30:
	s_nop 0
	s_sendmsg sendmsg(MSG_DEALLOC_VGPRS)
	s_endpgm
	.section	.rodata,"a",@progbits
	.p2align	6, 0x0
	.amdhsa_kernel _ZN7rocprim17ROCPRIM_304000_NS6detail31onesweep_scan_histograms_kernelINS1_34wrapped_radix_sort_onesweep_configINS0_14default_configEfN2at4cuda3cub6detail10OpaqueTypeILi8EEEEEmEEvPT0_
		.amdhsa_group_segment_fixed_size 256
		.amdhsa_private_segment_fixed_size 0
		.amdhsa_kernarg_size 8
		.amdhsa_user_sgpr_count 15
		.amdhsa_user_sgpr_dispatch_ptr 0
		.amdhsa_user_sgpr_queue_ptr 0
		.amdhsa_user_sgpr_kernarg_segment_ptr 1
		.amdhsa_user_sgpr_dispatch_id 0
		.amdhsa_user_sgpr_private_segment_size 0
		.amdhsa_wavefront_size32 1
		.amdhsa_uses_dynamic_stack 0
		.amdhsa_enable_private_segment 0
		.amdhsa_system_sgpr_workgroup_id_x 1
		.amdhsa_system_sgpr_workgroup_id_y 0
		.amdhsa_system_sgpr_workgroup_id_z 0
		.amdhsa_system_sgpr_workgroup_info 0
		.amdhsa_system_vgpr_workitem_id 0
		.amdhsa_next_free_vgpr 10
		.amdhsa_next_free_sgpr 16
		.amdhsa_reserve_vcc 1
		.amdhsa_float_round_mode_32 0
		.amdhsa_float_round_mode_16_64 0
		.amdhsa_float_denorm_mode_32 3
		.amdhsa_float_denorm_mode_16_64 3
		.amdhsa_dx10_clamp 1
		.amdhsa_ieee_mode 1
		.amdhsa_fp16_overflow 0
		.amdhsa_workgroup_processor_mode 1
		.amdhsa_memory_ordered 1
		.amdhsa_forward_progress 0
		.amdhsa_shared_vgpr_count 0
		.amdhsa_exception_fp_ieee_invalid_op 0
		.amdhsa_exception_fp_denorm_src 0
		.amdhsa_exception_fp_ieee_div_zero 0
		.amdhsa_exception_fp_ieee_overflow 0
		.amdhsa_exception_fp_ieee_underflow 0
		.amdhsa_exception_fp_ieee_inexact 0
		.amdhsa_exception_int_div_zero 0
	.end_amdhsa_kernel
	.section	.text._ZN7rocprim17ROCPRIM_304000_NS6detail31onesweep_scan_histograms_kernelINS1_34wrapped_radix_sort_onesweep_configINS0_14default_configEfN2at4cuda3cub6detail10OpaqueTypeILi8EEEEEmEEvPT0_,"axG",@progbits,_ZN7rocprim17ROCPRIM_304000_NS6detail31onesweep_scan_histograms_kernelINS1_34wrapped_radix_sort_onesweep_configINS0_14default_configEfN2at4cuda3cub6detail10OpaqueTypeILi8EEEEEmEEvPT0_,comdat
.Lfunc_end129:
	.size	_ZN7rocprim17ROCPRIM_304000_NS6detail31onesweep_scan_histograms_kernelINS1_34wrapped_radix_sort_onesweep_configINS0_14default_configEfN2at4cuda3cub6detail10OpaqueTypeILi8EEEEEmEEvPT0_, .Lfunc_end129-_ZN7rocprim17ROCPRIM_304000_NS6detail31onesweep_scan_histograms_kernelINS1_34wrapped_radix_sort_onesweep_configINS0_14default_configEfN2at4cuda3cub6detail10OpaqueTypeILi8EEEEEmEEvPT0_
                                        ; -- End function
	.section	.AMDGPU.csdata,"",@progbits
; Kernel info:
; codeLenInByte = 1104
; NumSgprs: 18
; NumVgprs: 10
; ScratchSize: 0
; MemoryBound: 0
; FloatMode: 240
; IeeeMode: 1
; LDSByteSize: 256 bytes/workgroup (compile time only)
; SGPRBlocks: 2
; VGPRBlocks: 1
; NumSGPRsForWavesPerEU: 18
; NumVGPRsForWavesPerEU: 10
; Occupancy: 16
; WaveLimiterHint : 0
; COMPUTE_PGM_RSRC2:SCRATCH_EN: 0
; COMPUTE_PGM_RSRC2:USER_SGPR: 15
; COMPUTE_PGM_RSRC2:TRAP_HANDLER: 0
; COMPUTE_PGM_RSRC2:TGID_X_EN: 1
; COMPUTE_PGM_RSRC2:TGID_Y_EN: 0
; COMPUTE_PGM_RSRC2:TGID_Z_EN: 0
; COMPUTE_PGM_RSRC2:TIDIG_COMP_CNT: 0
	.section	.text._ZN7rocprim17ROCPRIM_304000_NS6detail16transform_kernelINS1_24wrapped_transform_configINS0_14default_configEfEEfPKfPfNS0_8identityIfEEEEvT1_mT2_T3_,"axG",@progbits,_ZN7rocprim17ROCPRIM_304000_NS6detail16transform_kernelINS1_24wrapped_transform_configINS0_14default_configEfEEfPKfPfNS0_8identityIfEEEEvT1_mT2_T3_,comdat
	.protected	_ZN7rocprim17ROCPRIM_304000_NS6detail16transform_kernelINS1_24wrapped_transform_configINS0_14default_configEfEEfPKfPfNS0_8identityIfEEEEvT1_mT2_T3_ ; -- Begin function _ZN7rocprim17ROCPRIM_304000_NS6detail16transform_kernelINS1_24wrapped_transform_configINS0_14default_configEfEEfPKfPfNS0_8identityIfEEEEvT1_mT2_T3_
	.globl	_ZN7rocprim17ROCPRIM_304000_NS6detail16transform_kernelINS1_24wrapped_transform_configINS0_14default_configEfEEfPKfPfNS0_8identityIfEEEEvT1_mT2_T3_
	.p2align	8
	.type	_ZN7rocprim17ROCPRIM_304000_NS6detail16transform_kernelINS1_24wrapped_transform_configINS0_14default_configEfEEfPKfPfNS0_8identityIfEEEEvT1_mT2_T3_,@function
_ZN7rocprim17ROCPRIM_304000_NS6detail16transform_kernelINS1_24wrapped_transform_configINS0_14default_configEfEEfPKfPfNS0_8identityIfEEEEvT1_mT2_T3_: ; @_ZN7rocprim17ROCPRIM_304000_NS6detail16transform_kernelINS1_24wrapped_transform_configINS0_14default_configEfEEfPKfPfNS0_8identityIfEEEEvT1_mT2_T3_
; %bb.0:
	s_clause 0x2
	s_load_b32 s3, s[0:1], 0x20
	s_load_b128 s[4:7], s[0:1], 0x0
	s_load_b64 s[0:1], s[0:1], 0x10
	v_lshlrev_b32_e32 v1, 2, v0
	s_lshl_b32 s2, s15, 10
	s_waitcnt lgkmcnt(0)
	s_add_i32 s7, s3, -1
	s_mov_b32 s3, 0
	s_cmp_lg_u32 s15, s7
	s_mov_b32 s7, -1
	s_cbranch_scc0 .LBB130_2
; %bb.1:
	s_lshl_b64 s[8:9], s[2:3], 2
	s_mov_b32 s7, s3
	s_add_u32 s10, s4, s8
	s_addc_u32 s11, s5, s9
	s_add_u32 s8, s0, s8
	global_load_b32 v2, v1, s[10:11]
	s_addc_u32 s9, s1, s9
	s_waitcnt vmcnt(0)
	global_store_b32 v1, v2, s[8:9]
.LBB130_2:
	s_and_not1_b32 vcc_lo, exec_lo, s7
	s_cbranch_vccnz .LBB130_7
; %bb.3:
	s_sub_i32 s6, s6, s2
	s_delay_alu instid0(SALU_CYCLE_1)
	v_cmp_gt_u32_e32 vcc_lo, s6, v0
                                        ; implicit-def: $vgpr0
	s_and_saveexec_b32 s6, vcc_lo
	s_cbranch_execz .LBB130_5
; %bb.4:
	s_lshl_b64 s[8:9], s[2:3], 2
	s_delay_alu instid0(SALU_CYCLE_1)
	s_add_u32 s4, s4, s8
	s_addc_u32 s5, s5, s9
	global_load_b32 v0, v1, s[4:5]
.LBB130_5:
	s_or_b32 exec_lo, exec_lo, s6
	s_and_saveexec_b32 s4, vcc_lo
	s_cbranch_execz .LBB130_7
; %bb.6:
	s_lshl_b64 s[2:3], s[2:3], 2
	s_delay_alu instid0(SALU_CYCLE_1)
	s_add_u32 s0, s0, s2
	s_addc_u32 s1, s1, s3
	s_waitcnt vmcnt(0)
	global_store_b32 v1, v0, s[0:1]
.LBB130_7:
	s_nop 0
	s_sendmsg sendmsg(MSG_DEALLOC_VGPRS)
	s_endpgm
	.section	.rodata,"a",@progbits
	.p2align	6, 0x0
	.amdhsa_kernel _ZN7rocprim17ROCPRIM_304000_NS6detail16transform_kernelINS1_24wrapped_transform_configINS0_14default_configEfEEfPKfPfNS0_8identityIfEEEEvT1_mT2_T3_
		.amdhsa_group_segment_fixed_size 0
		.amdhsa_private_segment_fixed_size 0
		.amdhsa_kernarg_size 288
		.amdhsa_user_sgpr_count 15
		.amdhsa_user_sgpr_dispatch_ptr 0
		.amdhsa_user_sgpr_queue_ptr 0
		.amdhsa_user_sgpr_kernarg_segment_ptr 1
		.amdhsa_user_sgpr_dispatch_id 0
		.amdhsa_user_sgpr_private_segment_size 0
		.amdhsa_wavefront_size32 1
		.amdhsa_uses_dynamic_stack 0
		.amdhsa_enable_private_segment 0
		.amdhsa_system_sgpr_workgroup_id_x 1
		.amdhsa_system_sgpr_workgroup_id_y 0
		.amdhsa_system_sgpr_workgroup_id_z 0
		.amdhsa_system_sgpr_workgroup_info 0
		.amdhsa_system_vgpr_workitem_id 0
		.amdhsa_next_free_vgpr 3
		.amdhsa_next_free_sgpr 16
		.amdhsa_reserve_vcc 1
		.amdhsa_float_round_mode_32 0
		.amdhsa_float_round_mode_16_64 0
		.amdhsa_float_denorm_mode_32 3
		.amdhsa_float_denorm_mode_16_64 3
		.amdhsa_dx10_clamp 1
		.amdhsa_ieee_mode 1
		.amdhsa_fp16_overflow 0
		.amdhsa_workgroup_processor_mode 1
		.amdhsa_memory_ordered 1
		.amdhsa_forward_progress 0
		.amdhsa_shared_vgpr_count 0
		.amdhsa_exception_fp_ieee_invalid_op 0
		.amdhsa_exception_fp_denorm_src 0
		.amdhsa_exception_fp_ieee_div_zero 0
		.amdhsa_exception_fp_ieee_overflow 0
		.amdhsa_exception_fp_ieee_underflow 0
		.amdhsa_exception_fp_ieee_inexact 0
		.amdhsa_exception_int_div_zero 0
	.end_amdhsa_kernel
	.section	.text._ZN7rocprim17ROCPRIM_304000_NS6detail16transform_kernelINS1_24wrapped_transform_configINS0_14default_configEfEEfPKfPfNS0_8identityIfEEEEvT1_mT2_T3_,"axG",@progbits,_ZN7rocprim17ROCPRIM_304000_NS6detail16transform_kernelINS1_24wrapped_transform_configINS0_14default_configEfEEfPKfPfNS0_8identityIfEEEEvT1_mT2_T3_,comdat
.Lfunc_end130:
	.size	_ZN7rocprim17ROCPRIM_304000_NS6detail16transform_kernelINS1_24wrapped_transform_configINS0_14default_configEfEEfPKfPfNS0_8identityIfEEEEvT1_mT2_T3_, .Lfunc_end130-_ZN7rocprim17ROCPRIM_304000_NS6detail16transform_kernelINS1_24wrapped_transform_configINS0_14default_configEfEEfPKfPfNS0_8identityIfEEEEvT1_mT2_T3_
                                        ; -- End function
	.section	.AMDGPU.csdata,"",@progbits
; Kernel info:
; codeLenInByte = 208
; NumSgprs: 18
; NumVgprs: 3
; ScratchSize: 0
; MemoryBound: 0
; FloatMode: 240
; IeeeMode: 1
; LDSByteSize: 0 bytes/workgroup (compile time only)
; SGPRBlocks: 2
; VGPRBlocks: 0
; NumSGPRsForWavesPerEU: 18
; NumVGPRsForWavesPerEU: 3
; Occupancy: 16
; WaveLimiterHint : 0
; COMPUTE_PGM_RSRC2:SCRATCH_EN: 0
; COMPUTE_PGM_RSRC2:USER_SGPR: 15
; COMPUTE_PGM_RSRC2:TRAP_HANDLER: 0
; COMPUTE_PGM_RSRC2:TGID_X_EN: 1
; COMPUTE_PGM_RSRC2:TGID_Y_EN: 0
; COMPUTE_PGM_RSRC2:TGID_Z_EN: 0
; COMPUTE_PGM_RSRC2:TIDIG_COMP_CNT: 0
	.section	.text._ZN7rocprim17ROCPRIM_304000_NS6detail25onesweep_iteration_kernelINS1_34wrapped_radix_sort_onesweep_configINS0_14default_configEfN2at4cuda3cub6detail10OpaqueTypeILi8EEEEELb1EPKfPfPKSA_PSA_mNS0_19identity_decomposerEEEvT1_T2_T3_T4_jPT5_SO_PNS1_23onesweep_lookback_stateET6_jjj,"axG",@progbits,_ZN7rocprim17ROCPRIM_304000_NS6detail25onesweep_iteration_kernelINS1_34wrapped_radix_sort_onesweep_configINS0_14default_configEfN2at4cuda3cub6detail10OpaqueTypeILi8EEEEELb1EPKfPfPKSA_PSA_mNS0_19identity_decomposerEEEvT1_T2_T3_T4_jPT5_SO_PNS1_23onesweep_lookback_stateET6_jjj,comdat
	.protected	_ZN7rocprim17ROCPRIM_304000_NS6detail25onesweep_iteration_kernelINS1_34wrapped_radix_sort_onesweep_configINS0_14default_configEfN2at4cuda3cub6detail10OpaqueTypeILi8EEEEELb1EPKfPfPKSA_PSA_mNS0_19identity_decomposerEEEvT1_T2_T3_T4_jPT5_SO_PNS1_23onesweep_lookback_stateET6_jjj ; -- Begin function _ZN7rocprim17ROCPRIM_304000_NS6detail25onesweep_iteration_kernelINS1_34wrapped_radix_sort_onesweep_configINS0_14default_configEfN2at4cuda3cub6detail10OpaqueTypeILi8EEEEELb1EPKfPfPKSA_PSA_mNS0_19identity_decomposerEEEvT1_T2_T3_T4_jPT5_SO_PNS1_23onesweep_lookback_stateET6_jjj
	.globl	_ZN7rocprim17ROCPRIM_304000_NS6detail25onesweep_iteration_kernelINS1_34wrapped_radix_sort_onesweep_configINS0_14default_configEfN2at4cuda3cub6detail10OpaqueTypeILi8EEEEELb1EPKfPfPKSA_PSA_mNS0_19identity_decomposerEEEvT1_T2_T3_T4_jPT5_SO_PNS1_23onesweep_lookback_stateET6_jjj
	.p2align	8
	.type	_ZN7rocprim17ROCPRIM_304000_NS6detail25onesweep_iteration_kernelINS1_34wrapped_radix_sort_onesweep_configINS0_14default_configEfN2at4cuda3cub6detail10OpaqueTypeILi8EEEEELb1EPKfPfPKSA_PSA_mNS0_19identity_decomposerEEEvT1_T2_T3_T4_jPT5_SO_PNS1_23onesweep_lookback_stateET6_jjj,@function
_ZN7rocprim17ROCPRIM_304000_NS6detail25onesweep_iteration_kernelINS1_34wrapped_radix_sort_onesweep_configINS0_14default_configEfN2at4cuda3cub6detail10OpaqueTypeILi8EEEEELb1EPKfPfPKSA_PSA_mNS0_19identity_decomposerEEEvT1_T2_T3_T4_jPT5_SO_PNS1_23onesweep_lookback_stateET6_jjj: ; @_ZN7rocprim17ROCPRIM_304000_NS6detail25onesweep_iteration_kernelINS1_34wrapped_radix_sort_onesweep_configINS0_14default_configEfN2at4cuda3cub6detail10OpaqueTypeILi8EEEEELb1EPKfPfPKSA_PSA_mNS0_19identity_decomposerEEEvT1_T2_T3_T4_jPT5_SO_PNS1_23onesweep_lookback_stateET6_jjj
; %bb.0:
	s_clause 0x3
	s_load_b128 s[28:31], s[0:1], 0x44
	s_load_b256 s[16:23], s[0:1], 0x0
	s_load_b128 s[24:27], s[0:1], 0x28
	s_load_b64 s[12:13], s[0:1], 0x38
	v_and_b32_e32 v5, 0x3ff, v0
	v_mbcnt_lo_u32_b32 v12, -1, 0
	s_waitcnt lgkmcnt(0)
	s_cmp_ge_u32 s15, s30
	s_cbranch_scc0 .LBB131_66
; %bb.1:
	s_load_b32 s8, s[0:1], 0x20
	s_mov_b32 s4, -1
	s_lshl_b32 s9, s30, 12
	s_mov_b32 s5, s4
	s_mov_b32 s6, s4
	;; [unrolled: 1-line block ×3, first 2 shown]
	v_lshlrev_b32_e32 v13, 2, v5
	s_lshl_b32 s30, s15, 12
	s_mov_b32 s31, 0
	v_lshlrev_b32_e32 v1, 2, v12
	s_lshl_b64 s[2:3], s[30:31], 2
	v_and_b32_e32 v10, 0xf80, v13
	s_delay_alu instid0(VALU_DEP_1)
	v_lshlrev_b32_e32 v2, 2, v10
	s_waitcnt lgkmcnt(0)
	s_sub_i32 s34, s8, s9
	s_add_u32 s2, s16, s2
	s_addc_u32 s3, s17, s3
	v_add_co_u32 v1, s2, s2, v1
	s_delay_alu instid0(VALU_DEP_1) | instskip(NEXT) | instid1(VALU_DEP_2)
	v_add_co_ci_u32_e64 v3, null, s3, 0, s2
	v_add_co_u32 v6, s2, v1, v2
	s_delay_alu instid0(VALU_DEP_1)
	v_add_co_ci_u32_e64 v7, s2, 0, v3, s2
	v_mov_b32_e32 v1, s4
	v_mov_b32_e32 v3, s6
	v_or_b32_e32 v8, v12, v10
	v_mov_b32_e32 v2, s5
	v_mov_b32_e32 v4, s7
	s_delay_alu instid0(VALU_DEP_3)
	v_cmp_gt_u32_e32 vcc_lo, s34, v8
	s_and_saveexec_b32 s2, vcc_lo
	s_cbranch_execz .LBB131_3
; %bb.2:
	global_load_b32 v1, v[6:7], off
	v_mov_b32_e32 v2, -1
	s_delay_alu instid0(VALU_DEP_1)
	v_mov_b32_e32 v3, v2
	v_mov_b32_e32 v4, v2
.LBB131_3:
	s_or_b32 exec_lo, exec_lo, s2
	v_add_nc_u32_e32 v9, 32, v8
	s_delay_alu instid0(VALU_DEP_1) | instskip(NEXT) | instid1(VALU_DEP_1)
	v_cmp_gt_u32_e64 s2, s34, v9
	s_and_saveexec_b32 s3, s2
	s_cbranch_execz .LBB131_5
; %bb.4:
	global_load_b32 v2, v[6:7], off offset:128
.LBB131_5:
	s_or_b32 exec_lo, exec_lo, s3
	v_add_nc_u32_e32 v9, 64, v8
	s_delay_alu instid0(VALU_DEP_1) | instskip(NEXT) | instid1(VALU_DEP_1)
	v_cmp_gt_u32_e64 s3, s34, v9
	s_and_saveexec_b32 s4, s3
	s_cbranch_execz .LBB131_7
; %bb.6:
	global_load_b32 v3, v[6:7], off offset:256
.LBB131_7:
	;; [unrolled: 9-line block ×3, first 2 shown]
	s_or_b32 exec_lo, exec_lo, s5
	s_clause 0x1
	s_load_b32 s5, s[0:1], 0x5c
	s_load_b32 s14, s[0:1], 0x50
	s_add_u32 s6, s0, 0x50
	s_addc_u32 s7, s1, 0
	s_waitcnt lgkmcnt(0)
	s_lshr_b32 s8, s5, 16
	s_cmp_lt_u32 s15, s14
	s_cselect_b32 s5, 12, 18
	s_delay_alu instid0(SALU_CYCLE_1) | instskip(SKIP_3) | instid1(VALU_DEP_1)
	s_add_u32 s6, s6, s5
	s_waitcnt vmcnt(0)
	v_cmp_gt_i32_e64 s5, 0, v1
	s_addc_u32 s7, s7, 0
	v_cndmask_b32_e64 v7, 0x7fffffff, 0, s5
	s_delay_alu instid0(VALU_DEP_1) | instskip(NEXT) | instid1(VALU_DEP_1)
	v_xor_b32_e32 v11, v7, v1
	v_cmp_ne_u32_e64 s5, 0x80000000, v11
	s_delay_alu instid0(VALU_DEP_1) | instskip(SKIP_1) | instid1(SALU_CYCLE_1)
	v_cndmask_b32_e64 v1, 0x7fffffff, v11, s5
	s_lshl_b32 s5, -1, s29
	s_not_b32 s33, s5
	s_delay_alu instid0(VALU_DEP_1) | instskip(NEXT) | instid1(VALU_DEP_1)
	v_lshrrev_b32_e32 v1, s28, v1
	v_dual_mov_b32 v9, 0 :: v_dual_and_b32 v16, s33, v1
	global_load_u16 v6, v9, s[6:7]
	v_bfe_u32 v1, v0, 10, 10
	v_and_b32_e32 v7, 1, v16
	v_lshlrev_b32_e32 v8, 30, v16
	v_lshlrev_b32_e32 v14, 29, v16
	;; [unrolled: 1-line block ×4, first 2 shown]
	v_add_co_u32 v7, s5, v7, -1
	s_delay_alu instid0(VALU_DEP_1)
	v_cndmask_b32_e64 v17, 0, 1, s5
	v_not_b32_e32 v21, v8
	v_cmp_gt_i32_e64 s6, 0, v8
	v_not_b32_e32 v8, v14
	v_lshlrev_b32_e32 v19, 26, v16
	v_cmp_ne_u32_e64 s5, 0, v17
	v_ashrrev_i32_e32 v21, 31, v21
	v_lshlrev_b32_e32 v20, 25, v16
	v_ashrrev_i32_e32 v8, 31, v8
	v_lshlrev_b32_e32 v17, 24, v16
	v_xor_b32_e32 v7, s5, v7
	v_cmp_gt_i32_e64 s5, 0, v14
	v_not_b32_e32 v14, v15
	v_xor_b32_e32 v21, s6, v21
	v_cmp_gt_i32_e64 s6, 0, v15
	v_and_b32_e32 v7, exec_lo, v7
	v_not_b32_e32 v15, v18
	v_ashrrev_i32_e32 v14, 31, v14
	v_xor_b32_e32 v8, s5, v8
	v_cmp_gt_i32_e64 s5, 0, v18
	v_and_b32_e32 v7, v7, v21
	v_not_b32_e32 v18, v19
	v_ashrrev_i32_e32 v15, 31, v15
	v_xor_b32_e32 v14, s6, v14
	v_cmp_gt_i32_e64 s6, 0, v19
	v_and_b32_e32 v7, v7, v8
	;; [unrolled: 5-line block ×4, first 2 shown]
	v_bfe_u32 v15, v0, 20, 10
	v_ashrrev_i32_e32 v14, 31, v14
	v_xor_b32_e32 v8, s5, v8
	v_mul_u32_u24_e32 v17, 9, v5
	v_and_b32_e32 v7, v7, v18
	v_mad_u32_u24 v1, v15, s8, v1
	v_xor_b32_e32 v15, s6, v14
	s_delay_alu instid0(VALU_DEP_4) | instskip(NEXT) | instid1(VALU_DEP_4)
	v_lshlrev_b32_e32 v14, 2, v17
	v_and_b32_e32 v18, v7, v8
	ds_store_2addr_b32 v14, v9, v9 offset0:32 offset1:33
	ds_store_2addr_b32 v14, v9, v9 offset0:34 offset1:35
	;; [unrolled: 1-line block ×4, first 2 shown]
	ds_store_b32 v14, v9 offset:160
	s_waitcnt vmcnt(0) lgkmcnt(0)
	s_barrier
	buffer_gl0_inv
	; wave barrier
	v_mad_u64_u32 v[7:8], null, v1, v6, v[5:6]
	v_and_b32_e32 v6, v18, v15
	s_delay_alu instid0(VALU_DEP_1) | instskip(NEXT) | instid1(VALU_DEP_3)
	v_mbcnt_lo_u32_b32 v15, v6, 0
	v_lshrrev_b32_e32 v1, 5, v7
	v_lshl_add_u32 v7, v16, 5, v16
	v_cmp_ne_u32_e64 s6, 0, v6
	s_delay_alu instid0(VALU_DEP_4) | instskip(NEXT) | instid1(VALU_DEP_3)
	v_cmp_eq_u32_e64 s5, 0, v15
	v_add_lshl_u32 v16, v7, v1, 2
	s_delay_alu instid0(VALU_DEP_2) | instskip(NEXT) | instid1(SALU_CYCLE_1)
	s_and_b32 s6, s6, s5
	s_and_saveexec_b32 s5, s6
	s_cbranch_execz .LBB131_11
; %bb.10:
	v_bcnt_u32_b32 v6, v6, 0
	ds_store_b32 v16, v6 offset:128
.LBB131_11:
	s_or_b32 exec_lo, exec_lo, s5
	v_cmp_gt_i32_e64 s5, 0, v2
	; wave barrier
	s_delay_alu instid0(VALU_DEP_1) | instskip(NEXT) | instid1(VALU_DEP_1)
	v_cndmask_b32_e64 v6, 0x7fffffff, 0, s5
	v_xor_b32_e32 v17, v6, v2
	s_delay_alu instid0(VALU_DEP_1) | instskip(NEXT) | instid1(VALU_DEP_1)
	v_cmp_ne_u32_e64 s5, 0x80000000, v17
	v_cndmask_b32_e64 v2, 0x7fffffff, v17, s5
	s_delay_alu instid0(VALU_DEP_1) | instskip(NEXT) | instid1(VALU_DEP_1)
	v_lshrrev_b32_e32 v2, s28, v2
	v_and_b32_e32 v2, s33, v2
	s_delay_alu instid0(VALU_DEP_1)
	v_and_b32_e32 v6, 1, v2
	v_lshlrev_b32_e32 v7, 30, v2
	v_lshlrev_b32_e32 v8, 29, v2
	;; [unrolled: 1-line block ×4, first 2 shown]
	v_add_co_u32 v6, s5, v6, -1
	s_delay_alu instid0(VALU_DEP_1)
	v_cndmask_b32_e64 v18, 0, 1, s5
	v_not_b32_e32 v22, v7
	v_cmp_gt_i32_e64 s6, 0, v7
	v_not_b32_e32 v7, v8
	v_lshlrev_b32_e32 v20, 26, v2
	v_cmp_ne_u32_e64 s5, 0, v18
	v_ashrrev_i32_e32 v22, 31, v22
	v_lshlrev_b32_e32 v21, 25, v2
	v_ashrrev_i32_e32 v7, 31, v7
	v_lshlrev_b32_e32 v18, 24, v2
	v_xor_b32_e32 v6, s5, v6
	v_cmp_gt_i32_e64 s5, 0, v8
	v_not_b32_e32 v8, v9
	v_xor_b32_e32 v22, s6, v22
	v_cmp_gt_i32_e64 s6, 0, v9
	v_and_b32_e32 v6, exec_lo, v6
	v_not_b32_e32 v9, v19
	v_ashrrev_i32_e32 v8, 31, v8
	v_xor_b32_e32 v7, s5, v7
	v_cmp_gt_i32_e64 s5, 0, v19
	v_and_b32_e32 v6, v6, v22
	v_not_b32_e32 v19, v20
	v_ashrrev_i32_e32 v9, 31, v9
	v_xor_b32_e32 v8, s6, v8
	v_cmp_gt_i32_e64 s6, 0, v20
	v_and_b32_e32 v6, v6, v7
	;; [unrolled: 5-line block ×3, first 2 shown]
	v_not_b32_e32 v8, v18
	v_ashrrev_i32_e32 v7, 31, v7
	v_xor_b32_e32 v19, s6, v19
	v_lshl_add_u32 v2, v2, 5, v2
	v_and_b32_e32 v6, v6, v9
	v_cmp_gt_i32_e64 s6, 0, v18
	v_ashrrev_i32_e32 v8, 31, v8
	v_xor_b32_e32 v7, s5, v7
	v_add_lshl_u32 v21, v2, v1, 2
	v_and_b32_e32 v6, v6, v19
	s_delay_alu instid0(VALU_DEP_4) | instskip(SKIP_2) | instid1(VALU_DEP_1)
	v_xor_b32_e32 v2, s6, v8
	ds_load_b32 v18, v21 offset:128
	v_and_b32_e32 v6, v6, v7
	; wave barrier
	v_and_b32_e32 v2, v6, v2
	s_delay_alu instid0(VALU_DEP_1) | instskip(SKIP_1) | instid1(VALU_DEP_2)
	v_mbcnt_lo_u32_b32 v19, v2, 0
	v_cmp_ne_u32_e64 s6, 0, v2
	v_cmp_eq_u32_e64 s5, 0, v19
	s_delay_alu instid0(VALU_DEP_1) | instskip(NEXT) | instid1(SALU_CYCLE_1)
	s_and_b32 s6, s6, s5
	s_and_saveexec_b32 s5, s6
	s_cbranch_execz .LBB131_13
; %bb.12:
	s_waitcnt lgkmcnt(0)
	v_bcnt_u32_b32 v2, v2, v18
	ds_store_b32 v21, v2 offset:128
.LBB131_13:
	s_or_b32 exec_lo, exec_lo, s5
	v_cmp_gt_i32_e64 s5, 0, v3
	; wave barrier
	s_delay_alu instid0(VALU_DEP_1) | instskip(NEXT) | instid1(VALU_DEP_1)
	v_cndmask_b32_e64 v2, 0x7fffffff, 0, s5
	v_xor_b32_e32 v20, v2, v3
	s_delay_alu instid0(VALU_DEP_1) | instskip(NEXT) | instid1(VALU_DEP_1)
	v_cmp_ne_u32_e64 s5, 0x80000000, v20
	v_cndmask_b32_e64 v2, 0x7fffffff, v20, s5
	s_delay_alu instid0(VALU_DEP_1) | instskip(NEXT) | instid1(VALU_DEP_1)
	v_lshrrev_b32_e32 v2, s28, v2
	v_and_b32_e32 v2, s33, v2
	s_delay_alu instid0(VALU_DEP_1)
	v_and_b32_e32 v3, 1, v2
	v_lshlrev_b32_e32 v6, 30, v2
	v_lshlrev_b32_e32 v7, 29, v2
	;; [unrolled: 1-line block ×4, first 2 shown]
	v_add_co_u32 v3, s5, v3, -1
	s_delay_alu instid0(VALU_DEP_1)
	v_cndmask_b32_e64 v9, 0, 1, s5
	v_not_b32_e32 v25, v6
	v_cmp_gt_i32_e64 s6, 0, v6
	v_not_b32_e32 v6, v7
	v_lshlrev_b32_e32 v23, 26, v2
	v_cmp_ne_u32_e64 s5, 0, v9
	v_ashrrev_i32_e32 v25, 31, v25
	v_lshlrev_b32_e32 v24, 25, v2
	v_ashrrev_i32_e32 v6, 31, v6
	v_lshlrev_b32_e32 v9, 24, v2
	v_xor_b32_e32 v3, s5, v3
	v_cmp_gt_i32_e64 s5, 0, v7
	v_not_b32_e32 v7, v8
	v_xor_b32_e32 v25, s6, v25
	v_cmp_gt_i32_e64 s6, 0, v8
	v_and_b32_e32 v3, exec_lo, v3
	v_not_b32_e32 v8, v22
	v_ashrrev_i32_e32 v7, 31, v7
	v_xor_b32_e32 v6, s5, v6
	v_cmp_gt_i32_e64 s5, 0, v22
	v_and_b32_e32 v3, v3, v25
	v_not_b32_e32 v22, v23
	v_ashrrev_i32_e32 v8, 31, v8
	v_xor_b32_e32 v7, s6, v7
	v_cmp_gt_i32_e64 s6, 0, v23
	v_and_b32_e32 v3, v3, v6
	;; [unrolled: 5-line block ×3, first 2 shown]
	v_not_b32_e32 v7, v9
	v_ashrrev_i32_e32 v6, 31, v6
	v_xor_b32_e32 v22, s6, v22
	v_lshl_add_u32 v2, v2, 5, v2
	v_and_b32_e32 v3, v3, v8
	v_cmp_gt_i32_e64 s6, 0, v9
	v_ashrrev_i32_e32 v7, 31, v7
	v_xor_b32_e32 v6, s5, v6
	v_add_lshl_u32 v25, v2, v1, 2
	v_and_b32_e32 v3, v3, v22
	s_delay_alu instid0(VALU_DEP_4) | instskip(SKIP_2) | instid1(VALU_DEP_1)
	v_xor_b32_e32 v2, s6, v7
	ds_load_b32 v22, v25 offset:128
	v_and_b32_e32 v3, v3, v6
	; wave barrier
	v_and_b32_e32 v2, v3, v2
	s_delay_alu instid0(VALU_DEP_1) | instskip(SKIP_1) | instid1(VALU_DEP_2)
	v_mbcnt_lo_u32_b32 v23, v2, 0
	v_cmp_ne_u32_e64 s6, 0, v2
	v_cmp_eq_u32_e64 s5, 0, v23
	s_delay_alu instid0(VALU_DEP_1) | instskip(NEXT) | instid1(SALU_CYCLE_1)
	s_and_b32 s6, s6, s5
	s_and_saveexec_b32 s5, s6
	s_cbranch_execz .LBB131_15
; %bb.14:
	s_waitcnt lgkmcnt(0)
	v_bcnt_u32_b32 v2, v2, v22
	ds_store_b32 v25, v2 offset:128
.LBB131_15:
	s_or_b32 exec_lo, exec_lo, s5
	v_cmp_gt_i32_e64 s5, 0, v4
	; wave barrier
	v_add_nc_u32_e32 v29, 0x80, v14
	s_delay_alu instid0(VALU_DEP_2) | instskip(NEXT) | instid1(VALU_DEP_1)
	v_cndmask_b32_e64 v2, 0x7fffffff, 0, s5
	v_xor_b32_e32 v24, v2, v4
	s_delay_alu instid0(VALU_DEP_1) | instskip(NEXT) | instid1(VALU_DEP_1)
	v_cmp_ne_u32_e64 s5, 0x80000000, v24
	v_cndmask_b32_e64 v2, 0x7fffffff, v24, s5
	s_delay_alu instid0(VALU_DEP_1) | instskip(NEXT) | instid1(VALU_DEP_1)
	v_lshrrev_b32_e32 v2, s28, v2
	v_and_b32_e32 v2, s33, v2
	s_delay_alu instid0(VALU_DEP_1)
	v_and_b32_e32 v3, 1, v2
	v_lshlrev_b32_e32 v4, 30, v2
	v_lshlrev_b32_e32 v6, 29, v2
	;; [unrolled: 1-line block ×4, first 2 shown]
	v_add_co_u32 v3, s5, v3, -1
	s_delay_alu instid0(VALU_DEP_1)
	v_cndmask_b32_e64 v8, 0, 1, s5
	v_not_b32_e32 v28, v4
	v_cmp_gt_i32_e64 s6, 0, v4
	v_not_b32_e32 v4, v6
	v_lshlrev_b32_e32 v26, 26, v2
	v_cmp_ne_u32_e64 s5, 0, v8
	v_ashrrev_i32_e32 v28, 31, v28
	v_lshlrev_b32_e32 v27, 25, v2
	v_ashrrev_i32_e32 v4, 31, v4
	v_lshlrev_b32_e32 v8, 24, v2
	v_xor_b32_e32 v3, s5, v3
	v_cmp_gt_i32_e64 s5, 0, v6
	v_not_b32_e32 v6, v7
	v_xor_b32_e32 v28, s6, v28
	v_cmp_gt_i32_e64 s6, 0, v7
	v_and_b32_e32 v3, exec_lo, v3
	v_not_b32_e32 v7, v9
	v_ashrrev_i32_e32 v6, 31, v6
	v_xor_b32_e32 v4, s5, v4
	v_cmp_gt_i32_e64 s5, 0, v9
	v_and_b32_e32 v3, v3, v28
	v_not_b32_e32 v9, v26
	v_ashrrev_i32_e32 v7, 31, v7
	v_xor_b32_e32 v6, s6, v6
	v_cmp_gt_i32_e64 s6, 0, v26
	v_and_b32_e32 v3, v3, v4
	;; [unrolled: 5-line block ×3, first 2 shown]
	v_not_b32_e32 v6, v8
	v_ashrrev_i32_e32 v4, 31, v4
	v_xor_b32_e32 v9, s6, v9
	v_lshl_add_u32 v2, v2, 5, v2
	v_and_b32_e32 v3, v3, v7
	v_cmp_gt_i32_e64 s6, 0, v8
	v_ashrrev_i32_e32 v6, 31, v6
	v_xor_b32_e32 v4, s5, v4
	v_add_lshl_u32 v28, v2, v1, 2
	v_and_b32_e32 v3, v3, v9
	s_delay_alu instid0(VALU_DEP_4) | instskip(SKIP_2) | instid1(VALU_DEP_1)
	v_xor_b32_e32 v1, s6, v6
	ds_load_b32 v26, v28 offset:128
	v_and_b32_e32 v2, v3, v4
	; wave barrier
	v_and_b32_e32 v1, v2, v1
	s_delay_alu instid0(VALU_DEP_1) | instskip(SKIP_1) | instid1(VALU_DEP_2)
	v_mbcnt_lo_u32_b32 v27, v1, 0
	v_cmp_ne_u32_e64 s6, 0, v1
	v_cmp_eq_u32_e64 s5, 0, v27
	s_delay_alu instid0(VALU_DEP_1) | instskip(NEXT) | instid1(SALU_CYCLE_1)
	s_and_b32 s6, s6, s5
	s_and_saveexec_b32 s5, s6
	s_cbranch_execz .LBB131_17
; %bb.16:
	s_waitcnt lgkmcnt(0)
	v_bcnt_u32_b32 v1, v1, v26
	ds_store_b32 v28, v1 offset:128
.LBB131_17:
	s_or_b32 exec_lo, exec_lo, s5
	; wave barrier
	s_waitcnt lgkmcnt(0)
	s_barrier
	buffer_gl0_inv
	ds_load_2addr_b32 v[8:9], v14 offset0:32 offset1:33
	ds_load_2addr_b32 v[6:7], v29 offset0:2 offset1:3
	;; [unrolled: 1-line block ×4, first 2 shown]
	ds_load_b32 v30, v29 offset:32
	v_and_b32_e32 v33, 16, v12
	v_and_b32_e32 v34, 31, v5
	s_mov_b32 s11, exec_lo
	s_delay_alu instid0(VALU_DEP_2) | instskip(SKIP_3) | instid1(VALU_DEP_1)
	v_cmp_eq_u32_e64 s9, 0, v33
	s_waitcnt lgkmcnt(3)
	v_add3_u32 v31, v9, v8, v6
	s_waitcnt lgkmcnt(2)
	v_add3_u32 v31, v31, v7, v3
	s_waitcnt lgkmcnt(1)
	s_delay_alu instid0(VALU_DEP_1) | instskip(SKIP_1) | instid1(VALU_DEP_1)
	v_add3_u32 v31, v31, v4, v1
	s_waitcnt lgkmcnt(0)
	v_add3_u32 v30, v31, v2, v30
	v_and_b32_e32 v31, 15, v12
	s_delay_alu instid0(VALU_DEP_2) | instskip(NEXT) | instid1(VALU_DEP_2)
	v_mov_b32_dpp v32, v30 row_shr:1 row_mask:0xf bank_mask:0xf
	v_cmp_eq_u32_e64 s5, 0, v31
	v_cmp_lt_u32_e64 s6, 1, v31
	v_cmp_lt_u32_e64 s7, 3, v31
	;; [unrolled: 1-line block ×3, first 2 shown]
	s_delay_alu instid0(VALU_DEP_4) | instskip(NEXT) | instid1(VALU_DEP_1)
	v_cndmask_b32_e64 v32, v32, 0, s5
	v_add_nc_u32_e32 v30, v32, v30
	s_delay_alu instid0(VALU_DEP_1) | instskip(NEXT) | instid1(VALU_DEP_1)
	v_mov_b32_dpp v32, v30 row_shr:2 row_mask:0xf bank_mask:0xf
	v_cndmask_b32_e64 v32, 0, v32, s6
	s_delay_alu instid0(VALU_DEP_1) | instskip(NEXT) | instid1(VALU_DEP_1)
	v_add_nc_u32_e32 v30, v30, v32
	v_mov_b32_dpp v32, v30 row_shr:4 row_mask:0xf bank_mask:0xf
	s_delay_alu instid0(VALU_DEP_1) | instskip(NEXT) | instid1(VALU_DEP_1)
	v_cndmask_b32_e64 v32, 0, v32, s7
	v_add_nc_u32_e32 v30, v30, v32
	s_delay_alu instid0(VALU_DEP_1) | instskip(NEXT) | instid1(VALU_DEP_1)
	v_mov_b32_dpp v32, v30 row_shr:8 row_mask:0xf bank_mask:0xf
	v_cndmask_b32_e64 v31, 0, v32, s8
	v_bfe_i32 v32, v12, 4, 1
	s_delay_alu instid0(VALU_DEP_2) | instskip(SKIP_4) | instid1(VALU_DEP_2)
	v_add_nc_u32_e32 v30, v30, v31
	ds_swizzle_b32 v31, v30 offset:swizzle(BROADCAST,32,15)
	s_waitcnt lgkmcnt(0)
	v_and_b32_e32 v32, v32, v31
	v_lshrrev_b32_e32 v31, 5, v5
	v_add_nc_u32_e32 v30, v30, v32
	v_cmpx_eq_u32_e32 31, v34
	s_cbranch_execz .LBB131_19
; %bb.18:
	s_delay_alu instid0(VALU_DEP_3)
	v_lshlrev_b32_e32 v32, 2, v31
	ds_store_b32 v32, v30
.LBB131_19:
	s_or_b32 exec_lo, exec_lo, s11
	v_cmp_lt_u32_e64 s10, 31, v5
	s_mov_b32 s35, exec_lo
	s_waitcnt lgkmcnt(0)
	s_barrier
	buffer_gl0_inv
	v_cmpx_gt_u32_e32 32, v5
	s_cbranch_execz .LBB131_21
; %bb.20:
	ds_load_b32 v32, v13
	s_waitcnt lgkmcnt(0)
	v_mov_b32_dpp v33, v32 row_shr:1 row_mask:0xf bank_mask:0xf
	s_delay_alu instid0(VALU_DEP_1) | instskip(NEXT) | instid1(VALU_DEP_1)
	v_cndmask_b32_e64 v33, v33, 0, s5
	v_add_nc_u32_e32 v32, v33, v32
	s_delay_alu instid0(VALU_DEP_1) | instskip(NEXT) | instid1(VALU_DEP_1)
	v_mov_b32_dpp v33, v32 row_shr:2 row_mask:0xf bank_mask:0xf
	v_cndmask_b32_e64 v33, 0, v33, s6
	s_delay_alu instid0(VALU_DEP_1) | instskip(NEXT) | instid1(VALU_DEP_1)
	v_add_nc_u32_e32 v32, v32, v33
	v_mov_b32_dpp v33, v32 row_shr:4 row_mask:0xf bank_mask:0xf
	s_delay_alu instid0(VALU_DEP_1) | instskip(NEXT) | instid1(VALU_DEP_1)
	v_cndmask_b32_e64 v33, 0, v33, s7
	v_add_nc_u32_e32 v32, v32, v33
	s_delay_alu instid0(VALU_DEP_1) | instskip(NEXT) | instid1(VALU_DEP_1)
	v_mov_b32_dpp v33, v32 row_shr:8 row_mask:0xf bank_mask:0xf
	v_cndmask_b32_e64 v33, 0, v33, s8
	s_delay_alu instid0(VALU_DEP_1) | instskip(SKIP_3) | instid1(VALU_DEP_1)
	v_add_nc_u32_e32 v32, v32, v33
	ds_swizzle_b32 v33, v32 offset:swizzle(BROADCAST,32,15)
	s_waitcnt lgkmcnt(0)
	v_cndmask_b32_e64 v33, v33, 0, s9
	v_add_nc_u32_e32 v32, v32, v33
	ds_store_b32 v13, v32
.LBB131_21:
	s_or_b32 exec_lo, exec_lo, s35
	v_mov_b32_e32 v32, 0
	s_waitcnt lgkmcnt(0)
	s_barrier
	buffer_gl0_inv
	s_and_saveexec_b32 s5, s10
	s_cbranch_execz .LBB131_23
; %bb.22:
	v_lshl_add_u32 v31, v31, 2, -4
	ds_load_b32 v32, v31
.LBB131_23:
	s_or_b32 exec_lo, exec_lo, s5
	v_add_nc_u32_e32 v31, -1, v12
	s_waitcnt lgkmcnt(0)
	v_add_nc_u32_e32 v30, v32, v30
	s_delay_alu instid0(VALU_DEP_2) | instskip(NEXT) | instid1(VALU_DEP_1)
	v_cmp_gt_i32_e64 s5, 0, v31
	v_cndmask_b32_e64 v31, v31, v12, s5
	v_cmp_eq_u32_e64 s5, 0, v12
	s_delay_alu instid0(VALU_DEP_2) | instskip(SKIP_4) | instid1(VALU_DEP_1)
	v_lshlrev_b32_e32 v31, 2, v31
	ds_bpermute_b32 v30, v31, v30
	s_waitcnt lgkmcnt(0)
	v_cndmask_b32_e64 v30, v30, v32, s5
	v_cmp_ne_u32_e64 s5, 0, v5
	v_cndmask_b32_e64 v30, 0, v30, s5
	v_cmp_gt_u32_e64 s5, 0x100, v5
	s_delay_alu instid0(VALU_DEP_2) | instskip(NEXT) | instid1(VALU_DEP_1)
	v_add_nc_u32_e32 v8, v30, v8
	v_add_nc_u32_e32 v9, v8, v9
	s_delay_alu instid0(VALU_DEP_1) | instskip(NEXT) | instid1(VALU_DEP_1)
	v_add_nc_u32_e32 v6, v9, v6
	v_add_nc_u32_e32 v7, v6, v7
	s_delay_alu instid0(VALU_DEP_1) | instskip(NEXT) | instid1(VALU_DEP_1)
	;; [unrolled: 3-line block ×3, first 2 shown]
	v_add_nc_u32_e32 v1, v4, v1
	v_add_nc_u32_e32 v2, v1, v2
	ds_store_2addr_b32 v14, v30, v8 offset0:32 offset1:33
	ds_store_2addr_b32 v29, v9, v6 offset0:2 offset1:3
	;; [unrolled: 1-line block ×4, first 2 shown]
	ds_store_b32 v29, v2 offset:32
	s_waitcnt lgkmcnt(0)
	s_barrier
	buffer_gl0_inv
	ds_load_b32 v1, v16 offset:128
	ds_load_b32 v2, v21 offset:128
	;; [unrolled: 1-line block ×4, first 2 shown]
                                        ; implicit-def: $vgpr14
                                        ; implicit-def: $vgpr16
	s_and_saveexec_b32 s7, s5
	s_cbranch_execz .LBB131_27
; %bb.24:
	v_mul_u32_u24_e32 v6, 33, v5
	s_mov_b32 s8, exec_lo
	s_delay_alu instid0(VALU_DEP_1)
	v_dual_mov_b32 v6, 0x1000 :: v_dual_lshlrev_b32 v7, 2, v6
	ds_load_b32 v14, v7 offset:128
	v_cmpx_ne_u32_e32 0xff, v5
	s_cbranch_execz .LBB131_26
; %bb.25:
	ds_load_b32 v6, v7 offset:260
.LBB131_26:
	s_or_b32 exec_lo, exec_lo, s8
	s_waitcnt lgkmcnt(0)
	v_sub_nc_u32_e32 v16, v6, v14
.LBB131_27:
	s_or_b32 exec_lo, exec_lo, s7
	s_waitcnt lgkmcnt(3)
	v_add_nc_u32_e32 v21, v1, v15
	s_waitcnt lgkmcnt(2)
	v_add3_u32 v19, v19, v18, v2
	s_waitcnt lgkmcnt(1)
	v_add3_u32 v18, v23, v22, v3
	;; [unrolled: 2-line block ×3, first 2 shown]
	v_lshlrev_b32_e32 v1, 2, v21
	v_lshlrev_b32_e32 v2, 2, v19
	;; [unrolled: 1-line block ×3, first 2 shown]
	s_delay_alu instid0(VALU_DEP_4)
	v_lshlrev_b32_e32 v4, 2, v15
	s_barrier
	buffer_gl0_inv
	ds_store_b32 v1, v11 offset:2048
	ds_store_b32 v2, v17 offset:2048
	;; [unrolled: 1-line block ×4, first 2 shown]
	s_waitcnt lgkmcnt(0)
	s_barrier
	buffer_gl0_inv
	s_and_saveexec_b32 s7, s5
	s_cbranch_execz .LBB131_37
; %bb.28:
	v_lshl_or_b32 v3, s15, 8, v5
	v_mov_b32_e32 v4, 0
	v_mov_b32_e32 v8, 0
	s_mov_b32 s8, 0
	s_mov_b32 s9, s15
	s_delay_alu instid0(VALU_DEP_2) | instskip(SKIP_1) | instid1(VALU_DEP_2)
	v_lshlrev_b64 v[1:2], 2, v[3:4]
	v_or_b32_e32 v3, 2.0, v16
	v_add_co_u32 v1, s6, s12, v1
	s_delay_alu instid0(VALU_DEP_1)
	v_add_co_ci_u32_e64 v2, s6, s13, v2, s6
                                        ; implicit-def: $sgpr6
	global_store_b32 v[1:2], v3, off
	s_branch .LBB131_30
	.p2align	6
.LBB131_29:                             ;   in Loop: Header=BB131_30 Depth=1
	s_or_b32 exec_lo, exec_lo, s10
	v_and_b32_e32 v6, 0x3fffffff, v9
	v_cmp_eq_u32_e64 s6, 0x80000000, v3
	s_delay_alu instid0(VALU_DEP_2) | instskip(NEXT) | instid1(VALU_DEP_2)
	v_add_nc_u32_e32 v8, v6, v8
	s_and_b32 s10, exec_lo, s6
	s_delay_alu instid0(SALU_CYCLE_1) | instskip(NEXT) | instid1(SALU_CYCLE_1)
	s_or_b32 s8, s10, s8
	s_and_not1_b32 exec_lo, exec_lo, s8
	s_cbranch_execz .LBB131_36
.LBB131_30:                             ; =>This Loop Header: Depth=1
                                        ;     Child Loop BB131_33 Depth 2
	s_or_b32 s6, s6, exec_lo
	s_cmp_eq_u32 s9, 0
	s_cbranch_scc1 .LBB131_35
; %bb.31:                               ;   in Loop: Header=BB131_30 Depth=1
	s_add_i32 s9, s9, -1
	s_mov_b32 s10, exec_lo
	v_lshl_or_b32 v3, s9, 8, v5
	s_delay_alu instid0(VALU_DEP_1) | instskip(NEXT) | instid1(VALU_DEP_1)
	v_lshlrev_b64 v[6:7], 2, v[3:4]
	v_add_co_u32 v6, s6, s12, v6
	s_delay_alu instid0(VALU_DEP_1) | instskip(SKIP_3) | instid1(VALU_DEP_1)
	v_add_co_ci_u32_e64 v7, s6, s13, v7, s6
	global_load_b32 v9, v[6:7], off glc
	s_waitcnt vmcnt(0)
	v_and_b32_e32 v3, -2.0, v9
	v_cmpx_eq_u32_e32 0, v3
	s_cbranch_execz .LBB131_29
; %bb.32:                               ;   in Loop: Header=BB131_30 Depth=1
	s_mov_b32 s11, 0
.LBB131_33:                             ;   Parent Loop BB131_30 Depth=1
                                        ; =>  This Inner Loop Header: Depth=2
	global_load_b32 v9, v[6:7], off glc
	s_waitcnt vmcnt(0)
	v_and_b32_e32 v3, -2.0, v9
	s_delay_alu instid0(VALU_DEP_1) | instskip(NEXT) | instid1(VALU_DEP_1)
	v_cmp_ne_u32_e64 s6, 0, v3
	s_or_b32 s11, s6, s11
	s_delay_alu instid0(SALU_CYCLE_1)
	s_and_not1_b32 exec_lo, exec_lo, s11
	s_cbranch_execnz .LBB131_33
; %bb.34:                               ;   in Loop: Header=BB131_30 Depth=1
	s_or_b32 exec_lo, exec_lo, s11
	s_branch .LBB131_29
.LBB131_35:                             ;   in Loop: Header=BB131_30 Depth=1
                                        ; implicit-def: $sgpr9
	s_and_b32 s10, exec_lo, s6
	s_delay_alu instid0(SALU_CYCLE_1) | instskip(NEXT) | instid1(SALU_CYCLE_1)
	s_or_b32 s8, s10, s8
	s_and_not1_b32 exec_lo, exec_lo, s8
	s_cbranch_execnz .LBB131_30
.LBB131_36:
	s_or_b32 exec_lo, exec_lo, s8
	v_add_nc_u32_e32 v3, v8, v16
	v_lshlrev_b32_e32 v4, 3, v5
	s_delay_alu instid0(VALU_DEP_2) | instskip(SKIP_3) | instid1(VALU_DEP_1)
	v_or_b32_e32 v3, 0x80000000, v3
	global_store_b32 v[1:2], v3, off
	global_load_b64 v[1:2], v4, s[24:25]
	v_sub_co_u32 v3, s6, v8, v14
	v_sub_co_ci_u32_e64 v6, null, 0, 0, s6
	s_waitcnt vmcnt(0)
	s_delay_alu instid0(VALU_DEP_2) | instskip(NEXT) | instid1(VALU_DEP_1)
	v_add_co_u32 v1, s6, v3, v1
	v_add_co_ci_u32_e64 v2, s6, v6, v2, s6
	ds_store_b64 v4, v[1:2]
.LBB131_37:
	s_or_b32 exec_lo, exec_lo, s7
	v_cmp_gt_u32_e64 s6, s34, v5
	s_waitcnt lgkmcnt(0)
	s_waitcnt_vscnt null, 0x0
	s_barrier
	buffer_gl0_inv
	s_and_saveexec_b32 s8, s6
	s_cbranch_execz .LBB131_39
; %bb.38:
	ds_load_b32 v3, v13 offset:2048
	s_waitcnt lgkmcnt(0)
	v_cmp_ne_u32_e64 s7, 0x80000000, v3
	s_delay_alu instid0(VALU_DEP_1) | instskip(SKIP_1) | instid1(VALU_DEP_2)
	v_cndmask_b32_e64 v1, 0x7fffffff, v3, s7
	v_cmp_gt_i32_e64 s7, 0, v3
	v_lshrrev_b32_e32 v1, s28, v1
	s_delay_alu instid0(VALU_DEP_2) | instskip(NEXT) | instid1(VALU_DEP_2)
	v_cndmask_b32_e64 v4, 0x7fffffff, 0, s7
	v_and_b32_e32 v1, s33, v1
	s_delay_alu instid0(VALU_DEP_2) | instskip(NEXT) | instid1(VALU_DEP_2)
	v_xor_b32_e32 v3, v4, v3
	v_lshlrev_b32_e32 v1, 3, v1
	ds_load_b64 v[1:2], v1
	s_waitcnt lgkmcnt(0)
	v_lshlrev_b64 v[1:2], 2, v[1:2]
	s_delay_alu instid0(VALU_DEP_1) | instskip(NEXT) | instid1(VALU_DEP_1)
	v_add_co_u32 v1, s7, s18, v1
	v_add_co_ci_u32_e64 v2, s7, s19, v2, s7
	s_delay_alu instid0(VALU_DEP_2) | instskip(NEXT) | instid1(VALU_DEP_1)
	v_add_co_u32 v1, s7, v1, v13
	v_add_co_ci_u32_e64 v2, s7, 0, v2, s7
	global_store_b32 v[1:2], v3, off
.LBB131_39:
	s_or_b32 exec_lo, exec_lo, s8
	v_or_b32_e32 v17, 0x400, v5
	s_delay_alu instid0(VALU_DEP_1) | instskip(NEXT) | instid1(VALU_DEP_1)
	v_cmp_gt_u32_e64 s7, s34, v17
	s_and_saveexec_b32 s9, s7
	s_cbranch_execz .LBB131_41
; %bb.40:
	ds_load_b32 v3, v13 offset:6144
	v_lshlrev_b32_e32 v4, 2, v17
	s_waitcnt lgkmcnt(0)
	v_cmp_ne_u32_e64 s8, 0x80000000, v3
	s_delay_alu instid0(VALU_DEP_1) | instskip(SKIP_1) | instid1(VALU_DEP_2)
	v_cndmask_b32_e64 v1, 0x7fffffff, v3, s8
	v_cmp_gt_i32_e64 s8, 0, v3
	v_lshrrev_b32_e32 v1, s28, v1
	s_delay_alu instid0(VALU_DEP_2) | instskip(NEXT) | instid1(VALU_DEP_2)
	v_cndmask_b32_e64 v6, 0x7fffffff, 0, s8
	v_and_b32_e32 v1, s33, v1
	s_delay_alu instid0(VALU_DEP_2) | instskip(NEXT) | instid1(VALU_DEP_2)
	v_xor_b32_e32 v3, v6, v3
	v_lshlrev_b32_e32 v1, 3, v1
	ds_load_b64 v[1:2], v1
	s_waitcnt lgkmcnt(0)
	v_lshlrev_b64 v[1:2], 2, v[1:2]
	s_delay_alu instid0(VALU_DEP_1) | instskip(NEXT) | instid1(VALU_DEP_1)
	v_add_co_u32 v1, s8, s18, v1
	v_add_co_ci_u32_e64 v2, s8, s19, v2, s8
	s_delay_alu instid0(VALU_DEP_2) | instskip(NEXT) | instid1(VALU_DEP_1)
	v_add_co_u32 v1, s8, v1, v4
	v_add_co_ci_u32_e64 v2, s8, 0, v2, s8
	global_store_b32 v[1:2], v3, off
.LBB131_41:
	s_or_b32 exec_lo, exec_lo, s9
	v_or_b32_e32 v20, 0x800, v5
	s_delay_alu instid0(VALU_DEP_1) | instskip(NEXT) | instid1(VALU_DEP_1)
	v_cmp_gt_u32_e64 s8, s34, v20
	s_and_saveexec_b32 s10, s8
	s_cbranch_execz .LBB131_43
; %bb.42:
	ds_load_b32 v3, v13 offset:10240
	v_lshlrev_b32_e32 v4, 2, v20
	s_waitcnt lgkmcnt(0)
	v_cmp_ne_u32_e64 s9, 0x80000000, v3
	s_delay_alu instid0(VALU_DEP_1) | instskip(SKIP_1) | instid1(VALU_DEP_2)
	v_cndmask_b32_e64 v1, 0x7fffffff, v3, s9
	v_cmp_gt_i32_e64 s9, 0, v3
	v_lshrrev_b32_e32 v1, s28, v1
	s_delay_alu instid0(VALU_DEP_2) | instskip(NEXT) | instid1(VALU_DEP_2)
	v_cndmask_b32_e64 v6, 0x7fffffff, 0, s9
	v_and_b32_e32 v1, s33, v1
	s_delay_alu instid0(VALU_DEP_2) | instskip(NEXT) | instid1(VALU_DEP_2)
	v_xor_b32_e32 v3, v6, v3
	v_lshlrev_b32_e32 v1, 3, v1
	ds_load_b64 v[1:2], v1
	s_waitcnt lgkmcnt(0)
	v_lshlrev_b64 v[1:2], 2, v[1:2]
	s_delay_alu instid0(VALU_DEP_1) | instskip(NEXT) | instid1(VALU_DEP_1)
	v_add_co_u32 v1, s9, s18, v1
	v_add_co_ci_u32_e64 v2, s9, s19, v2, s9
	s_delay_alu instid0(VALU_DEP_2) | instskip(NEXT) | instid1(VALU_DEP_1)
	v_add_co_u32 v1, s9, v1, v4
	v_add_co_ci_u32_e64 v2, s9, 0, v2, s9
	global_store_b32 v[1:2], v3, off
.LBB131_43:
	;; [unrolled: 32-line block ×3, first 2 shown]
	s_or_b32 exec_lo, exec_lo, s11
	v_lshlrev_b32_e32 v1, 3, v12
	s_lshl_b64 s[10:11], s[30:31], 3
	v_lshlrev_b32_e32 v2, 3, v10
	s_add_u32 s10, s20, s10
	s_addc_u32 s11, s21, s11
	v_add_co_u32 v1, s10, s10, v1
	s_delay_alu instid0(VALU_DEP_1) | instskip(NEXT) | instid1(VALU_DEP_2)
	v_add_co_ci_u32_e64 v3, null, s11, 0, s10
	v_add_co_u32 v10, s10, v1, v2
	s_delay_alu instid0(VALU_DEP_1) | instskip(SKIP_1) | instid1(SALU_CYCLE_1)
	v_add_co_ci_u32_e64 v11, s10, 0, v3, s10
                                        ; implicit-def: $vgpr1_vgpr2
	s_and_saveexec_b32 s10, vcc_lo
	s_xor_b32 s10, exec_lo, s10
	s_cbranch_execnz .LBB131_103
; %bb.46:
	s_or_b32 exec_lo, exec_lo, s10
                                        ; implicit-def: $vgpr3_vgpr4
	s_and_saveexec_b32 s10, s2
	s_cbranch_execnz .LBB131_104
.LBB131_47:
	s_or_b32 exec_lo, exec_lo, s10
                                        ; implicit-def: $vgpr6_vgpr7
	s_and_saveexec_b32 s2, s3
	s_cbranch_execnz .LBB131_105
.LBB131_48:
	s_or_b32 exec_lo, exec_lo, s2
                                        ; implicit-def: $vgpr8_vgpr9
	s_and_saveexec_b32 s2, s4
	s_cbranch_execz .LBB131_50
.LBB131_49:
	global_load_b64 v[8:9], v[10:11], off offset:768
.LBB131_50:
	s_or_b32 exec_lo, exec_lo, s2
	v_dual_mov_b32 v11, 0 :: v_dual_mov_b32 v24, 0
	s_and_saveexec_b32 s2, s6
	s_cbranch_execz .LBB131_52
; %bb.51:
	ds_load_b32 v10, v13 offset:2048
	s_waitcnt lgkmcnt(0)
	v_cmp_ne_u32_e32 vcc_lo, 0x80000000, v10
	v_cndmask_b32_e32 v10, 0x7fffffff, v10, vcc_lo
	s_delay_alu instid0(VALU_DEP_1) | instskip(NEXT) | instid1(VALU_DEP_1)
	v_lshrrev_b32_e32 v10, s28, v10
	v_and_b32_e32 v24, s33, v10
.LBB131_52:
	s_or_b32 exec_lo, exec_lo, s2
	s_and_saveexec_b32 s2, s7
	s_cbranch_execz .LBB131_54
; %bb.53:
	ds_load_b32 v10, v13 offset:6144
	s_waitcnt lgkmcnt(0)
	v_cmp_ne_u32_e32 vcc_lo, 0x80000000, v10
	v_cndmask_b32_e32 v10, 0x7fffffff, v10, vcc_lo
	s_delay_alu instid0(VALU_DEP_1) | instskip(NEXT) | instid1(VALU_DEP_1)
	v_lshrrev_b32_e32 v10, s28, v10
	v_and_b32_e32 v11, s33, v10
.LBB131_54:
	s_or_b32 exec_lo, exec_lo, s2
	v_dual_mov_b32 v10, 0 :: v_dual_mov_b32 v23, 0
	s_and_saveexec_b32 s2, s8
	s_cbranch_execz .LBB131_56
; %bb.55:
	ds_load_b32 v23, v13 offset:10240
	s_waitcnt lgkmcnt(0)
	v_cmp_ne_u32_e32 vcc_lo, 0x80000000, v23
	v_cndmask_b32_e32 v23, 0x7fffffff, v23, vcc_lo
	s_delay_alu instid0(VALU_DEP_1) | instskip(NEXT) | instid1(VALU_DEP_1)
	v_lshrrev_b32_e32 v23, s28, v23
	v_and_b32_e32 v23, s33, v23
.LBB131_56:
	s_or_b32 exec_lo, exec_lo, s2
	s_and_saveexec_b32 s2, s9
	s_cbranch_execz .LBB131_58
; %bb.57:
	ds_load_b32 v10, v13 offset:14336
	s_waitcnt lgkmcnt(0)
	v_cmp_ne_u32_e32 vcc_lo, 0x80000000, v10
	v_cndmask_b32_e32 v10, 0x7fffffff, v10, vcc_lo
	s_delay_alu instid0(VALU_DEP_1) | instskip(NEXT) | instid1(VALU_DEP_1)
	v_lshrrev_b32_e32 v10, s28, v10
	v_and_b32_e32 v10, s33, v10
.LBB131_58:
	s_or_b32 exec_lo, exec_lo, s2
	v_lshlrev_b32_e32 v13, 3, v21
	v_lshlrev_b32_e32 v19, 3, v19
	;; [unrolled: 1-line block ×3, first 2 shown]
	s_waitcnt vmcnt(0)
	s_waitcnt_vscnt null, 0x0
	s_barrier
	buffer_gl0_inv
	v_lshlrev_b32_e32 v15, 3, v15
	ds_store_b64 v13, v[1:2] offset:2048
	ds_store_b64 v19, v[3:4] offset:2048
	;; [unrolled: 1-line block ×3, first 2 shown]
	v_lshlrev_b32_e32 v1, 3, v5
	ds_store_b64 v15, v[8:9] offset:2048
	s_waitcnt lgkmcnt(0)
	s_barrier
	buffer_gl0_inv
	s_and_saveexec_b32 s2, s6
	s_cbranch_execnz .LBB131_106
; %bb.59:
	s_or_b32 exec_lo, exec_lo, s2
	s_and_saveexec_b32 s2, s7
	s_cbranch_execnz .LBB131_107
.LBB131_60:
	s_or_b32 exec_lo, exec_lo, s2
	s_and_saveexec_b32 s2, s8
	s_cbranch_execnz .LBB131_108
.LBB131_61:
	s_or_b32 exec_lo, exec_lo, s2
	s_and_saveexec_b32 s2, s9
	s_cbranch_execz .LBB131_63
.LBB131_62:
	v_lshlrev_b32_e32 v2, 3, v10
	ds_load_b64 v[2:3], v2
	ds_load_b64 v[6:7], v1 offset:26624
	s_waitcnt lgkmcnt(1)
	v_lshlrev_b64 v[1:2], 3, v[2:3]
	v_lshlrev_b32_e32 v3, 3, v22
	s_delay_alu instid0(VALU_DEP_2) | instskip(NEXT) | instid1(VALU_DEP_3)
	v_add_co_u32 v1, vcc_lo, s22, v1
	v_add_co_ci_u32_e32 v2, vcc_lo, s23, v2, vcc_lo
	s_delay_alu instid0(VALU_DEP_2) | instskip(NEXT) | instid1(VALU_DEP_2)
	v_add_co_u32 v1, vcc_lo, v1, v3
	v_add_co_ci_u32_e32 v2, vcc_lo, 0, v2, vcc_lo
	s_waitcnt lgkmcnt(0)
	global_store_b64 v[1:2], v[6:7], off
.LBB131_63:
	s_or_b32 exec_lo, exec_lo, s2
	s_add_i32 s14, s14, -1
	s_mov_b32 s2, 0
	s_cmp_eq_u32 s15, s14
	s_mov_b32 s8, 0
	s_cselect_b32 s3, -1, 0
                                        ; implicit-def: $vgpr2_vgpr3
	s_delay_alu instid0(SALU_CYCLE_1) | instskip(NEXT) | instid1(SALU_CYCLE_1)
	s_and_b32 s3, s5, s3
	s_and_saveexec_b32 s4, s3
	s_delay_alu instid0(SALU_CYCLE_1)
	s_xor_b32 s3, exec_lo, s4
; %bb.64:
	v_add_co_u32 v2, s4, v14, v16
	v_mov_b32_e32 v6, 0
	v_add_co_ci_u32_e64 v3, null, 0, 0, s4
	s_mov_b32 s8, exec_lo
; %bb.65:
	s_or_b32 exec_lo, exec_lo, s3
	s_delay_alu instid0(SALU_CYCLE_1)
	s_and_b32 vcc_lo, exec_lo, s2
	s_cbranch_vccnz .LBB131_67
	s_branch .LBB131_100
.LBB131_66:
	s_mov_b32 s8, 0
                                        ; implicit-def: $vgpr2_vgpr3
	s_cbranch_execz .LBB131_100
.LBB131_67:
	v_dual_mov_b32 v9, 0 :: v_dual_lshlrev_b32 v4, 2, v5
	s_lshl_b32 s6, s15, 12
	s_mov_b32 s7, 0
	v_lshlrev_b32_e32 v1, 2, v12
	s_delay_alu instid0(VALU_DEP_2) | instskip(SKIP_1) | instid1(SALU_CYCLE_1)
	v_and_b32_e32 v10, 0xf80, v4
	s_lshl_b64 s[2:3], s[6:7], 2
	s_add_u32 s2, s16, s2
	s_addc_u32 s3, s17, s3
	s_delay_alu instid0(VALU_DEP_1) | instskip(SKIP_1) | instid1(VALU_DEP_1)
	v_lshlrev_b32_e32 v2, 2, v10
	v_add_co_u32 v1, s2, s2, v1
	v_add_co_ci_u32_e64 v3, null, s3, 0, s2
	s_delay_alu instid0(VALU_DEP_2) | instskip(NEXT) | instid1(VALU_DEP_2)
	v_add_co_u32 v6, vcc_lo, v1, v2
	v_add_co_ci_u32_e32 v7, vcc_lo, 0, v3, vcc_lo
	global_load_b32 v8, v[6:7], off
	s_clause 0x1
	s_load_b32 s2, s[0:1], 0x5c
	s_load_b32 s9, s[0:1], 0x50
	s_add_u32 s0, s0, 0x50
	s_addc_u32 s1, s1, 0
	s_waitcnt lgkmcnt(0)
	s_lshr_b32 s2, s2, 16
	s_cmp_lt_u32 s15, s9
	s_cselect_b32 s3, 12, 18
	s_delay_alu instid0(SALU_CYCLE_1)
	s_add_u32 s0, s0, s3
	s_addc_u32 s1, s1, 0
	global_load_u16 v13, v9, s[0:1]
	s_clause 0x2
	global_load_b32 v3, v[6:7], off offset:128
	global_load_b32 v2, v[6:7], off offset:256
	;; [unrolled: 1-line block ×3, first 2 shown]
	s_lshl_b32 s0, -1, s29
	s_delay_alu instid0(SALU_CYCLE_1) | instskip(SKIP_3) | instid1(VALU_DEP_1)
	s_not_b32 s10, s0
	s_waitcnt vmcnt(4)
	v_cmp_gt_i32_e32 vcc_lo, 0, v8
	v_cndmask_b32_e64 v6, 0x7fffffff, 0, vcc_lo
	v_xor_b32_e32 v11, v6, v8
	s_delay_alu instid0(VALU_DEP_1) | instskip(SKIP_1) | instid1(VALU_DEP_1)
	v_cmp_ne_u32_e32 vcc_lo, 0x80000000, v11
	v_cndmask_b32_e32 v6, 0x7fffffff, v11, vcc_lo
	v_lshrrev_b32_e32 v6, s28, v6
	s_delay_alu instid0(VALU_DEP_1) | instskip(SKIP_2) | instid1(VALU_DEP_3)
	v_and_b32_e32 v14, s10, v6
	v_bfe_u32 v6, v0, 10, 10
	v_bfe_u32 v0, v0, 20, 10
	v_and_b32_e32 v7, 1, v14
	v_lshlrev_b32_e32 v8, 30, v14
	v_lshlrev_b32_e32 v15, 29, v14
	;; [unrolled: 1-line block ×4, first 2 shown]
	v_add_co_u32 v7, s0, v7, -1
	s_delay_alu instid0(VALU_DEP_1)
	v_cndmask_b32_e64 v17, 0, 1, s0
	v_not_b32_e32 v21, v8
	v_cmp_gt_i32_e64 s0, 0, v8
	v_not_b32_e32 v8, v15
	v_lshlrev_b32_e32 v19, 26, v14
	v_cmp_ne_u32_e32 vcc_lo, 0, v17
	v_ashrrev_i32_e32 v21, 31, v21
	v_lshlrev_b32_e32 v20, 25, v14
	v_ashrrev_i32_e32 v8, 31, v8
	v_lshlrev_b32_e32 v17, 24, v14
	v_xor_b32_e32 v7, vcc_lo, v7
	v_cmp_gt_i32_e32 vcc_lo, 0, v15
	v_not_b32_e32 v15, v16
	v_xor_b32_e32 v21, s0, v21
	v_cmp_gt_i32_e64 s0, 0, v16
	v_and_b32_e32 v7, exec_lo, v7
	v_not_b32_e32 v16, v18
	v_ashrrev_i32_e32 v15, 31, v15
	v_xor_b32_e32 v8, vcc_lo, v8
	v_cmp_gt_i32_e32 vcc_lo, 0, v18
	v_and_b32_e32 v7, v7, v21
	v_not_b32_e32 v18, v19
	v_ashrrev_i32_e32 v16, 31, v16
	v_xor_b32_e32 v15, s0, v15
	v_cmp_gt_i32_e64 s0, 0, v19
	v_and_b32_e32 v7, v7, v8
	v_not_b32_e32 v8, v20
	v_ashrrev_i32_e32 v18, 31, v18
	v_xor_b32_e32 v16, vcc_lo, v16
	v_cmp_gt_i32_e32 vcc_lo, 0, v20
	v_and_b32_e32 v7, v7, v15
	v_not_b32_e32 v15, v17
	v_ashrrev_i32_e32 v8, 31, v8
	v_xor_b32_e32 v18, s0, v18
	v_cmp_gt_i32_e64 s0, 0, v17
	v_and_b32_e32 v7, v7, v16
	v_ashrrev_i32_e32 v15, 31, v15
	v_xor_b32_e32 v8, vcc_lo, v8
	v_mad_u32_u24 v0, v0, s2, v6
	v_mul_u32_u24_e32 v16, 9, v5
	v_and_b32_e32 v7, v7, v18
	v_xor_b32_e32 v6, s0, v15
	s_delay_alu instid0(VALU_DEP_3) | instskip(NEXT) | instid1(VALU_DEP_3)
	v_lshlrev_b32_e32 v15, 2, v16
	v_and_b32_e32 v17, v7, v8
	s_waitcnt vmcnt(3)
	s_delay_alu instid0(VALU_DEP_3)
	v_mad_u64_u32 v[7:8], null, v0, v13, v[5:6]
	ds_store_2addr_b32 v15, v9, v9 offset0:32 offset1:33
	ds_store_2addr_b32 v15, v9, v9 offset0:34 offset1:35
	;; [unrolled: 1-line block ×4, first 2 shown]
	v_and_b32_e32 v6, v17, v6
	ds_store_b32 v15, v9 offset:160
	s_waitcnt vmcnt(0) lgkmcnt(0)
	s_waitcnt_vscnt null, 0x0
	s_barrier
	v_lshrrev_b32_e32 v0, 5, v7
	v_mbcnt_lo_u32_b32 v13, v6, 0
	v_lshl_add_u32 v7, v14, 5, v14
	v_cmp_ne_u32_e64 s0, 0, v6
	buffer_gl0_inv
	v_cmp_eq_u32_e32 vcc_lo, 0, v13
	v_add_lshl_u32 v16, v0, v7, 2
	; wave barrier
	s_and_b32 s1, s0, vcc_lo
	s_delay_alu instid0(SALU_CYCLE_1)
	s_and_saveexec_b32 s0, s1
	s_cbranch_execz .LBB131_69
; %bb.68:
	v_bcnt_u32_b32 v6, v6, 0
	ds_store_b32 v16, v6 offset:128
.LBB131_69:
	s_or_b32 exec_lo, exec_lo, s0
	v_cmp_gt_i32_e32 vcc_lo, 0, v3
	; wave barrier
	v_cndmask_b32_e64 v6, 0x7fffffff, 0, vcc_lo
	s_delay_alu instid0(VALU_DEP_1) | instskip(NEXT) | instid1(VALU_DEP_1)
	v_xor_b32_e32 v14, v6, v3
	v_cmp_ne_u32_e32 vcc_lo, 0x80000000, v14
	v_cndmask_b32_e32 v3, 0x7fffffff, v14, vcc_lo
	s_delay_alu instid0(VALU_DEP_1) | instskip(NEXT) | instid1(VALU_DEP_1)
	v_lshrrev_b32_e32 v3, s28, v3
	v_and_b32_e32 v3, s10, v3
	s_delay_alu instid0(VALU_DEP_1)
	v_and_b32_e32 v6, 1, v3
	v_lshlrev_b32_e32 v7, 30, v3
	v_lshlrev_b32_e32 v8, 29, v3
	;; [unrolled: 1-line block ×4, first 2 shown]
	v_add_co_u32 v6, s0, v6, -1
	s_delay_alu instid0(VALU_DEP_1)
	v_cndmask_b32_e64 v17, 0, 1, s0
	v_not_b32_e32 v21, v7
	v_cmp_gt_i32_e64 s0, 0, v7
	v_not_b32_e32 v7, v8
	v_lshlrev_b32_e32 v19, 26, v3
	v_cmp_ne_u32_e32 vcc_lo, 0, v17
	v_ashrrev_i32_e32 v21, 31, v21
	v_lshlrev_b32_e32 v20, 25, v3
	v_ashrrev_i32_e32 v7, 31, v7
	v_lshlrev_b32_e32 v17, 24, v3
	v_xor_b32_e32 v6, vcc_lo, v6
	v_cmp_gt_i32_e32 vcc_lo, 0, v8
	v_not_b32_e32 v8, v9
	v_xor_b32_e32 v21, s0, v21
	v_cmp_gt_i32_e64 s0, 0, v9
	v_and_b32_e32 v6, exec_lo, v6
	v_not_b32_e32 v9, v18
	v_ashrrev_i32_e32 v8, 31, v8
	v_xor_b32_e32 v7, vcc_lo, v7
	v_cmp_gt_i32_e32 vcc_lo, 0, v18
	v_and_b32_e32 v6, v6, v21
	v_not_b32_e32 v18, v19
	v_ashrrev_i32_e32 v9, 31, v9
	v_xor_b32_e32 v8, s0, v8
	v_cmp_gt_i32_e64 s0, 0, v19
	v_and_b32_e32 v6, v6, v7
	v_not_b32_e32 v7, v20
	v_ashrrev_i32_e32 v18, 31, v18
	v_xor_b32_e32 v9, vcc_lo, v9
	v_cmp_gt_i32_e32 vcc_lo, 0, v20
	v_and_b32_e32 v6, v6, v8
	v_not_b32_e32 v8, v17
	v_ashrrev_i32_e32 v7, 31, v7
	v_xor_b32_e32 v18, s0, v18
	v_lshl_add_u32 v3, v3, 5, v3
	v_and_b32_e32 v6, v6, v9
	v_cmp_gt_i32_e64 s0, 0, v17
	v_ashrrev_i32_e32 v8, 31, v8
	v_xor_b32_e32 v7, vcc_lo, v7
	v_add_lshl_u32 v20, v0, v3, 2
	v_and_b32_e32 v6, v6, v18
	s_delay_alu instid0(VALU_DEP_4) | instskip(SKIP_2) | instid1(VALU_DEP_1)
	v_xor_b32_e32 v3, s0, v8
	ds_load_b32 v17, v20 offset:128
	v_and_b32_e32 v6, v6, v7
	; wave barrier
	v_and_b32_e32 v3, v6, v3
	s_delay_alu instid0(VALU_DEP_1) | instskip(SKIP_1) | instid1(VALU_DEP_2)
	v_mbcnt_lo_u32_b32 v18, v3, 0
	v_cmp_ne_u32_e64 s0, 0, v3
	v_cmp_eq_u32_e32 vcc_lo, 0, v18
	s_delay_alu instid0(VALU_DEP_2) | instskip(NEXT) | instid1(SALU_CYCLE_1)
	s_and_b32 s1, s0, vcc_lo
	s_and_saveexec_b32 s0, s1
	s_cbranch_execz .LBB131_71
; %bb.70:
	s_waitcnt lgkmcnt(0)
	v_bcnt_u32_b32 v3, v3, v17
	ds_store_b32 v20, v3 offset:128
.LBB131_71:
	s_or_b32 exec_lo, exec_lo, s0
	v_cmp_gt_i32_e32 vcc_lo, 0, v2
	; wave barrier
	v_cndmask_b32_e64 v3, 0x7fffffff, 0, vcc_lo
	s_delay_alu instid0(VALU_DEP_1) | instskip(NEXT) | instid1(VALU_DEP_1)
	v_xor_b32_e32 v19, v3, v2
	v_cmp_ne_u32_e32 vcc_lo, 0x80000000, v19
	v_cndmask_b32_e32 v2, 0x7fffffff, v19, vcc_lo
	s_delay_alu instid0(VALU_DEP_1) | instskip(NEXT) | instid1(VALU_DEP_1)
	v_lshrrev_b32_e32 v2, s28, v2
	v_and_b32_e32 v2, s10, v2
	s_delay_alu instid0(VALU_DEP_1)
	v_and_b32_e32 v3, 1, v2
	v_lshlrev_b32_e32 v6, 30, v2
	v_lshlrev_b32_e32 v7, 29, v2
	;; [unrolled: 1-line block ×4, first 2 shown]
	v_add_co_u32 v3, s0, v3, -1
	s_delay_alu instid0(VALU_DEP_1)
	v_cndmask_b32_e64 v9, 0, 1, s0
	v_not_b32_e32 v24, v6
	v_cmp_gt_i32_e64 s0, 0, v6
	v_not_b32_e32 v6, v7
	v_lshlrev_b32_e32 v22, 26, v2
	v_cmp_ne_u32_e32 vcc_lo, 0, v9
	v_ashrrev_i32_e32 v24, 31, v24
	v_lshlrev_b32_e32 v23, 25, v2
	v_ashrrev_i32_e32 v6, 31, v6
	v_lshlrev_b32_e32 v9, 24, v2
	v_xor_b32_e32 v3, vcc_lo, v3
	v_cmp_gt_i32_e32 vcc_lo, 0, v7
	v_not_b32_e32 v7, v8
	v_xor_b32_e32 v24, s0, v24
	v_cmp_gt_i32_e64 s0, 0, v8
	v_and_b32_e32 v3, exec_lo, v3
	v_not_b32_e32 v8, v21
	v_ashrrev_i32_e32 v7, 31, v7
	v_xor_b32_e32 v6, vcc_lo, v6
	v_cmp_gt_i32_e32 vcc_lo, 0, v21
	v_and_b32_e32 v3, v3, v24
	v_not_b32_e32 v21, v22
	v_ashrrev_i32_e32 v8, 31, v8
	v_xor_b32_e32 v7, s0, v7
	v_cmp_gt_i32_e64 s0, 0, v22
	v_and_b32_e32 v3, v3, v6
	v_not_b32_e32 v6, v23
	v_ashrrev_i32_e32 v21, 31, v21
	v_xor_b32_e32 v8, vcc_lo, v8
	v_cmp_gt_i32_e32 vcc_lo, 0, v23
	v_and_b32_e32 v3, v3, v7
	v_not_b32_e32 v7, v9
	v_ashrrev_i32_e32 v6, 31, v6
	v_xor_b32_e32 v21, s0, v21
	v_lshl_add_u32 v2, v2, 5, v2
	v_and_b32_e32 v3, v3, v8
	v_cmp_gt_i32_e64 s0, 0, v9
	v_ashrrev_i32_e32 v7, 31, v7
	v_xor_b32_e32 v6, vcc_lo, v6
	v_add_lshl_u32 v24, v0, v2, 2
	v_and_b32_e32 v3, v3, v21
	s_delay_alu instid0(VALU_DEP_4) | instskip(SKIP_2) | instid1(VALU_DEP_1)
	v_xor_b32_e32 v2, s0, v7
	ds_load_b32 v21, v24 offset:128
	v_and_b32_e32 v3, v3, v6
	; wave barrier
	v_and_b32_e32 v2, v3, v2
	s_delay_alu instid0(VALU_DEP_1) | instskip(SKIP_1) | instid1(VALU_DEP_2)
	v_mbcnt_lo_u32_b32 v22, v2, 0
	v_cmp_ne_u32_e64 s0, 0, v2
	v_cmp_eq_u32_e32 vcc_lo, 0, v22
	s_delay_alu instid0(VALU_DEP_2) | instskip(NEXT) | instid1(SALU_CYCLE_1)
	s_and_b32 s1, s0, vcc_lo
	s_and_saveexec_b32 s0, s1
	s_cbranch_execz .LBB131_73
; %bb.72:
	s_waitcnt lgkmcnt(0)
	v_bcnt_u32_b32 v2, v2, v21
	ds_store_b32 v24, v2 offset:128
.LBB131_73:
	s_or_b32 exec_lo, exec_lo, s0
	v_cmp_gt_i32_e32 vcc_lo, 0, v1
	; wave barrier
	v_add_nc_u32_e32 v28, 0x80, v15
	v_cndmask_b32_e64 v2, 0x7fffffff, 0, vcc_lo
	s_delay_alu instid0(VALU_DEP_1) | instskip(NEXT) | instid1(VALU_DEP_1)
	v_xor_b32_e32 v23, v2, v1
	v_cmp_ne_u32_e32 vcc_lo, 0x80000000, v23
	v_cndmask_b32_e32 v1, 0x7fffffff, v23, vcc_lo
	s_delay_alu instid0(VALU_DEP_1) | instskip(NEXT) | instid1(VALU_DEP_1)
	v_lshrrev_b32_e32 v1, s28, v1
	v_and_b32_e32 v1, s10, v1
	s_delay_alu instid0(VALU_DEP_1)
	v_and_b32_e32 v2, 1, v1
	v_lshlrev_b32_e32 v3, 30, v1
	v_lshlrev_b32_e32 v6, 29, v1
	;; [unrolled: 1-line block ×4, first 2 shown]
	v_add_co_u32 v2, s0, v2, -1
	s_delay_alu instid0(VALU_DEP_1)
	v_cndmask_b32_e64 v8, 0, 1, s0
	v_not_b32_e32 v27, v3
	v_cmp_gt_i32_e64 s0, 0, v3
	v_not_b32_e32 v3, v6
	v_lshlrev_b32_e32 v25, 26, v1
	v_cmp_ne_u32_e32 vcc_lo, 0, v8
	v_ashrrev_i32_e32 v27, 31, v27
	v_lshlrev_b32_e32 v26, 25, v1
	v_ashrrev_i32_e32 v3, 31, v3
	v_lshlrev_b32_e32 v8, 24, v1
	v_xor_b32_e32 v2, vcc_lo, v2
	v_cmp_gt_i32_e32 vcc_lo, 0, v6
	v_not_b32_e32 v6, v7
	v_xor_b32_e32 v27, s0, v27
	v_cmp_gt_i32_e64 s0, 0, v7
	v_and_b32_e32 v2, exec_lo, v2
	v_not_b32_e32 v7, v9
	v_ashrrev_i32_e32 v6, 31, v6
	v_xor_b32_e32 v3, vcc_lo, v3
	v_cmp_gt_i32_e32 vcc_lo, 0, v9
	v_and_b32_e32 v2, v2, v27
	v_not_b32_e32 v9, v25
	v_ashrrev_i32_e32 v7, 31, v7
	v_xor_b32_e32 v6, s0, v6
	v_cmp_gt_i32_e64 s0, 0, v25
	v_and_b32_e32 v2, v2, v3
	v_not_b32_e32 v3, v26
	v_ashrrev_i32_e32 v9, 31, v9
	v_xor_b32_e32 v7, vcc_lo, v7
	v_cmp_gt_i32_e32 vcc_lo, 0, v26
	v_and_b32_e32 v2, v2, v6
	v_not_b32_e32 v6, v8
	v_ashrrev_i32_e32 v3, 31, v3
	v_xor_b32_e32 v9, s0, v9
	v_lshl_add_u32 v1, v1, 5, v1
	v_and_b32_e32 v2, v2, v7
	v_cmp_gt_i32_e64 s0, 0, v8
	v_ashrrev_i32_e32 v6, 31, v6
	v_xor_b32_e32 v3, vcc_lo, v3
	v_add_lshl_u32 v27, v1, v0, 2
	v_and_b32_e32 v2, v2, v9
	s_delay_alu instid0(VALU_DEP_4) | instskip(SKIP_2) | instid1(VALU_DEP_1)
	v_xor_b32_e32 v0, s0, v6
	ds_load_b32 v25, v27 offset:128
	v_and_b32_e32 v1, v2, v3
	; wave barrier
	v_and_b32_e32 v0, v1, v0
	s_delay_alu instid0(VALU_DEP_1) | instskip(SKIP_1) | instid1(VALU_DEP_2)
	v_mbcnt_lo_u32_b32 v26, v0, 0
	v_cmp_ne_u32_e64 s0, 0, v0
	v_cmp_eq_u32_e32 vcc_lo, 0, v26
	s_delay_alu instid0(VALU_DEP_2) | instskip(NEXT) | instid1(SALU_CYCLE_1)
	s_and_b32 s1, s0, vcc_lo
	s_and_saveexec_b32 s0, s1
	s_cbranch_execz .LBB131_75
; %bb.74:
	s_waitcnt lgkmcnt(0)
	v_bcnt_u32_b32 v0, v0, v25
	ds_store_b32 v27, v0 offset:128
.LBB131_75:
	s_or_b32 exec_lo, exec_lo, s0
	; wave barrier
	s_waitcnt lgkmcnt(0)
	s_barrier
	buffer_gl0_inv
	ds_load_2addr_b32 v[8:9], v15 offset0:32 offset1:33
	ds_load_2addr_b32 v[6:7], v28 offset0:2 offset1:3
	;; [unrolled: 1-line block ×4, first 2 shown]
	ds_load_b32 v29, v28 offset:32
	v_and_b32_e32 v32, 16, v12
	v_and_b32_e32 v33, 31, v5
	s_mov_b32 s5, exec_lo
	s_delay_alu instid0(VALU_DEP_2) | instskip(SKIP_3) | instid1(VALU_DEP_1)
	v_cmp_eq_u32_e64 s3, 0, v32
	s_waitcnt lgkmcnt(3)
	v_add3_u32 v30, v9, v8, v6
	s_waitcnt lgkmcnt(2)
	v_add3_u32 v30, v30, v7, v2
	s_waitcnt lgkmcnt(1)
	s_delay_alu instid0(VALU_DEP_1) | instskip(SKIP_1) | instid1(VALU_DEP_1)
	v_add3_u32 v30, v30, v3, v0
	s_waitcnt lgkmcnt(0)
	v_add3_u32 v29, v30, v1, v29
	v_and_b32_e32 v30, 15, v12
	s_delay_alu instid0(VALU_DEP_2) | instskip(NEXT) | instid1(VALU_DEP_2)
	v_mov_b32_dpp v31, v29 row_shr:1 row_mask:0xf bank_mask:0xf
	v_cmp_eq_u32_e32 vcc_lo, 0, v30
	v_cmp_lt_u32_e64 s0, 1, v30
	v_cmp_lt_u32_e64 s1, 3, v30
	v_cmp_lt_u32_e64 s2, 7, v30
	v_cndmask_b32_e64 v31, v31, 0, vcc_lo
	s_delay_alu instid0(VALU_DEP_1) | instskip(NEXT) | instid1(VALU_DEP_1)
	v_add_nc_u32_e32 v29, v31, v29
	v_mov_b32_dpp v31, v29 row_shr:2 row_mask:0xf bank_mask:0xf
	s_delay_alu instid0(VALU_DEP_1) | instskip(NEXT) | instid1(VALU_DEP_1)
	v_cndmask_b32_e64 v31, 0, v31, s0
	v_add_nc_u32_e32 v29, v29, v31
	s_delay_alu instid0(VALU_DEP_1) | instskip(NEXT) | instid1(VALU_DEP_1)
	v_mov_b32_dpp v31, v29 row_shr:4 row_mask:0xf bank_mask:0xf
	v_cndmask_b32_e64 v31, 0, v31, s1
	s_delay_alu instid0(VALU_DEP_1) | instskip(NEXT) | instid1(VALU_DEP_1)
	v_add_nc_u32_e32 v29, v29, v31
	v_mov_b32_dpp v31, v29 row_shr:8 row_mask:0xf bank_mask:0xf
	s_delay_alu instid0(VALU_DEP_1) | instskip(SKIP_1) | instid1(VALU_DEP_2)
	v_cndmask_b32_e64 v30, 0, v31, s2
	v_bfe_i32 v31, v12, 4, 1
	v_add_nc_u32_e32 v29, v29, v30
	ds_swizzle_b32 v30, v29 offset:swizzle(BROADCAST,32,15)
	s_waitcnt lgkmcnt(0)
	v_and_b32_e32 v31, v31, v30
	v_lshrrev_b32_e32 v30, 5, v5
	s_delay_alu instid0(VALU_DEP_2)
	v_add_nc_u32_e32 v29, v29, v31
	v_cmpx_eq_u32_e32 31, v33
	s_cbranch_execz .LBB131_77
; %bb.76:
	s_delay_alu instid0(VALU_DEP_3)
	v_lshlrev_b32_e32 v31, 2, v30
	ds_store_b32 v31, v29
.LBB131_77:
	s_or_b32 exec_lo, exec_lo, s5
	v_cmp_lt_u32_e64 s4, 31, v5
	s_mov_b32 s11, exec_lo
	s_waitcnt lgkmcnt(0)
	s_barrier
	buffer_gl0_inv
	v_cmpx_gt_u32_e32 32, v5
	s_cbranch_execz .LBB131_79
; %bb.78:
	ds_load_b32 v31, v4
	s_waitcnt lgkmcnt(0)
	v_mov_b32_dpp v32, v31 row_shr:1 row_mask:0xf bank_mask:0xf
	s_delay_alu instid0(VALU_DEP_1) | instskip(NEXT) | instid1(VALU_DEP_1)
	v_cndmask_b32_e64 v32, v32, 0, vcc_lo
	v_add_nc_u32_e32 v31, v32, v31
	s_delay_alu instid0(VALU_DEP_1) | instskip(NEXT) | instid1(VALU_DEP_1)
	v_mov_b32_dpp v32, v31 row_shr:2 row_mask:0xf bank_mask:0xf
	v_cndmask_b32_e64 v32, 0, v32, s0
	s_delay_alu instid0(VALU_DEP_1) | instskip(NEXT) | instid1(VALU_DEP_1)
	v_add_nc_u32_e32 v31, v31, v32
	v_mov_b32_dpp v32, v31 row_shr:4 row_mask:0xf bank_mask:0xf
	s_delay_alu instid0(VALU_DEP_1) | instskip(NEXT) | instid1(VALU_DEP_1)
	v_cndmask_b32_e64 v32, 0, v32, s1
	v_add_nc_u32_e32 v31, v31, v32
	s_delay_alu instid0(VALU_DEP_1) | instskip(NEXT) | instid1(VALU_DEP_1)
	v_mov_b32_dpp v32, v31 row_shr:8 row_mask:0xf bank_mask:0xf
	v_cndmask_b32_e64 v32, 0, v32, s2
	s_delay_alu instid0(VALU_DEP_1) | instskip(SKIP_3) | instid1(VALU_DEP_1)
	v_add_nc_u32_e32 v31, v31, v32
	ds_swizzle_b32 v32, v31 offset:swizzle(BROADCAST,32,15)
	s_waitcnt lgkmcnt(0)
	v_cndmask_b32_e64 v32, v32, 0, s3
	v_add_nc_u32_e32 v31, v31, v32
	ds_store_b32 v4, v31
.LBB131_79:
	s_or_b32 exec_lo, exec_lo, s11
	v_mov_b32_e32 v31, 0
	s_waitcnt lgkmcnt(0)
	s_barrier
	buffer_gl0_inv
	s_and_saveexec_b32 s0, s4
	s_cbranch_execz .LBB131_81
; %bb.80:
	v_lshl_add_u32 v30, v30, 2, -4
	ds_load_b32 v31, v30
.LBB131_81:
	s_or_b32 exec_lo, exec_lo, s0
	v_add_nc_u32_e32 v30, -1, v12
	v_cmp_lt_u32_e64 s0, 0xff, v5
	s_waitcnt lgkmcnt(0)
	v_add_nc_u32_e32 v29, v31, v29
	s_delay_alu instid0(VALU_DEP_3) | instskip(SKIP_2) | instid1(VALU_DEP_2)
	v_cmp_gt_i32_e32 vcc_lo, 0, v30
	v_cndmask_b32_e32 v30, v30, v12, vcc_lo
	v_cmp_eq_u32_e32 vcc_lo, 0, v12
	v_lshlrev_b32_e32 v30, 2, v30
	ds_bpermute_b32 v29, v30, v29
	s_waitcnt lgkmcnt(0)
	v_cndmask_b32_e32 v29, v29, v31, vcc_lo
	v_cmp_ne_u32_e32 vcc_lo, 0, v5
	s_delay_alu instid0(VALU_DEP_2) | instskip(SKIP_1) | instid1(VALU_DEP_2)
	v_cndmask_b32_e32 v29, 0, v29, vcc_lo
	v_cmp_gt_u32_e32 vcc_lo, 0x100, v5
	v_add_nc_u32_e32 v8, v29, v8
	s_delay_alu instid0(VALU_DEP_1) | instskip(NEXT) | instid1(VALU_DEP_1)
	v_add_nc_u32_e32 v9, v8, v9
	v_add_nc_u32_e32 v6, v9, v6
	s_delay_alu instid0(VALU_DEP_1) | instskip(NEXT) | instid1(VALU_DEP_1)
	v_add_nc_u32_e32 v7, v6, v7
	;; [unrolled: 3-line block ×3, first 2 shown]
	v_add_nc_u32_e32 v0, v3, v0
	s_delay_alu instid0(VALU_DEP_1)
	v_add_nc_u32_e32 v1, v0, v1
	ds_store_2addr_b32 v15, v29, v8 offset0:32 offset1:33
	ds_store_2addr_b32 v28, v9, v6 offset0:2 offset1:3
	;; [unrolled: 1-line block ×4, first 2 shown]
	ds_store_b32 v28, v1 offset:32
	v_mov_b32_e32 v0, 0
	s_waitcnt lgkmcnt(0)
	s_barrier
	buffer_gl0_inv
	ds_load_b32 v2, v16 offset:128
	ds_load_b32 v3, v20 offset:128
	;; [unrolled: 1-line block ×4, first 2 shown]
	v_mov_b32_e32 v1, 0
                                        ; implicit-def: $vgpr15
	s_and_saveexec_b32 s2, vcc_lo
	s_cbranch_execz .LBB131_85
; %bb.82:
	v_mul_u32_u24_e32 v0, 33, v5
	s_mov_b32 s3, exec_lo
	s_delay_alu instid0(VALU_DEP_1)
	v_dual_mov_b32 v1, 0x1000 :: v_dual_lshlrev_b32 v8, 2, v0
	ds_load_b32 v0, v8 offset:128
	v_cmpx_ne_u32_e32 0xff, v5
	s_cbranch_execz .LBB131_84
; %bb.83:
	ds_load_b32 v1, v8 offset:260
.LBB131_84:
	s_or_b32 exec_lo, exec_lo, s3
	s_waitcnt lgkmcnt(0)
	v_sub_nc_u32_e32 v15, v1, v0
	v_mov_b32_e32 v1, 0
.LBB131_85:
	s_or_b32 exec_lo, exec_lo, s2
	s_waitcnt lgkmcnt(3)
	v_add_nc_u32_e32 v20, v2, v13
	s_waitcnt lgkmcnt(1)
	v_add3_u32 v16, v22, v21, v6
	v_add3_u32 v17, v18, v17, v3
	s_waitcnt lgkmcnt(0)
	v_add3_u32 v13, v26, v25, v7
	v_lshlrev_b32_e32 v2, 2, v20
	v_lshlrev_b32_e32 v6, 2, v16
	v_lshlrev_b32_e32 v3, 2, v17
	s_delay_alu instid0(VALU_DEP_4)
	v_lshlrev_b32_e32 v7, 2, v13
	s_barrier
	buffer_gl0_inv
	ds_store_b32 v2, v11 offset:2048
	ds_store_b32 v3, v14 offset:2048
	ds_store_b32 v6, v19 offset:2048
	ds_store_b32 v7, v23 offset:2048
	s_waitcnt lgkmcnt(0)
	s_barrier
	buffer_gl0_inv
	s_and_saveexec_b32 s1, s0
	s_delay_alu instid0(SALU_CYCLE_1)
	s_xor_b32 s0, exec_lo, s1
; %bb.86:
	v_mov_b32_e32 v6, 0
; %bb.87:
	s_and_not1_saveexec_b32 s1, s0
	s_cbranch_execz .LBB131_97
; %bb.88:
	v_lshl_or_b32 v6, s15, 8, v5
	v_mov_b32_e32 v7, 0
	v_mov_b32_e32 v11, 0
	s_mov_b32 s2, 0
	s_mov_b32 s3, s15
	s_delay_alu instid0(VALU_DEP_2) | instskip(SKIP_1) | instid1(VALU_DEP_2)
	v_lshlrev_b64 v[2:3], 2, v[6:7]
	v_or_b32_e32 v6, 2.0, v15
	v_add_co_u32 v2, s0, s12, v2
	s_delay_alu instid0(VALU_DEP_1)
	v_add_co_ci_u32_e64 v3, s0, s13, v3, s0
                                        ; implicit-def: $sgpr0
	global_store_b32 v[2:3], v6, off
	s_branch .LBB131_91
	.p2align	6
.LBB131_89:                             ;   in Loop: Header=BB131_91 Depth=1
	s_or_b32 exec_lo, exec_lo, s5
.LBB131_90:                             ;   in Loop: Header=BB131_91 Depth=1
	s_delay_alu instid0(SALU_CYCLE_1) | instskip(SKIP_2) | instid1(VALU_DEP_2)
	s_or_b32 exec_lo, exec_lo, s4
	v_and_b32_e32 v8, 0x3fffffff, v14
	v_cmp_eq_u32_e64 s0, 0x80000000, v6
	v_add_nc_u32_e32 v11, v8, v11
	s_delay_alu instid0(VALU_DEP_2) | instskip(NEXT) | instid1(SALU_CYCLE_1)
	s_and_b32 s4, exec_lo, s0
	s_or_b32 s2, s4, s2
	s_delay_alu instid0(SALU_CYCLE_1)
	s_and_not1_b32 exec_lo, exec_lo, s2
	s_cbranch_execz .LBB131_96
.LBB131_91:                             ; =>This Loop Header: Depth=1
                                        ;     Child Loop BB131_94 Depth 2
	s_or_b32 s0, s0, exec_lo
	s_cmp_eq_u32 s3, 0
	s_cbranch_scc1 .LBB131_95
; %bb.92:                               ;   in Loop: Header=BB131_91 Depth=1
	s_add_i32 s3, s3, -1
	s_mov_b32 s4, exec_lo
	v_lshl_or_b32 v6, s3, 8, v5
	s_delay_alu instid0(VALU_DEP_1) | instskip(NEXT) | instid1(VALU_DEP_1)
	v_lshlrev_b64 v[8:9], 2, v[6:7]
	v_add_co_u32 v8, s0, s12, v8
	s_delay_alu instid0(VALU_DEP_1) | instskip(SKIP_3) | instid1(VALU_DEP_1)
	v_add_co_ci_u32_e64 v9, s0, s13, v9, s0
	global_load_b32 v14, v[8:9], off glc
	s_waitcnt vmcnt(0)
	v_and_b32_e32 v6, -2.0, v14
	v_cmpx_eq_u32_e32 0, v6
	s_cbranch_execz .LBB131_90
; %bb.93:                               ;   in Loop: Header=BB131_91 Depth=1
	s_mov_b32 s5, 0
.LBB131_94:                             ;   Parent Loop BB131_91 Depth=1
                                        ; =>  This Inner Loop Header: Depth=2
	global_load_b32 v14, v[8:9], off glc
	s_waitcnt vmcnt(0)
	v_and_b32_e32 v6, -2.0, v14
	s_delay_alu instid0(VALU_DEP_1) | instskip(NEXT) | instid1(VALU_DEP_1)
	v_cmp_ne_u32_e64 s0, 0, v6
	s_or_b32 s5, s0, s5
	s_delay_alu instid0(SALU_CYCLE_1)
	s_and_not1_b32 exec_lo, exec_lo, s5
	s_cbranch_execnz .LBB131_94
	s_branch .LBB131_89
.LBB131_95:                             ;   in Loop: Header=BB131_91 Depth=1
                                        ; implicit-def: $sgpr3
	s_and_b32 s4, exec_lo, s0
	s_delay_alu instid0(SALU_CYCLE_1) | instskip(NEXT) | instid1(SALU_CYCLE_1)
	s_or_b32 s2, s4, s2
	s_and_not1_b32 exec_lo, exec_lo, s2
	s_cbranch_execnz .LBB131_91
.LBB131_96:
	s_or_b32 exec_lo, exec_lo, s2
	v_add_nc_u32_e32 v6, v11, v15
	v_lshlrev_b32_e32 v7, 3, v5
	s_delay_alu instid0(VALU_DEP_2) | instskip(SKIP_3) | instid1(VALU_DEP_1)
	v_or_b32_e32 v6, 0x80000000, v6
	global_store_b32 v[2:3], v6, off
	global_load_b64 v[2:3], v7, s[24:25]
	v_sub_co_u32 v6, s0, v11, v0
	v_sub_co_ci_u32_e64 v8, s0, 0, v1, s0
	s_waitcnt vmcnt(0)
	s_delay_alu instid0(VALU_DEP_2) | instskip(SKIP_1) | instid1(VALU_DEP_3)
	v_add_co_u32 v2, s0, v6, v2
	v_mov_b32_e32 v6, 0
	v_add_co_ci_u32_e64 v3, s0, v8, v3, s0
	ds_store_b64 v7, v[2:3]
.LBB131_97:
	s_or_b32 exec_lo, exec_lo, s1
	v_lshlrev_b32_e32 v2, 3, v12
	s_lshl_b64 s[0:1], s[6:7], 3
	v_lshlrev_b32_e32 v3, 3, v10
	s_add_u32 s0, s20, s0
	s_addc_u32 s1, s21, s1
	v_add_co_u32 v2, s0, s0, v2
	s_delay_alu instid0(VALU_DEP_1) | instskip(SKIP_2) | instid1(VALU_DEP_2)
	v_add_co_ci_u32_e64 v7, null, s1, 0, s0
	s_waitcnt lgkmcnt(0)
	s_waitcnt_vscnt null, 0x0
	v_add_co_u32 v2, s0, v2, v3
	s_delay_alu instid0(VALU_DEP_1)
	v_add_co_ci_u32_e64 v3, s0, 0, v7, s0
	s_barrier
	buffer_gl0_inv
	v_lshlrev_b32_e32 v27, 2, v5
	s_clause 0x3
	global_load_b64 v[7:8], v[2:3], off
	global_load_b64 v[9:10], v[2:3], off offset:256
	global_load_b64 v[11:12], v[2:3], off offset:512
	;; [unrolled: 1-line block ×3, first 2 shown]
	ds_load_2addr_stride64_b32 v[18:19], v4 offset0:24 offset1:40
	v_lshlrev_b32_e32 v34, 3, v17
	v_lshlrev_b32_e32 v33, 3, v20
	ds_load_b32 v28, v27 offset:2048
	v_lshlrev_b32_e32 v35, 3, v16
	v_or_b32_e32 v30, 0x400, v5
	v_lshlrev_b64 v[23:24], 2, v[5:6]
	v_or_b32_e32 v31, 0x800, v5
	v_or_b32_e32 v32, 0xc00, v5
	v_lshlrev_b32_e32 v13, 3, v13
	v_lshlrev_b32_e32 v36, 2, v30
	s_add_i32 s9, s9, -1
	v_lshlrev_b32_e32 v37, 2, v31
	v_lshlrev_b32_e32 v38, 2, v32
	s_cmp_eq_u32 s15, s9
	s_cselect_b32 s1, -1, 0
	s_delay_alu instid0(SALU_CYCLE_1) | instskip(SKIP_2) | instid1(VALU_DEP_1)
	s_and_b32 s1, vcc_lo, s1
	s_waitcnt lgkmcnt(1)
	v_cmp_ne_u32_e64 s0, 0x80000000, v18
	v_cndmask_b32_e64 v14, 0x7fffffff, v18, s0
	s_waitcnt lgkmcnt(0)
	v_cmp_ne_u32_e64 s0, 0x80000000, v28
	s_delay_alu instid0(VALU_DEP_2) | instskip(NEXT) | instid1(VALU_DEP_2)
	v_lshrrev_b32_e32 v14, s28, v14
	v_cndmask_b32_e64 v25, 0x7fffffff, v28, s0
	v_cmp_ne_u32_e64 s0, 0x80000000, v19
	s_delay_alu instid0(VALU_DEP_3) | instskip(NEXT) | instid1(VALU_DEP_3)
	v_and_b32_e32 v14, s10, v14
	v_lshrrev_b32_e32 v20, s28, v25
	s_delay_alu instid0(VALU_DEP_3) | instskip(NEXT) | instid1(VALU_DEP_3)
	v_cndmask_b32_e64 v17, 0x7fffffff, v19, s0
	v_lshlrev_b32_e32 v14, 3, v14
	ds_load_b64 v[21:22], v14
	ds_load_b32 v29, v4 offset:14336
	v_lshrrev_b32_e32 v16, s28, v17
	v_and_b32_e32 v17, s10, v20
	v_add3_u32 v4, 0x800, v4, v4
	s_delay_alu instid0(VALU_DEP_3) | instskip(NEXT) | instid1(VALU_DEP_3)
	v_and_b32_e32 v16, s10, v16
	v_lshlrev_b32_e32 v39, 3, v17
	s_delay_alu instid0(VALU_DEP_2) | instskip(SKIP_3) | instid1(VALU_DEP_1)
	v_lshlrev_b32_e32 v40, 3, v16
	ds_load_b64 v[16:17], v39
	s_waitcnt lgkmcnt(1)
	v_cmp_ne_u32_e64 s0, 0x80000000, v29
	v_cndmask_b32_e64 v20, 0x7fffffff, v29, s0
	v_cmp_gt_i32_e64 s0, 0, v18
	s_delay_alu instid0(VALU_DEP_2) | instskip(NEXT) | instid1(VALU_DEP_2)
	v_lshrrev_b32_e32 v20, s28, v20
	v_cndmask_b32_e64 v25, 0x7fffffff, 0, s0
	v_cmp_gt_i32_e64 s0, 0, v19
	s_delay_alu instid0(VALU_DEP_3) | instskip(NEXT) | instid1(VALU_DEP_3)
	v_and_b32_e32 v20, s10, v20
	v_xor_b32_e32 v42, v25, v18
	ds_load_b64 v[25:26], v40
	v_cndmask_b32_e64 v41, 0x7fffffff, 0, s0
	v_cmp_gt_i32_e64 s0, 0, v28
	v_lshlrev_b32_e32 v43, 3, v20
	v_lshlrev_b64 v[20:21], 2, v[21:22]
	s_delay_alu instid0(VALU_DEP_4) | instskip(NEXT) | instid1(VALU_DEP_4)
	v_xor_b32_e32 v41, v41, v19
	v_cndmask_b32_e64 v18, 0x7fffffff, 0, s0
	v_cmp_gt_i32_e64 s0, 0, v29
	s_delay_alu instid0(VALU_DEP_2) | instskip(SKIP_3) | instid1(VALU_DEP_1)
	v_xor_b32_e32 v28, v18, v28
	ds_load_b64 v[18:19], v43
	v_cndmask_b32_e64 v44, 0x7fffffff, 0, s0
	v_add_co_u32 v20, s0, s18, v20
	v_add_co_ci_u32_e64 v21, s0, s19, v21, s0
	s_waitcnt lgkmcnt(2)
	v_lshlrev_b64 v[16:17], 2, v[16:17]
	s_delay_alu instid0(VALU_DEP_3) | instskip(SKIP_3) | instid1(VALU_DEP_4)
	v_add_co_u32 v20, s0, v20, v36
	s_waitcnt lgkmcnt(1)
	v_lshlrev_b64 v[25:26], 2, v[25:26]
	v_add_co_ci_u32_e64 v21, s0, 0, v21, s0
	v_add_co_u32 v22, s0, s18, v16
	s_delay_alu instid0(VALU_DEP_1) | instskip(NEXT) | instid1(VALU_DEP_4)
	v_add_co_ci_u32_e64 v36, s0, s19, v17, s0
	v_add_co_u32 v25, s0, s18, v25
	s_delay_alu instid0(VALU_DEP_1) | instskip(SKIP_3) | instid1(VALU_DEP_1)
	v_add_co_ci_u32_e64 v26, s0, s19, v26, s0
	s_waitcnt lgkmcnt(0)
	v_lshlrev_b64 v[16:17], 2, v[18:19]
	v_add_co_u32 v18, s0, v22, v23
	v_add_co_ci_u32_e64 v19, s0, v36, v24, s0
	v_xor_b32_e32 v29, v44, v29
	s_delay_alu instid0(VALU_DEP_4) | instskip(NEXT) | instid1(VALU_DEP_1)
	v_add_co_u32 v22, s0, s18, v16
	v_add_co_ci_u32_e64 v23, s0, s19, v17, s0
	v_add_co_u32 v16, s0, v25, v37
	s_delay_alu instid0(VALU_DEP_1) | instskip(NEXT) | instid1(VALU_DEP_4)
	v_add_co_ci_u32_e64 v17, s0, 0, v26, s0
	v_add_co_u32 v22, s0, v22, v38
	s_delay_alu instid0(VALU_DEP_1)
	v_add_co_ci_u32_e64 v23, s0, 0, v23, s0
	s_clause 0x3
	global_store_b32 v[18:19], v28, off
	global_store_b32 v[20:21], v42, off
	global_store_b32 v[16:17], v41, off
	global_store_b32 v[22:23], v29, off
	s_waitcnt vmcnt(0)
	s_waitcnt_vscnt null, 0x0
	s_barrier
	buffer_gl0_inv
	v_add_nc_u32_e32 v20, v27, v27
	v_lshlrev_b64 v[18:19], 3, v[5:6]
	v_lshlrev_b32_e32 v24, 3, v30
	v_lshlrev_b32_e32 v25, 3, v31
	v_lshlrev_b32_e32 v26, 3, v32
	ds_store_b64 v33, v[7:8] offset:2048
	ds_store_b64 v34, v[9:10] offset:2048
	ds_store_b64 v35, v[11:12] offset:2048
	ds_store_b64 v13, v[2:3] offset:2048
	s_waitcnt lgkmcnt(0)
	s_barrier
	buffer_gl0_inv
	ds_load_b64 v[2:3], v39
	ds_load_b64 v[11:12], v14
	;; [unrolled: 1-line block ×4, first 2 shown]
	ds_load_2addr_stride64_b64 v[7:10], v4 offset0:16 offset1:32
	ds_load_b64 v[20:21], v20 offset:2048
	ds_load_b64 v[22:23], v4 offset:24576
	s_waitcnt lgkmcnt(6)
	v_lshlrev_b64 v[2:3], 3, v[2:3]
	s_waitcnt lgkmcnt(5)
	v_lshlrev_b64 v[11:12], 3, v[11:12]
	;; [unrolled: 2-line block ×4, first 2 shown]
	v_add_co_u32 v2, s0, s22, v2
	s_delay_alu instid0(VALU_DEP_1) | instskip(SKIP_1) | instid1(VALU_DEP_1)
	v_add_co_ci_u32_e64 v3, s0, s23, v3, s0
	v_add_co_u32 v4, s0, s22, v11
	v_add_co_ci_u32_e64 v12, s0, s23, v12, s0
	v_add_co_u32 v13, s0, s22, v13
	s_delay_alu instid0(VALU_DEP_1) | instskip(SKIP_1) | instid1(VALU_DEP_1)
	v_add_co_ci_u32_e64 v14, s0, s23, v14, s0
	v_add_co_u32 v16, s0, s22, v16
	v_add_co_ci_u32_e64 v17, s0, s23, v17, s0
	;; [unrolled: 5-line block ×4, first 2 shown]
	s_waitcnt lgkmcnt(1)
	s_clause 0x2
	global_store_b64 v[2:3], v[20:21], off
	global_store_b64 v[11:12], v[7:8], off
	;; [unrolled: 1-line block ×3, first 2 shown]
	s_waitcnt lgkmcnt(0)
	global_store_b64 v[16:17], v[22:23], off
                                        ; implicit-def: $vgpr2_vgpr3
	s_and_saveexec_b32 s0, s1
; %bb.98:
	v_add_co_u32 v2, vcc_lo, v0, v15
	v_add_co_ci_u32_e32 v3, vcc_lo, 0, v1, vcc_lo
	s_or_b32 s8, s8, exec_lo
; %bb.99:
	s_or_b32 exec_lo, exec_lo, s0
.LBB131_100:
	s_and_saveexec_b32 s0, s8
	s_cbranch_execnz .LBB131_102
; %bb.101:
	s_nop 0
	s_sendmsg sendmsg(MSG_DEALLOC_VGPRS)
	s_endpgm
.LBB131_102:
	v_lshlrev_b32_e32 v0, 3, v5
	v_lshlrev_b64 v[4:5], 3, v[5:6]
	ds_load_b64 v[0:1], v0
	v_add_co_u32 v4, vcc_lo, s26, v4
	v_add_co_ci_u32_e32 v5, vcc_lo, s27, v5, vcc_lo
	s_waitcnt lgkmcnt(0)
	v_add_co_u32 v0, vcc_lo, v0, v2
	v_add_co_ci_u32_e32 v1, vcc_lo, v1, v3, vcc_lo
	global_store_b64 v[4:5], v[0:1], off
	s_nop 0
	s_sendmsg sendmsg(MSG_DEALLOC_VGPRS)
	s_endpgm
.LBB131_103:
	global_load_b64 v[1:2], v[10:11], off
	s_or_b32 exec_lo, exec_lo, s10
                                        ; implicit-def: $vgpr3_vgpr4
	s_and_saveexec_b32 s10, s2
	s_cbranch_execz .LBB131_47
.LBB131_104:
	global_load_b64 v[3:4], v[10:11], off offset:256
	s_or_b32 exec_lo, exec_lo, s10
                                        ; implicit-def: $vgpr6_vgpr7
	s_and_saveexec_b32 s2, s3
	s_cbranch_execz .LBB131_48
.LBB131_105:
	global_load_b64 v[6:7], v[10:11], off offset:512
	s_or_b32 exec_lo, exec_lo, s2
                                        ; implicit-def: $vgpr8_vgpr9
	s_and_saveexec_b32 s2, s4
	s_cbranch_execnz .LBB131_49
	s_branch .LBB131_50
.LBB131_106:
	v_lshlrev_b32_e32 v2, 3, v24
	ds_load_b64 v[2:3], v2
	ds_load_b64 v[6:7], v1 offset:2048
	s_waitcnt lgkmcnt(1)
	v_lshlrev_b64 v[2:3], 3, v[2:3]
	s_delay_alu instid0(VALU_DEP_1) | instskip(NEXT) | instid1(VALU_DEP_2)
	v_add_co_u32 v2, vcc_lo, s22, v2
	v_add_co_ci_u32_e32 v3, vcc_lo, s23, v3, vcc_lo
	s_delay_alu instid0(VALU_DEP_2) | instskip(NEXT) | instid1(VALU_DEP_2)
	v_add_co_u32 v2, vcc_lo, v2, v1
	v_add_co_ci_u32_e32 v3, vcc_lo, 0, v3, vcc_lo
	s_waitcnt lgkmcnt(0)
	global_store_b64 v[2:3], v[6:7], off
	s_or_b32 exec_lo, exec_lo, s2
	s_and_saveexec_b32 s2, s7
	s_cbranch_execz .LBB131_60
.LBB131_107:
	v_lshlrev_b32_e32 v2, 3, v11
	v_lshlrev_b32_e32 v4, 3, v17
	ds_load_b64 v[2:3], v2
	ds_load_b64 v[6:7], v1 offset:10240
	s_waitcnt lgkmcnt(1)
	v_lshlrev_b64 v[2:3], 3, v[2:3]
	s_delay_alu instid0(VALU_DEP_1) | instskip(NEXT) | instid1(VALU_DEP_2)
	v_add_co_u32 v2, vcc_lo, s22, v2
	v_add_co_ci_u32_e32 v3, vcc_lo, s23, v3, vcc_lo
	s_delay_alu instid0(VALU_DEP_2) | instskip(NEXT) | instid1(VALU_DEP_2)
	v_add_co_u32 v2, vcc_lo, v2, v4
	v_add_co_ci_u32_e32 v3, vcc_lo, 0, v3, vcc_lo
	s_waitcnt lgkmcnt(0)
	global_store_b64 v[2:3], v[6:7], off
	s_or_b32 exec_lo, exec_lo, s2
	s_and_saveexec_b32 s2, s8
	s_cbranch_execz .LBB131_61
.LBB131_108:
	v_lshlrev_b32_e32 v2, 3, v23
	v_lshlrev_b32_e32 v4, 3, v20
	ds_load_b64 v[2:3], v2
	ds_load_b64 v[6:7], v1 offset:18432
	s_waitcnt lgkmcnt(1)
	v_lshlrev_b64 v[2:3], 3, v[2:3]
	s_delay_alu instid0(VALU_DEP_1) | instskip(NEXT) | instid1(VALU_DEP_2)
	v_add_co_u32 v2, vcc_lo, s22, v2
	v_add_co_ci_u32_e32 v3, vcc_lo, s23, v3, vcc_lo
	s_delay_alu instid0(VALU_DEP_2) | instskip(NEXT) | instid1(VALU_DEP_2)
	v_add_co_u32 v2, vcc_lo, v2, v4
	v_add_co_ci_u32_e32 v3, vcc_lo, 0, v3, vcc_lo
	s_waitcnt lgkmcnt(0)
	global_store_b64 v[2:3], v[6:7], off
	s_or_b32 exec_lo, exec_lo, s2
	s_and_saveexec_b32 s2, s9
	s_cbranch_execnz .LBB131_62
	s_branch .LBB131_63
	.section	.rodata,"a",@progbits
	.p2align	6, 0x0
	.amdhsa_kernel _ZN7rocprim17ROCPRIM_304000_NS6detail25onesweep_iteration_kernelINS1_34wrapped_radix_sort_onesweep_configINS0_14default_configEfN2at4cuda3cub6detail10OpaqueTypeILi8EEEEELb1EPKfPfPKSA_PSA_mNS0_19identity_decomposerEEEvT1_T2_T3_T4_jPT5_SO_PNS1_23onesweep_lookback_stateET6_jjj
		.amdhsa_group_segment_fixed_size 36992
		.amdhsa_private_segment_fixed_size 0
		.amdhsa_kernarg_size 336
		.amdhsa_user_sgpr_count 15
		.amdhsa_user_sgpr_dispatch_ptr 0
		.amdhsa_user_sgpr_queue_ptr 0
		.amdhsa_user_sgpr_kernarg_segment_ptr 1
		.amdhsa_user_sgpr_dispatch_id 0
		.amdhsa_user_sgpr_private_segment_size 0
		.amdhsa_wavefront_size32 1
		.amdhsa_uses_dynamic_stack 0
		.amdhsa_enable_private_segment 0
		.amdhsa_system_sgpr_workgroup_id_x 1
		.amdhsa_system_sgpr_workgroup_id_y 0
		.amdhsa_system_sgpr_workgroup_id_z 0
		.amdhsa_system_sgpr_workgroup_info 0
		.amdhsa_system_vgpr_workitem_id 2
		.amdhsa_next_free_vgpr 45
		.amdhsa_next_free_sgpr 36
		.amdhsa_reserve_vcc 1
		.amdhsa_float_round_mode_32 0
		.amdhsa_float_round_mode_16_64 0
		.amdhsa_float_denorm_mode_32 3
		.amdhsa_float_denorm_mode_16_64 3
		.amdhsa_dx10_clamp 1
		.amdhsa_ieee_mode 1
		.amdhsa_fp16_overflow 0
		.amdhsa_workgroup_processor_mode 1
		.amdhsa_memory_ordered 1
		.amdhsa_forward_progress 0
		.amdhsa_shared_vgpr_count 0
		.amdhsa_exception_fp_ieee_invalid_op 0
		.amdhsa_exception_fp_denorm_src 0
		.amdhsa_exception_fp_ieee_div_zero 0
		.amdhsa_exception_fp_ieee_overflow 0
		.amdhsa_exception_fp_ieee_underflow 0
		.amdhsa_exception_fp_ieee_inexact 0
		.amdhsa_exception_int_div_zero 0
	.end_amdhsa_kernel
	.section	.text._ZN7rocprim17ROCPRIM_304000_NS6detail25onesweep_iteration_kernelINS1_34wrapped_radix_sort_onesweep_configINS0_14default_configEfN2at4cuda3cub6detail10OpaqueTypeILi8EEEEELb1EPKfPfPKSA_PSA_mNS0_19identity_decomposerEEEvT1_T2_T3_T4_jPT5_SO_PNS1_23onesweep_lookback_stateET6_jjj,"axG",@progbits,_ZN7rocprim17ROCPRIM_304000_NS6detail25onesweep_iteration_kernelINS1_34wrapped_radix_sort_onesweep_configINS0_14default_configEfN2at4cuda3cub6detail10OpaqueTypeILi8EEEEELb1EPKfPfPKSA_PSA_mNS0_19identity_decomposerEEEvT1_T2_T3_T4_jPT5_SO_PNS1_23onesweep_lookback_stateET6_jjj,comdat
.Lfunc_end131:
	.size	_ZN7rocprim17ROCPRIM_304000_NS6detail25onesweep_iteration_kernelINS1_34wrapped_radix_sort_onesweep_configINS0_14default_configEfN2at4cuda3cub6detail10OpaqueTypeILi8EEEEELb1EPKfPfPKSA_PSA_mNS0_19identity_decomposerEEEvT1_T2_T3_T4_jPT5_SO_PNS1_23onesweep_lookback_stateET6_jjj, .Lfunc_end131-_ZN7rocprim17ROCPRIM_304000_NS6detail25onesweep_iteration_kernelINS1_34wrapped_radix_sort_onesweep_configINS0_14default_configEfN2at4cuda3cub6detail10OpaqueTypeILi8EEEEELb1EPKfPfPKSA_PSA_mNS0_19identity_decomposerEEEvT1_T2_T3_T4_jPT5_SO_PNS1_23onesweep_lookback_stateET6_jjj
                                        ; -- End function
	.section	.AMDGPU.csdata,"",@progbits
; Kernel info:
; codeLenInByte = 9752
; NumSgprs: 38
; NumVgprs: 45
; ScratchSize: 0
; MemoryBound: 0
; FloatMode: 240
; IeeeMode: 1
; LDSByteSize: 36992 bytes/workgroup (compile time only)
; SGPRBlocks: 4
; VGPRBlocks: 5
; NumSGPRsForWavesPerEU: 38
; NumVGPRsForWavesPerEU: 45
; Occupancy: 16
; WaveLimiterHint : 1
; COMPUTE_PGM_RSRC2:SCRATCH_EN: 0
; COMPUTE_PGM_RSRC2:USER_SGPR: 15
; COMPUTE_PGM_RSRC2:TRAP_HANDLER: 0
; COMPUTE_PGM_RSRC2:TGID_X_EN: 1
; COMPUTE_PGM_RSRC2:TGID_Y_EN: 0
; COMPUTE_PGM_RSRC2:TGID_Z_EN: 0
; COMPUTE_PGM_RSRC2:TIDIG_COMP_CNT: 2
	.section	.text._ZN7rocprim17ROCPRIM_304000_NS6detail25onesweep_iteration_kernelINS1_34wrapped_radix_sort_onesweep_configINS0_14default_configEfN2at4cuda3cub6detail10OpaqueTypeILi8EEEEELb1EPfSC_PSA_SD_mNS0_19identity_decomposerEEEvT1_T2_T3_T4_jPT5_SK_PNS1_23onesweep_lookback_stateET6_jjj,"axG",@progbits,_ZN7rocprim17ROCPRIM_304000_NS6detail25onesweep_iteration_kernelINS1_34wrapped_radix_sort_onesweep_configINS0_14default_configEfN2at4cuda3cub6detail10OpaqueTypeILi8EEEEELb1EPfSC_PSA_SD_mNS0_19identity_decomposerEEEvT1_T2_T3_T4_jPT5_SK_PNS1_23onesweep_lookback_stateET6_jjj,comdat
	.protected	_ZN7rocprim17ROCPRIM_304000_NS6detail25onesweep_iteration_kernelINS1_34wrapped_radix_sort_onesweep_configINS0_14default_configEfN2at4cuda3cub6detail10OpaqueTypeILi8EEEEELb1EPfSC_PSA_SD_mNS0_19identity_decomposerEEEvT1_T2_T3_T4_jPT5_SK_PNS1_23onesweep_lookback_stateET6_jjj ; -- Begin function _ZN7rocprim17ROCPRIM_304000_NS6detail25onesweep_iteration_kernelINS1_34wrapped_radix_sort_onesweep_configINS0_14default_configEfN2at4cuda3cub6detail10OpaqueTypeILi8EEEEELb1EPfSC_PSA_SD_mNS0_19identity_decomposerEEEvT1_T2_T3_T4_jPT5_SK_PNS1_23onesweep_lookback_stateET6_jjj
	.globl	_ZN7rocprim17ROCPRIM_304000_NS6detail25onesweep_iteration_kernelINS1_34wrapped_radix_sort_onesweep_configINS0_14default_configEfN2at4cuda3cub6detail10OpaqueTypeILi8EEEEELb1EPfSC_PSA_SD_mNS0_19identity_decomposerEEEvT1_T2_T3_T4_jPT5_SK_PNS1_23onesweep_lookback_stateET6_jjj
	.p2align	8
	.type	_ZN7rocprim17ROCPRIM_304000_NS6detail25onesweep_iteration_kernelINS1_34wrapped_radix_sort_onesweep_configINS0_14default_configEfN2at4cuda3cub6detail10OpaqueTypeILi8EEEEELb1EPfSC_PSA_SD_mNS0_19identity_decomposerEEEvT1_T2_T3_T4_jPT5_SK_PNS1_23onesweep_lookback_stateET6_jjj,@function
_ZN7rocprim17ROCPRIM_304000_NS6detail25onesweep_iteration_kernelINS1_34wrapped_radix_sort_onesweep_configINS0_14default_configEfN2at4cuda3cub6detail10OpaqueTypeILi8EEEEELb1EPfSC_PSA_SD_mNS0_19identity_decomposerEEEvT1_T2_T3_T4_jPT5_SK_PNS1_23onesweep_lookback_stateET6_jjj: ; @_ZN7rocprim17ROCPRIM_304000_NS6detail25onesweep_iteration_kernelINS1_34wrapped_radix_sort_onesweep_configINS0_14default_configEfN2at4cuda3cub6detail10OpaqueTypeILi8EEEEELb1EPfSC_PSA_SD_mNS0_19identity_decomposerEEEvT1_T2_T3_T4_jPT5_SK_PNS1_23onesweep_lookback_stateET6_jjj
; %bb.0:
	s_clause 0x3
	s_load_b128 s[28:31], s[0:1], 0x44
	s_load_b256 s[16:23], s[0:1], 0x0
	s_load_b128 s[24:27], s[0:1], 0x28
	s_load_b64 s[12:13], s[0:1], 0x38
	v_and_b32_e32 v5, 0x3ff, v0
	v_mbcnt_lo_u32_b32 v12, -1, 0
	s_waitcnt lgkmcnt(0)
	s_cmp_ge_u32 s15, s30
	s_cbranch_scc0 .LBB132_66
; %bb.1:
	s_load_b32 s8, s[0:1], 0x20
	s_mov_b32 s4, -1
	s_lshl_b32 s9, s30, 12
	s_mov_b32 s5, s4
	s_mov_b32 s6, s4
	;; [unrolled: 1-line block ×3, first 2 shown]
	v_lshlrev_b32_e32 v13, 2, v5
	s_lshl_b32 s30, s15, 12
	s_mov_b32 s31, 0
	v_lshlrev_b32_e32 v1, 2, v12
	s_lshl_b64 s[2:3], s[30:31], 2
	v_and_b32_e32 v10, 0xf80, v13
	s_delay_alu instid0(VALU_DEP_1)
	v_lshlrev_b32_e32 v2, 2, v10
	s_waitcnt lgkmcnt(0)
	s_sub_i32 s34, s8, s9
	s_add_u32 s2, s16, s2
	s_addc_u32 s3, s17, s3
	v_add_co_u32 v1, s2, s2, v1
	s_delay_alu instid0(VALU_DEP_1) | instskip(NEXT) | instid1(VALU_DEP_2)
	v_add_co_ci_u32_e64 v3, null, s3, 0, s2
	v_add_co_u32 v6, s2, v1, v2
	s_delay_alu instid0(VALU_DEP_1)
	v_add_co_ci_u32_e64 v7, s2, 0, v3, s2
	v_mov_b32_e32 v1, s4
	v_mov_b32_e32 v3, s6
	v_or_b32_e32 v8, v12, v10
	v_mov_b32_e32 v2, s5
	v_mov_b32_e32 v4, s7
	s_delay_alu instid0(VALU_DEP_3)
	v_cmp_gt_u32_e32 vcc_lo, s34, v8
	s_and_saveexec_b32 s2, vcc_lo
	s_cbranch_execz .LBB132_3
; %bb.2:
	global_load_b32 v1, v[6:7], off
	v_mov_b32_e32 v2, -1
	s_delay_alu instid0(VALU_DEP_1)
	v_mov_b32_e32 v3, v2
	v_mov_b32_e32 v4, v2
.LBB132_3:
	s_or_b32 exec_lo, exec_lo, s2
	v_add_nc_u32_e32 v9, 32, v8
	s_delay_alu instid0(VALU_DEP_1) | instskip(NEXT) | instid1(VALU_DEP_1)
	v_cmp_gt_u32_e64 s2, s34, v9
	s_and_saveexec_b32 s3, s2
	s_cbranch_execz .LBB132_5
; %bb.4:
	global_load_b32 v2, v[6:7], off offset:128
.LBB132_5:
	s_or_b32 exec_lo, exec_lo, s3
	v_add_nc_u32_e32 v9, 64, v8
	s_delay_alu instid0(VALU_DEP_1) | instskip(NEXT) | instid1(VALU_DEP_1)
	v_cmp_gt_u32_e64 s3, s34, v9
	s_and_saveexec_b32 s4, s3
	s_cbranch_execz .LBB132_7
; %bb.6:
	global_load_b32 v3, v[6:7], off offset:256
.LBB132_7:
	;; [unrolled: 9-line block ×3, first 2 shown]
	s_or_b32 exec_lo, exec_lo, s5
	s_clause 0x1
	s_load_b32 s5, s[0:1], 0x5c
	s_load_b32 s14, s[0:1], 0x50
	s_add_u32 s6, s0, 0x50
	s_addc_u32 s7, s1, 0
	s_waitcnt lgkmcnt(0)
	s_lshr_b32 s8, s5, 16
	s_cmp_lt_u32 s15, s14
	s_cselect_b32 s5, 12, 18
	s_delay_alu instid0(SALU_CYCLE_1) | instskip(SKIP_3) | instid1(VALU_DEP_1)
	s_add_u32 s6, s6, s5
	s_waitcnt vmcnt(0)
	v_cmp_gt_i32_e64 s5, 0, v1
	s_addc_u32 s7, s7, 0
	v_cndmask_b32_e64 v7, 0x7fffffff, 0, s5
	s_delay_alu instid0(VALU_DEP_1) | instskip(NEXT) | instid1(VALU_DEP_1)
	v_xor_b32_e32 v11, v7, v1
	v_cmp_ne_u32_e64 s5, 0x80000000, v11
	s_delay_alu instid0(VALU_DEP_1) | instskip(SKIP_1) | instid1(SALU_CYCLE_1)
	v_cndmask_b32_e64 v1, 0x7fffffff, v11, s5
	s_lshl_b32 s5, -1, s29
	s_not_b32 s33, s5
	s_delay_alu instid0(VALU_DEP_1) | instskip(NEXT) | instid1(VALU_DEP_1)
	v_lshrrev_b32_e32 v1, s28, v1
	v_dual_mov_b32 v9, 0 :: v_dual_and_b32 v16, s33, v1
	global_load_u16 v6, v9, s[6:7]
	v_bfe_u32 v1, v0, 10, 10
	v_and_b32_e32 v7, 1, v16
	v_lshlrev_b32_e32 v8, 30, v16
	v_lshlrev_b32_e32 v14, 29, v16
	;; [unrolled: 1-line block ×4, first 2 shown]
	v_add_co_u32 v7, s5, v7, -1
	s_delay_alu instid0(VALU_DEP_1)
	v_cndmask_b32_e64 v17, 0, 1, s5
	v_not_b32_e32 v21, v8
	v_cmp_gt_i32_e64 s6, 0, v8
	v_not_b32_e32 v8, v14
	v_lshlrev_b32_e32 v19, 26, v16
	v_cmp_ne_u32_e64 s5, 0, v17
	v_ashrrev_i32_e32 v21, 31, v21
	v_lshlrev_b32_e32 v20, 25, v16
	v_ashrrev_i32_e32 v8, 31, v8
	v_lshlrev_b32_e32 v17, 24, v16
	v_xor_b32_e32 v7, s5, v7
	v_cmp_gt_i32_e64 s5, 0, v14
	v_not_b32_e32 v14, v15
	v_xor_b32_e32 v21, s6, v21
	v_cmp_gt_i32_e64 s6, 0, v15
	v_and_b32_e32 v7, exec_lo, v7
	v_not_b32_e32 v15, v18
	v_ashrrev_i32_e32 v14, 31, v14
	v_xor_b32_e32 v8, s5, v8
	v_cmp_gt_i32_e64 s5, 0, v18
	v_and_b32_e32 v7, v7, v21
	v_not_b32_e32 v18, v19
	v_ashrrev_i32_e32 v15, 31, v15
	v_xor_b32_e32 v14, s6, v14
	v_cmp_gt_i32_e64 s6, 0, v19
	v_and_b32_e32 v7, v7, v8
	v_not_b32_e32 v8, v20
	v_ashrrev_i32_e32 v18, 31, v18
	v_xor_b32_e32 v15, s5, v15
	v_cmp_gt_i32_e64 s5, 0, v20
	v_and_b32_e32 v7, v7, v14
	v_not_b32_e32 v14, v17
	v_ashrrev_i32_e32 v8, 31, v8
	v_xor_b32_e32 v18, s6, v18
	v_cmp_gt_i32_e64 s6, 0, v17
	v_and_b32_e32 v7, v7, v15
	v_bfe_u32 v15, v0, 20, 10
	v_ashrrev_i32_e32 v14, 31, v14
	v_xor_b32_e32 v8, s5, v8
	v_mul_u32_u24_e32 v17, 9, v5
	v_and_b32_e32 v7, v7, v18
	v_mad_u32_u24 v1, v15, s8, v1
	v_xor_b32_e32 v15, s6, v14
	s_delay_alu instid0(VALU_DEP_4) | instskip(NEXT) | instid1(VALU_DEP_4)
	v_lshlrev_b32_e32 v14, 2, v17
	v_and_b32_e32 v18, v7, v8
	ds_store_2addr_b32 v14, v9, v9 offset0:32 offset1:33
	ds_store_2addr_b32 v14, v9, v9 offset0:34 offset1:35
	;; [unrolled: 1-line block ×4, first 2 shown]
	ds_store_b32 v14, v9 offset:160
	s_waitcnt vmcnt(0) lgkmcnt(0)
	s_barrier
	buffer_gl0_inv
	; wave barrier
	v_mad_u64_u32 v[7:8], null, v1, v6, v[5:6]
	v_and_b32_e32 v6, v18, v15
	s_delay_alu instid0(VALU_DEP_1) | instskip(NEXT) | instid1(VALU_DEP_3)
	v_mbcnt_lo_u32_b32 v15, v6, 0
	v_lshrrev_b32_e32 v1, 5, v7
	v_lshl_add_u32 v7, v16, 5, v16
	v_cmp_ne_u32_e64 s6, 0, v6
	s_delay_alu instid0(VALU_DEP_4) | instskip(NEXT) | instid1(VALU_DEP_3)
	v_cmp_eq_u32_e64 s5, 0, v15
	v_add_lshl_u32 v16, v7, v1, 2
	s_delay_alu instid0(VALU_DEP_2) | instskip(NEXT) | instid1(SALU_CYCLE_1)
	s_and_b32 s6, s6, s5
	s_and_saveexec_b32 s5, s6
	s_cbranch_execz .LBB132_11
; %bb.10:
	v_bcnt_u32_b32 v6, v6, 0
	ds_store_b32 v16, v6 offset:128
.LBB132_11:
	s_or_b32 exec_lo, exec_lo, s5
	v_cmp_gt_i32_e64 s5, 0, v2
	; wave barrier
	s_delay_alu instid0(VALU_DEP_1) | instskip(NEXT) | instid1(VALU_DEP_1)
	v_cndmask_b32_e64 v6, 0x7fffffff, 0, s5
	v_xor_b32_e32 v17, v6, v2
	s_delay_alu instid0(VALU_DEP_1) | instskip(NEXT) | instid1(VALU_DEP_1)
	v_cmp_ne_u32_e64 s5, 0x80000000, v17
	v_cndmask_b32_e64 v2, 0x7fffffff, v17, s5
	s_delay_alu instid0(VALU_DEP_1) | instskip(NEXT) | instid1(VALU_DEP_1)
	v_lshrrev_b32_e32 v2, s28, v2
	v_and_b32_e32 v2, s33, v2
	s_delay_alu instid0(VALU_DEP_1)
	v_and_b32_e32 v6, 1, v2
	v_lshlrev_b32_e32 v7, 30, v2
	v_lshlrev_b32_e32 v8, 29, v2
	;; [unrolled: 1-line block ×4, first 2 shown]
	v_add_co_u32 v6, s5, v6, -1
	s_delay_alu instid0(VALU_DEP_1)
	v_cndmask_b32_e64 v18, 0, 1, s5
	v_not_b32_e32 v22, v7
	v_cmp_gt_i32_e64 s6, 0, v7
	v_not_b32_e32 v7, v8
	v_lshlrev_b32_e32 v20, 26, v2
	v_cmp_ne_u32_e64 s5, 0, v18
	v_ashrrev_i32_e32 v22, 31, v22
	v_lshlrev_b32_e32 v21, 25, v2
	v_ashrrev_i32_e32 v7, 31, v7
	v_lshlrev_b32_e32 v18, 24, v2
	v_xor_b32_e32 v6, s5, v6
	v_cmp_gt_i32_e64 s5, 0, v8
	v_not_b32_e32 v8, v9
	v_xor_b32_e32 v22, s6, v22
	v_cmp_gt_i32_e64 s6, 0, v9
	v_and_b32_e32 v6, exec_lo, v6
	v_not_b32_e32 v9, v19
	v_ashrrev_i32_e32 v8, 31, v8
	v_xor_b32_e32 v7, s5, v7
	v_cmp_gt_i32_e64 s5, 0, v19
	v_and_b32_e32 v6, v6, v22
	v_not_b32_e32 v19, v20
	v_ashrrev_i32_e32 v9, 31, v9
	v_xor_b32_e32 v8, s6, v8
	v_cmp_gt_i32_e64 s6, 0, v20
	v_and_b32_e32 v6, v6, v7
	;; [unrolled: 5-line block ×3, first 2 shown]
	v_not_b32_e32 v8, v18
	v_ashrrev_i32_e32 v7, 31, v7
	v_xor_b32_e32 v19, s6, v19
	v_lshl_add_u32 v2, v2, 5, v2
	v_and_b32_e32 v6, v6, v9
	v_cmp_gt_i32_e64 s6, 0, v18
	v_ashrrev_i32_e32 v8, 31, v8
	v_xor_b32_e32 v7, s5, v7
	v_add_lshl_u32 v21, v2, v1, 2
	v_and_b32_e32 v6, v6, v19
	s_delay_alu instid0(VALU_DEP_4) | instskip(SKIP_2) | instid1(VALU_DEP_1)
	v_xor_b32_e32 v2, s6, v8
	ds_load_b32 v18, v21 offset:128
	v_and_b32_e32 v6, v6, v7
	; wave barrier
	v_and_b32_e32 v2, v6, v2
	s_delay_alu instid0(VALU_DEP_1) | instskip(SKIP_1) | instid1(VALU_DEP_2)
	v_mbcnt_lo_u32_b32 v19, v2, 0
	v_cmp_ne_u32_e64 s6, 0, v2
	v_cmp_eq_u32_e64 s5, 0, v19
	s_delay_alu instid0(VALU_DEP_1) | instskip(NEXT) | instid1(SALU_CYCLE_1)
	s_and_b32 s6, s6, s5
	s_and_saveexec_b32 s5, s6
	s_cbranch_execz .LBB132_13
; %bb.12:
	s_waitcnt lgkmcnt(0)
	v_bcnt_u32_b32 v2, v2, v18
	ds_store_b32 v21, v2 offset:128
.LBB132_13:
	s_or_b32 exec_lo, exec_lo, s5
	v_cmp_gt_i32_e64 s5, 0, v3
	; wave barrier
	s_delay_alu instid0(VALU_DEP_1) | instskip(NEXT) | instid1(VALU_DEP_1)
	v_cndmask_b32_e64 v2, 0x7fffffff, 0, s5
	v_xor_b32_e32 v20, v2, v3
	s_delay_alu instid0(VALU_DEP_1) | instskip(NEXT) | instid1(VALU_DEP_1)
	v_cmp_ne_u32_e64 s5, 0x80000000, v20
	v_cndmask_b32_e64 v2, 0x7fffffff, v20, s5
	s_delay_alu instid0(VALU_DEP_1) | instskip(NEXT) | instid1(VALU_DEP_1)
	v_lshrrev_b32_e32 v2, s28, v2
	v_and_b32_e32 v2, s33, v2
	s_delay_alu instid0(VALU_DEP_1)
	v_and_b32_e32 v3, 1, v2
	v_lshlrev_b32_e32 v6, 30, v2
	v_lshlrev_b32_e32 v7, 29, v2
	;; [unrolled: 1-line block ×4, first 2 shown]
	v_add_co_u32 v3, s5, v3, -1
	s_delay_alu instid0(VALU_DEP_1)
	v_cndmask_b32_e64 v9, 0, 1, s5
	v_not_b32_e32 v25, v6
	v_cmp_gt_i32_e64 s6, 0, v6
	v_not_b32_e32 v6, v7
	v_lshlrev_b32_e32 v23, 26, v2
	v_cmp_ne_u32_e64 s5, 0, v9
	v_ashrrev_i32_e32 v25, 31, v25
	v_lshlrev_b32_e32 v24, 25, v2
	v_ashrrev_i32_e32 v6, 31, v6
	v_lshlrev_b32_e32 v9, 24, v2
	v_xor_b32_e32 v3, s5, v3
	v_cmp_gt_i32_e64 s5, 0, v7
	v_not_b32_e32 v7, v8
	v_xor_b32_e32 v25, s6, v25
	v_cmp_gt_i32_e64 s6, 0, v8
	v_and_b32_e32 v3, exec_lo, v3
	v_not_b32_e32 v8, v22
	v_ashrrev_i32_e32 v7, 31, v7
	v_xor_b32_e32 v6, s5, v6
	v_cmp_gt_i32_e64 s5, 0, v22
	v_and_b32_e32 v3, v3, v25
	v_not_b32_e32 v22, v23
	v_ashrrev_i32_e32 v8, 31, v8
	v_xor_b32_e32 v7, s6, v7
	v_cmp_gt_i32_e64 s6, 0, v23
	v_and_b32_e32 v3, v3, v6
	;; [unrolled: 5-line block ×3, first 2 shown]
	v_not_b32_e32 v7, v9
	v_ashrrev_i32_e32 v6, 31, v6
	v_xor_b32_e32 v22, s6, v22
	v_lshl_add_u32 v2, v2, 5, v2
	v_and_b32_e32 v3, v3, v8
	v_cmp_gt_i32_e64 s6, 0, v9
	v_ashrrev_i32_e32 v7, 31, v7
	v_xor_b32_e32 v6, s5, v6
	v_add_lshl_u32 v25, v2, v1, 2
	v_and_b32_e32 v3, v3, v22
	s_delay_alu instid0(VALU_DEP_4) | instskip(SKIP_2) | instid1(VALU_DEP_1)
	v_xor_b32_e32 v2, s6, v7
	ds_load_b32 v22, v25 offset:128
	v_and_b32_e32 v3, v3, v6
	; wave barrier
	v_and_b32_e32 v2, v3, v2
	s_delay_alu instid0(VALU_DEP_1) | instskip(SKIP_1) | instid1(VALU_DEP_2)
	v_mbcnt_lo_u32_b32 v23, v2, 0
	v_cmp_ne_u32_e64 s6, 0, v2
	v_cmp_eq_u32_e64 s5, 0, v23
	s_delay_alu instid0(VALU_DEP_1) | instskip(NEXT) | instid1(SALU_CYCLE_1)
	s_and_b32 s6, s6, s5
	s_and_saveexec_b32 s5, s6
	s_cbranch_execz .LBB132_15
; %bb.14:
	s_waitcnt lgkmcnt(0)
	v_bcnt_u32_b32 v2, v2, v22
	ds_store_b32 v25, v2 offset:128
.LBB132_15:
	s_or_b32 exec_lo, exec_lo, s5
	v_cmp_gt_i32_e64 s5, 0, v4
	; wave barrier
	v_add_nc_u32_e32 v29, 0x80, v14
	s_delay_alu instid0(VALU_DEP_2) | instskip(NEXT) | instid1(VALU_DEP_1)
	v_cndmask_b32_e64 v2, 0x7fffffff, 0, s5
	v_xor_b32_e32 v24, v2, v4
	s_delay_alu instid0(VALU_DEP_1) | instskip(NEXT) | instid1(VALU_DEP_1)
	v_cmp_ne_u32_e64 s5, 0x80000000, v24
	v_cndmask_b32_e64 v2, 0x7fffffff, v24, s5
	s_delay_alu instid0(VALU_DEP_1) | instskip(NEXT) | instid1(VALU_DEP_1)
	v_lshrrev_b32_e32 v2, s28, v2
	v_and_b32_e32 v2, s33, v2
	s_delay_alu instid0(VALU_DEP_1)
	v_and_b32_e32 v3, 1, v2
	v_lshlrev_b32_e32 v4, 30, v2
	v_lshlrev_b32_e32 v6, 29, v2
	;; [unrolled: 1-line block ×4, first 2 shown]
	v_add_co_u32 v3, s5, v3, -1
	s_delay_alu instid0(VALU_DEP_1)
	v_cndmask_b32_e64 v8, 0, 1, s5
	v_not_b32_e32 v28, v4
	v_cmp_gt_i32_e64 s6, 0, v4
	v_not_b32_e32 v4, v6
	v_lshlrev_b32_e32 v26, 26, v2
	v_cmp_ne_u32_e64 s5, 0, v8
	v_ashrrev_i32_e32 v28, 31, v28
	v_lshlrev_b32_e32 v27, 25, v2
	v_ashrrev_i32_e32 v4, 31, v4
	v_lshlrev_b32_e32 v8, 24, v2
	v_xor_b32_e32 v3, s5, v3
	v_cmp_gt_i32_e64 s5, 0, v6
	v_not_b32_e32 v6, v7
	v_xor_b32_e32 v28, s6, v28
	v_cmp_gt_i32_e64 s6, 0, v7
	v_and_b32_e32 v3, exec_lo, v3
	v_not_b32_e32 v7, v9
	v_ashrrev_i32_e32 v6, 31, v6
	v_xor_b32_e32 v4, s5, v4
	v_cmp_gt_i32_e64 s5, 0, v9
	v_and_b32_e32 v3, v3, v28
	v_not_b32_e32 v9, v26
	v_ashrrev_i32_e32 v7, 31, v7
	v_xor_b32_e32 v6, s6, v6
	v_cmp_gt_i32_e64 s6, 0, v26
	v_and_b32_e32 v3, v3, v4
	;; [unrolled: 5-line block ×3, first 2 shown]
	v_not_b32_e32 v6, v8
	v_ashrrev_i32_e32 v4, 31, v4
	v_xor_b32_e32 v9, s6, v9
	v_lshl_add_u32 v2, v2, 5, v2
	v_and_b32_e32 v3, v3, v7
	v_cmp_gt_i32_e64 s6, 0, v8
	v_ashrrev_i32_e32 v6, 31, v6
	v_xor_b32_e32 v4, s5, v4
	v_add_lshl_u32 v28, v2, v1, 2
	v_and_b32_e32 v3, v3, v9
	s_delay_alu instid0(VALU_DEP_4) | instskip(SKIP_2) | instid1(VALU_DEP_1)
	v_xor_b32_e32 v1, s6, v6
	ds_load_b32 v26, v28 offset:128
	v_and_b32_e32 v2, v3, v4
	; wave barrier
	v_and_b32_e32 v1, v2, v1
	s_delay_alu instid0(VALU_DEP_1) | instskip(SKIP_1) | instid1(VALU_DEP_2)
	v_mbcnt_lo_u32_b32 v27, v1, 0
	v_cmp_ne_u32_e64 s6, 0, v1
	v_cmp_eq_u32_e64 s5, 0, v27
	s_delay_alu instid0(VALU_DEP_1) | instskip(NEXT) | instid1(SALU_CYCLE_1)
	s_and_b32 s6, s6, s5
	s_and_saveexec_b32 s5, s6
	s_cbranch_execz .LBB132_17
; %bb.16:
	s_waitcnt lgkmcnt(0)
	v_bcnt_u32_b32 v1, v1, v26
	ds_store_b32 v28, v1 offset:128
.LBB132_17:
	s_or_b32 exec_lo, exec_lo, s5
	; wave barrier
	s_waitcnt lgkmcnt(0)
	s_barrier
	buffer_gl0_inv
	ds_load_2addr_b32 v[8:9], v14 offset0:32 offset1:33
	ds_load_2addr_b32 v[6:7], v29 offset0:2 offset1:3
	;; [unrolled: 1-line block ×4, first 2 shown]
	ds_load_b32 v30, v29 offset:32
	v_and_b32_e32 v33, 16, v12
	v_and_b32_e32 v34, 31, v5
	s_mov_b32 s11, exec_lo
	s_delay_alu instid0(VALU_DEP_2) | instskip(SKIP_3) | instid1(VALU_DEP_1)
	v_cmp_eq_u32_e64 s9, 0, v33
	s_waitcnt lgkmcnt(3)
	v_add3_u32 v31, v9, v8, v6
	s_waitcnt lgkmcnt(2)
	v_add3_u32 v31, v31, v7, v3
	s_waitcnt lgkmcnt(1)
	s_delay_alu instid0(VALU_DEP_1) | instskip(SKIP_1) | instid1(VALU_DEP_1)
	v_add3_u32 v31, v31, v4, v1
	s_waitcnt lgkmcnt(0)
	v_add3_u32 v30, v31, v2, v30
	v_and_b32_e32 v31, 15, v12
	s_delay_alu instid0(VALU_DEP_2) | instskip(NEXT) | instid1(VALU_DEP_2)
	v_mov_b32_dpp v32, v30 row_shr:1 row_mask:0xf bank_mask:0xf
	v_cmp_eq_u32_e64 s5, 0, v31
	v_cmp_lt_u32_e64 s6, 1, v31
	v_cmp_lt_u32_e64 s7, 3, v31
	;; [unrolled: 1-line block ×3, first 2 shown]
	s_delay_alu instid0(VALU_DEP_4) | instskip(NEXT) | instid1(VALU_DEP_1)
	v_cndmask_b32_e64 v32, v32, 0, s5
	v_add_nc_u32_e32 v30, v32, v30
	s_delay_alu instid0(VALU_DEP_1) | instskip(NEXT) | instid1(VALU_DEP_1)
	v_mov_b32_dpp v32, v30 row_shr:2 row_mask:0xf bank_mask:0xf
	v_cndmask_b32_e64 v32, 0, v32, s6
	s_delay_alu instid0(VALU_DEP_1) | instskip(NEXT) | instid1(VALU_DEP_1)
	v_add_nc_u32_e32 v30, v30, v32
	v_mov_b32_dpp v32, v30 row_shr:4 row_mask:0xf bank_mask:0xf
	s_delay_alu instid0(VALU_DEP_1) | instskip(NEXT) | instid1(VALU_DEP_1)
	v_cndmask_b32_e64 v32, 0, v32, s7
	v_add_nc_u32_e32 v30, v30, v32
	s_delay_alu instid0(VALU_DEP_1) | instskip(NEXT) | instid1(VALU_DEP_1)
	v_mov_b32_dpp v32, v30 row_shr:8 row_mask:0xf bank_mask:0xf
	v_cndmask_b32_e64 v31, 0, v32, s8
	v_bfe_i32 v32, v12, 4, 1
	s_delay_alu instid0(VALU_DEP_2) | instskip(SKIP_4) | instid1(VALU_DEP_2)
	v_add_nc_u32_e32 v30, v30, v31
	ds_swizzle_b32 v31, v30 offset:swizzle(BROADCAST,32,15)
	s_waitcnt lgkmcnt(0)
	v_and_b32_e32 v32, v32, v31
	v_lshrrev_b32_e32 v31, 5, v5
	v_add_nc_u32_e32 v30, v30, v32
	v_cmpx_eq_u32_e32 31, v34
	s_cbranch_execz .LBB132_19
; %bb.18:
	s_delay_alu instid0(VALU_DEP_3)
	v_lshlrev_b32_e32 v32, 2, v31
	ds_store_b32 v32, v30
.LBB132_19:
	s_or_b32 exec_lo, exec_lo, s11
	v_cmp_lt_u32_e64 s10, 31, v5
	s_mov_b32 s35, exec_lo
	s_waitcnt lgkmcnt(0)
	s_barrier
	buffer_gl0_inv
	v_cmpx_gt_u32_e32 32, v5
	s_cbranch_execz .LBB132_21
; %bb.20:
	ds_load_b32 v32, v13
	s_waitcnt lgkmcnt(0)
	v_mov_b32_dpp v33, v32 row_shr:1 row_mask:0xf bank_mask:0xf
	s_delay_alu instid0(VALU_DEP_1) | instskip(NEXT) | instid1(VALU_DEP_1)
	v_cndmask_b32_e64 v33, v33, 0, s5
	v_add_nc_u32_e32 v32, v33, v32
	s_delay_alu instid0(VALU_DEP_1) | instskip(NEXT) | instid1(VALU_DEP_1)
	v_mov_b32_dpp v33, v32 row_shr:2 row_mask:0xf bank_mask:0xf
	v_cndmask_b32_e64 v33, 0, v33, s6
	s_delay_alu instid0(VALU_DEP_1) | instskip(NEXT) | instid1(VALU_DEP_1)
	v_add_nc_u32_e32 v32, v32, v33
	v_mov_b32_dpp v33, v32 row_shr:4 row_mask:0xf bank_mask:0xf
	s_delay_alu instid0(VALU_DEP_1) | instskip(NEXT) | instid1(VALU_DEP_1)
	v_cndmask_b32_e64 v33, 0, v33, s7
	v_add_nc_u32_e32 v32, v32, v33
	s_delay_alu instid0(VALU_DEP_1) | instskip(NEXT) | instid1(VALU_DEP_1)
	v_mov_b32_dpp v33, v32 row_shr:8 row_mask:0xf bank_mask:0xf
	v_cndmask_b32_e64 v33, 0, v33, s8
	s_delay_alu instid0(VALU_DEP_1) | instskip(SKIP_3) | instid1(VALU_DEP_1)
	v_add_nc_u32_e32 v32, v32, v33
	ds_swizzle_b32 v33, v32 offset:swizzle(BROADCAST,32,15)
	s_waitcnt lgkmcnt(0)
	v_cndmask_b32_e64 v33, v33, 0, s9
	v_add_nc_u32_e32 v32, v32, v33
	ds_store_b32 v13, v32
.LBB132_21:
	s_or_b32 exec_lo, exec_lo, s35
	v_mov_b32_e32 v32, 0
	s_waitcnt lgkmcnt(0)
	s_barrier
	buffer_gl0_inv
	s_and_saveexec_b32 s5, s10
	s_cbranch_execz .LBB132_23
; %bb.22:
	v_lshl_add_u32 v31, v31, 2, -4
	ds_load_b32 v32, v31
.LBB132_23:
	s_or_b32 exec_lo, exec_lo, s5
	v_add_nc_u32_e32 v31, -1, v12
	s_waitcnt lgkmcnt(0)
	v_add_nc_u32_e32 v30, v32, v30
	s_delay_alu instid0(VALU_DEP_2) | instskip(NEXT) | instid1(VALU_DEP_1)
	v_cmp_gt_i32_e64 s5, 0, v31
	v_cndmask_b32_e64 v31, v31, v12, s5
	v_cmp_eq_u32_e64 s5, 0, v12
	s_delay_alu instid0(VALU_DEP_2) | instskip(SKIP_4) | instid1(VALU_DEP_1)
	v_lshlrev_b32_e32 v31, 2, v31
	ds_bpermute_b32 v30, v31, v30
	s_waitcnt lgkmcnt(0)
	v_cndmask_b32_e64 v30, v30, v32, s5
	v_cmp_ne_u32_e64 s5, 0, v5
	v_cndmask_b32_e64 v30, 0, v30, s5
	v_cmp_gt_u32_e64 s5, 0x100, v5
	s_delay_alu instid0(VALU_DEP_2) | instskip(NEXT) | instid1(VALU_DEP_1)
	v_add_nc_u32_e32 v8, v30, v8
	v_add_nc_u32_e32 v9, v8, v9
	s_delay_alu instid0(VALU_DEP_1) | instskip(NEXT) | instid1(VALU_DEP_1)
	v_add_nc_u32_e32 v6, v9, v6
	v_add_nc_u32_e32 v7, v6, v7
	s_delay_alu instid0(VALU_DEP_1) | instskip(NEXT) | instid1(VALU_DEP_1)
	;; [unrolled: 3-line block ×3, first 2 shown]
	v_add_nc_u32_e32 v1, v4, v1
	v_add_nc_u32_e32 v2, v1, v2
	ds_store_2addr_b32 v14, v30, v8 offset0:32 offset1:33
	ds_store_2addr_b32 v29, v9, v6 offset0:2 offset1:3
	;; [unrolled: 1-line block ×4, first 2 shown]
	ds_store_b32 v29, v2 offset:32
	s_waitcnt lgkmcnt(0)
	s_barrier
	buffer_gl0_inv
	ds_load_b32 v1, v16 offset:128
	ds_load_b32 v2, v21 offset:128
	;; [unrolled: 1-line block ×4, first 2 shown]
                                        ; implicit-def: $vgpr14
                                        ; implicit-def: $vgpr16
	s_and_saveexec_b32 s7, s5
	s_cbranch_execz .LBB132_27
; %bb.24:
	v_mul_u32_u24_e32 v6, 33, v5
	s_mov_b32 s8, exec_lo
	s_delay_alu instid0(VALU_DEP_1)
	v_dual_mov_b32 v6, 0x1000 :: v_dual_lshlrev_b32 v7, 2, v6
	ds_load_b32 v14, v7 offset:128
	v_cmpx_ne_u32_e32 0xff, v5
	s_cbranch_execz .LBB132_26
; %bb.25:
	ds_load_b32 v6, v7 offset:260
.LBB132_26:
	s_or_b32 exec_lo, exec_lo, s8
	s_waitcnt lgkmcnt(0)
	v_sub_nc_u32_e32 v16, v6, v14
.LBB132_27:
	s_or_b32 exec_lo, exec_lo, s7
	s_waitcnt lgkmcnt(3)
	v_add_nc_u32_e32 v21, v1, v15
	s_waitcnt lgkmcnt(2)
	v_add3_u32 v19, v19, v18, v2
	s_waitcnt lgkmcnt(1)
	v_add3_u32 v18, v23, v22, v3
	;; [unrolled: 2-line block ×3, first 2 shown]
	v_lshlrev_b32_e32 v1, 2, v21
	v_lshlrev_b32_e32 v2, 2, v19
	;; [unrolled: 1-line block ×3, first 2 shown]
	s_delay_alu instid0(VALU_DEP_4)
	v_lshlrev_b32_e32 v4, 2, v15
	s_barrier
	buffer_gl0_inv
	ds_store_b32 v1, v11 offset:2048
	ds_store_b32 v2, v17 offset:2048
	;; [unrolled: 1-line block ×4, first 2 shown]
	s_waitcnt lgkmcnt(0)
	s_barrier
	buffer_gl0_inv
	s_and_saveexec_b32 s7, s5
	s_cbranch_execz .LBB132_37
; %bb.28:
	v_lshl_or_b32 v3, s15, 8, v5
	v_mov_b32_e32 v4, 0
	v_mov_b32_e32 v8, 0
	s_mov_b32 s8, 0
	s_mov_b32 s9, s15
	s_delay_alu instid0(VALU_DEP_2) | instskip(SKIP_1) | instid1(VALU_DEP_2)
	v_lshlrev_b64 v[1:2], 2, v[3:4]
	v_or_b32_e32 v3, 2.0, v16
	v_add_co_u32 v1, s6, s12, v1
	s_delay_alu instid0(VALU_DEP_1)
	v_add_co_ci_u32_e64 v2, s6, s13, v2, s6
                                        ; implicit-def: $sgpr6
	global_store_b32 v[1:2], v3, off
	s_branch .LBB132_30
	.p2align	6
.LBB132_29:                             ;   in Loop: Header=BB132_30 Depth=1
	s_or_b32 exec_lo, exec_lo, s10
	v_and_b32_e32 v6, 0x3fffffff, v9
	v_cmp_eq_u32_e64 s6, 0x80000000, v3
	s_delay_alu instid0(VALU_DEP_2) | instskip(NEXT) | instid1(VALU_DEP_2)
	v_add_nc_u32_e32 v8, v6, v8
	s_and_b32 s10, exec_lo, s6
	s_delay_alu instid0(SALU_CYCLE_1) | instskip(NEXT) | instid1(SALU_CYCLE_1)
	s_or_b32 s8, s10, s8
	s_and_not1_b32 exec_lo, exec_lo, s8
	s_cbranch_execz .LBB132_36
.LBB132_30:                             ; =>This Loop Header: Depth=1
                                        ;     Child Loop BB132_33 Depth 2
	s_or_b32 s6, s6, exec_lo
	s_cmp_eq_u32 s9, 0
	s_cbranch_scc1 .LBB132_35
; %bb.31:                               ;   in Loop: Header=BB132_30 Depth=1
	s_add_i32 s9, s9, -1
	s_mov_b32 s10, exec_lo
	v_lshl_or_b32 v3, s9, 8, v5
	s_delay_alu instid0(VALU_DEP_1) | instskip(NEXT) | instid1(VALU_DEP_1)
	v_lshlrev_b64 v[6:7], 2, v[3:4]
	v_add_co_u32 v6, s6, s12, v6
	s_delay_alu instid0(VALU_DEP_1) | instskip(SKIP_3) | instid1(VALU_DEP_1)
	v_add_co_ci_u32_e64 v7, s6, s13, v7, s6
	global_load_b32 v9, v[6:7], off glc
	s_waitcnt vmcnt(0)
	v_and_b32_e32 v3, -2.0, v9
	v_cmpx_eq_u32_e32 0, v3
	s_cbranch_execz .LBB132_29
; %bb.32:                               ;   in Loop: Header=BB132_30 Depth=1
	s_mov_b32 s11, 0
.LBB132_33:                             ;   Parent Loop BB132_30 Depth=1
                                        ; =>  This Inner Loop Header: Depth=2
	global_load_b32 v9, v[6:7], off glc
	s_waitcnt vmcnt(0)
	v_and_b32_e32 v3, -2.0, v9
	s_delay_alu instid0(VALU_DEP_1) | instskip(NEXT) | instid1(VALU_DEP_1)
	v_cmp_ne_u32_e64 s6, 0, v3
	s_or_b32 s11, s6, s11
	s_delay_alu instid0(SALU_CYCLE_1)
	s_and_not1_b32 exec_lo, exec_lo, s11
	s_cbranch_execnz .LBB132_33
; %bb.34:                               ;   in Loop: Header=BB132_30 Depth=1
	s_or_b32 exec_lo, exec_lo, s11
	s_branch .LBB132_29
.LBB132_35:                             ;   in Loop: Header=BB132_30 Depth=1
                                        ; implicit-def: $sgpr9
	s_and_b32 s10, exec_lo, s6
	s_delay_alu instid0(SALU_CYCLE_1) | instskip(NEXT) | instid1(SALU_CYCLE_1)
	s_or_b32 s8, s10, s8
	s_and_not1_b32 exec_lo, exec_lo, s8
	s_cbranch_execnz .LBB132_30
.LBB132_36:
	s_or_b32 exec_lo, exec_lo, s8
	v_add_nc_u32_e32 v3, v8, v16
	v_lshlrev_b32_e32 v4, 3, v5
	s_delay_alu instid0(VALU_DEP_2) | instskip(SKIP_3) | instid1(VALU_DEP_1)
	v_or_b32_e32 v3, 0x80000000, v3
	global_store_b32 v[1:2], v3, off
	global_load_b64 v[1:2], v4, s[24:25]
	v_sub_co_u32 v3, s6, v8, v14
	v_sub_co_ci_u32_e64 v6, null, 0, 0, s6
	s_waitcnt vmcnt(0)
	s_delay_alu instid0(VALU_DEP_2) | instskip(NEXT) | instid1(VALU_DEP_1)
	v_add_co_u32 v1, s6, v3, v1
	v_add_co_ci_u32_e64 v2, s6, v6, v2, s6
	ds_store_b64 v4, v[1:2]
.LBB132_37:
	s_or_b32 exec_lo, exec_lo, s7
	v_cmp_gt_u32_e64 s6, s34, v5
	s_waitcnt lgkmcnt(0)
	s_waitcnt_vscnt null, 0x0
	s_barrier
	buffer_gl0_inv
	s_and_saveexec_b32 s8, s6
	s_cbranch_execz .LBB132_39
; %bb.38:
	ds_load_b32 v3, v13 offset:2048
	s_waitcnt lgkmcnt(0)
	v_cmp_ne_u32_e64 s7, 0x80000000, v3
	s_delay_alu instid0(VALU_DEP_1) | instskip(SKIP_1) | instid1(VALU_DEP_2)
	v_cndmask_b32_e64 v1, 0x7fffffff, v3, s7
	v_cmp_gt_i32_e64 s7, 0, v3
	v_lshrrev_b32_e32 v1, s28, v1
	s_delay_alu instid0(VALU_DEP_2) | instskip(NEXT) | instid1(VALU_DEP_2)
	v_cndmask_b32_e64 v4, 0x7fffffff, 0, s7
	v_and_b32_e32 v1, s33, v1
	s_delay_alu instid0(VALU_DEP_2) | instskip(NEXT) | instid1(VALU_DEP_2)
	v_xor_b32_e32 v3, v4, v3
	v_lshlrev_b32_e32 v1, 3, v1
	ds_load_b64 v[1:2], v1
	s_waitcnt lgkmcnt(0)
	v_lshlrev_b64 v[1:2], 2, v[1:2]
	s_delay_alu instid0(VALU_DEP_1) | instskip(NEXT) | instid1(VALU_DEP_1)
	v_add_co_u32 v1, s7, s18, v1
	v_add_co_ci_u32_e64 v2, s7, s19, v2, s7
	s_delay_alu instid0(VALU_DEP_2) | instskip(NEXT) | instid1(VALU_DEP_1)
	v_add_co_u32 v1, s7, v1, v13
	v_add_co_ci_u32_e64 v2, s7, 0, v2, s7
	global_store_b32 v[1:2], v3, off
.LBB132_39:
	s_or_b32 exec_lo, exec_lo, s8
	v_or_b32_e32 v17, 0x400, v5
	s_delay_alu instid0(VALU_DEP_1) | instskip(NEXT) | instid1(VALU_DEP_1)
	v_cmp_gt_u32_e64 s7, s34, v17
	s_and_saveexec_b32 s9, s7
	s_cbranch_execz .LBB132_41
; %bb.40:
	ds_load_b32 v3, v13 offset:6144
	v_lshlrev_b32_e32 v4, 2, v17
	s_waitcnt lgkmcnt(0)
	v_cmp_ne_u32_e64 s8, 0x80000000, v3
	s_delay_alu instid0(VALU_DEP_1) | instskip(SKIP_1) | instid1(VALU_DEP_2)
	v_cndmask_b32_e64 v1, 0x7fffffff, v3, s8
	v_cmp_gt_i32_e64 s8, 0, v3
	v_lshrrev_b32_e32 v1, s28, v1
	s_delay_alu instid0(VALU_DEP_2) | instskip(NEXT) | instid1(VALU_DEP_2)
	v_cndmask_b32_e64 v6, 0x7fffffff, 0, s8
	v_and_b32_e32 v1, s33, v1
	s_delay_alu instid0(VALU_DEP_2) | instskip(NEXT) | instid1(VALU_DEP_2)
	v_xor_b32_e32 v3, v6, v3
	v_lshlrev_b32_e32 v1, 3, v1
	ds_load_b64 v[1:2], v1
	s_waitcnt lgkmcnt(0)
	v_lshlrev_b64 v[1:2], 2, v[1:2]
	s_delay_alu instid0(VALU_DEP_1) | instskip(NEXT) | instid1(VALU_DEP_1)
	v_add_co_u32 v1, s8, s18, v1
	v_add_co_ci_u32_e64 v2, s8, s19, v2, s8
	s_delay_alu instid0(VALU_DEP_2) | instskip(NEXT) | instid1(VALU_DEP_1)
	v_add_co_u32 v1, s8, v1, v4
	v_add_co_ci_u32_e64 v2, s8, 0, v2, s8
	global_store_b32 v[1:2], v3, off
.LBB132_41:
	s_or_b32 exec_lo, exec_lo, s9
	v_or_b32_e32 v20, 0x800, v5
	s_delay_alu instid0(VALU_DEP_1) | instskip(NEXT) | instid1(VALU_DEP_1)
	v_cmp_gt_u32_e64 s8, s34, v20
	s_and_saveexec_b32 s10, s8
	s_cbranch_execz .LBB132_43
; %bb.42:
	ds_load_b32 v3, v13 offset:10240
	v_lshlrev_b32_e32 v4, 2, v20
	s_waitcnt lgkmcnt(0)
	v_cmp_ne_u32_e64 s9, 0x80000000, v3
	s_delay_alu instid0(VALU_DEP_1) | instskip(SKIP_1) | instid1(VALU_DEP_2)
	v_cndmask_b32_e64 v1, 0x7fffffff, v3, s9
	v_cmp_gt_i32_e64 s9, 0, v3
	v_lshrrev_b32_e32 v1, s28, v1
	s_delay_alu instid0(VALU_DEP_2) | instskip(NEXT) | instid1(VALU_DEP_2)
	v_cndmask_b32_e64 v6, 0x7fffffff, 0, s9
	v_and_b32_e32 v1, s33, v1
	s_delay_alu instid0(VALU_DEP_2) | instskip(NEXT) | instid1(VALU_DEP_2)
	v_xor_b32_e32 v3, v6, v3
	v_lshlrev_b32_e32 v1, 3, v1
	ds_load_b64 v[1:2], v1
	s_waitcnt lgkmcnt(0)
	v_lshlrev_b64 v[1:2], 2, v[1:2]
	s_delay_alu instid0(VALU_DEP_1) | instskip(NEXT) | instid1(VALU_DEP_1)
	v_add_co_u32 v1, s9, s18, v1
	v_add_co_ci_u32_e64 v2, s9, s19, v2, s9
	s_delay_alu instid0(VALU_DEP_2) | instskip(NEXT) | instid1(VALU_DEP_1)
	v_add_co_u32 v1, s9, v1, v4
	v_add_co_ci_u32_e64 v2, s9, 0, v2, s9
	global_store_b32 v[1:2], v3, off
.LBB132_43:
	;; [unrolled: 32-line block ×3, first 2 shown]
	s_or_b32 exec_lo, exec_lo, s11
	v_lshlrev_b32_e32 v1, 3, v12
	s_lshl_b64 s[10:11], s[30:31], 3
	v_lshlrev_b32_e32 v2, 3, v10
	s_add_u32 s10, s20, s10
	s_addc_u32 s11, s21, s11
	v_add_co_u32 v1, s10, s10, v1
	s_delay_alu instid0(VALU_DEP_1) | instskip(NEXT) | instid1(VALU_DEP_2)
	v_add_co_ci_u32_e64 v3, null, s11, 0, s10
	v_add_co_u32 v10, s10, v1, v2
	s_delay_alu instid0(VALU_DEP_1) | instskip(SKIP_1) | instid1(SALU_CYCLE_1)
	v_add_co_ci_u32_e64 v11, s10, 0, v3, s10
                                        ; implicit-def: $vgpr1_vgpr2
	s_and_saveexec_b32 s10, vcc_lo
	s_xor_b32 s10, exec_lo, s10
	s_cbranch_execnz .LBB132_103
; %bb.46:
	s_or_b32 exec_lo, exec_lo, s10
                                        ; implicit-def: $vgpr3_vgpr4
	s_and_saveexec_b32 s10, s2
	s_cbranch_execnz .LBB132_104
.LBB132_47:
	s_or_b32 exec_lo, exec_lo, s10
                                        ; implicit-def: $vgpr6_vgpr7
	s_and_saveexec_b32 s2, s3
	s_cbranch_execnz .LBB132_105
.LBB132_48:
	s_or_b32 exec_lo, exec_lo, s2
                                        ; implicit-def: $vgpr8_vgpr9
	s_and_saveexec_b32 s2, s4
	s_cbranch_execz .LBB132_50
.LBB132_49:
	global_load_b64 v[8:9], v[10:11], off offset:768
.LBB132_50:
	s_or_b32 exec_lo, exec_lo, s2
	v_dual_mov_b32 v11, 0 :: v_dual_mov_b32 v24, 0
	s_and_saveexec_b32 s2, s6
	s_cbranch_execz .LBB132_52
; %bb.51:
	ds_load_b32 v10, v13 offset:2048
	s_waitcnt lgkmcnt(0)
	v_cmp_ne_u32_e32 vcc_lo, 0x80000000, v10
	v_cndmask_b32_e32 v10, 0x7fffffff, v10, vcc_lo
	s_delay_alu instid0(VALU_DEP_1) | instskip(NEXT) | instid1(VALU_DEP_1)
	v_lshrrev_b32_e32 v10, s28, v10
	v_and_b32_e32 v24, s33, v10
.LBB132_52:
	s_or_b32 exec_lo, exec_lo, s2
	s_and_saveexec_b32 s2, s7
	s_cbranch_execz .LBB132_54
; %bb.53:
	ds_load_b32 v10, v13 offset:6144
	s_waitcnt lgkmcnt(0)
	v_cmp_ne_u32_e32 vcc_lo, 0x80000000, v10
	v_cndmask_b32_e32 v10, 0x7fffffff, v10, vcc_lo
	s_delay_alu instid0(VALU_DEP_1) | instskip(NEXT) | instid1(VALU_DEP_1)
	v_lshrrev_b32_e32 v10, s28, v10
	v_and_b32_e32 v11, s33, v10
.LBB132_54:
	s_or_b32 exec_lo, exec_lo, s2
	v_dual_mov_b32 v10, 0 :: v_dual_mov_b32 v23, 0
	s_and_saveexec_b32 s2, s8
	s_cbranch_execz .LBB132_56
; %bb.55:
	ds_load_b32 v23, v13 offset:10240
	s_waitcnt lgkmcnt(0)
	v_cmp_ne_u32_e32 vcc_lo, 0x80000000, v23
	v_cndmask_b32_e32 v23, 0x7fffffff, v23, vcc_lo
	s_delay_alu instid0(VALU_DEP_1) | instskip(NEXT) | instid1(VALU_DEP_1)
	v_lshrrev_b32_e32 v23, s28, v23
	v_and_b32_e32 v23, s33, v23
.LBB132_56:
	s_or_b32 exec_lo, exec_lo, s2
	s_and_saveexec_b32 s2, s9
	s_cbranch_execz .LBB132_58
; %bb.57:
	ds_load_b32 v10, v13 offset:14336
	s_waitcnt lgkmcnt(0)
	v_cmp_ne_u32_e32 vcc_lo, 0x80000000, v10
	v_cndmask_b32_e32 v10, 0x7fffffff, v10, vcc_lo
	s_delay_alu instid0(VALU_DEP_1) | instskip(NEXT) | instid1(VALU_DEP_1)
	v_lshrrev_b32_e32 v10, s28, v10
	v_and_b32_e32 v10, s33, v10
.LBB132_58:
	s_or_b32 exec_lo, exec_lo, s2
	v_lshlrev_b32_e32 v13, 3, v21
	v_lshlrev_b32_e32 v19, 3, v19
	;; [unrolled: 1-line block ×3, first 2 shown]
	s_waitcnt vmcnt(0)
	s_waitcnt_vscnt null, 0x0
	s_barrier
	buffer_gl0_inv
	v_lshlrev_b32_e32 v15, 3, v15
	ds_store_b64 v13, v[1:2] offset:2048
	ds_store_b64 v19, v[3:4] offset:2048
	;; [unrolled: 1-line block ×3, first 2 shown]
	v_lshlrev_b32_e32 v1, 3, v5
	ds_store_b64 v15, v[8:9] offset:2048
	s_waitcnt lgkmcnt(0)
	s_barrier
	buffer_gl0_inv
	s_and_saveexec_b32 s2, s6
	s_cbranch_execnz .LBB132_106
; %bb.59:
	s_or_b32 exec_lo, exec_lo, s2
	s_and_saveexec_b32 s2, s7
	s_cbranch_execnz .LBB132_107
.LBB132_60:
	s_or_b32 exec_lo, exec_lo, s2
	s_and_saveexec_b32 s2, s8
	s_cbranch_execnz .LBB132_108
.LBB132_61:
	s_or_b32 exec_lo, exec_lo, s2
	s_and_saveexec_b32 s2, s9
	s_cbranch_execz .LBB132_63
.LBB132_62:
	v_lshlrev_b32_e32 v2, 3, v10
	ds_load_b64 v[2:3], v2
	ds_load_b64 v[6:7], v1 offset:26624
	s_waitcnt lgkmcnt(1)
	v_lshlrev_b64 v[1:2], 3, v[2:3]
	v_lshlrev_b32_e32 v3, 3, v22
	s_delay_alu instid0(VALU_DEP_2) | instskip(NEXT) | instid1(VALU_DEP_3)
	v_add_co_u32 v1, vcc_lo, s22, v1
	v_add_co_ci_u32_e32 v2, vcc_lo, s23, v2, vcc_lo
	s_delay_alu instid0(VALU_DEP_2) | instskip(NEXT) | instid1(VALU_DEP_2)
	v_add_co_u32 v1, vcc_lo, v1, v3
	v_add_co_ci_u32_e32 v2, vcc_lo, 0, v2, vcc_lo
	s_waitcnt lgkmcnt(0)
	global_store_b64 v[1:2], v[6:7], off
.LBB132_63:
	s_or_b32 exec_lo, exec_lo, s2
	s_add_i32 s14, s14, -1
	s_mov_b32 s2, 0
	s_cmp_eq_u32 s15, s14
	s_mov_b32 s8, 0
	s_cselect_b32 s3, -1, 0
                                        ; implicit-def: $vgpr2_vgpr3
	s_delay_alu instid0(SALU_CYCLE_1) | instskip(NEXT) | instid1(SALU_CYCLE_1)
	s_and_b32 s3, s5, s3
	s_and_saveexec_b32 s4, s3
	s_delay_alu instid0(SALU_CYCLE_1)
	s_xor_b32 s3, exec_lo, s4
; %bb.64:
	v_add_co_u32 v2, s4, v14, v16
	v_mov_b32_e32 v6, 0
	v_add_co_ci_u32_e64 v3, null, 0, 0, s4
	s_mov_b32 s8, exec_lo
; %bb.65:
	s_or_b32 exec_lo, exec_lo, s3
	s_delay_alu instid0(SALU_CYCLE_1)
	s_and_b32 vcc_lo, exec_lo, s2
	s_cbranch_vccnz .LBB132_67
	s_branch .LBB132_100
.LBB132_66:
	s_mov_b32 s8, 0
                                        ; implicit-def: $vgpr2_vgpr3
	s_cbranch_execz .LBB132_100
.LBB132_67:
	v_dual_mov_b32 v9, 0 :: v_dual_lshlrev_b32 v4, 2, v5
	s_lshl_b32 s6, s15, 12
	s_mov_b32 s7, 0
	v_lshlrev_b32_e32 v1, 2, v12
	s_delay_alu instid0(VALU_DEP_2) | instskip(SKIP_1) | instid1(SALU_CYCLE_1)
	v_and_b32_e32 v10, 0xf80, v4
	s_lshl_b64 s[2:3], s[6:7], 2
	s_add_u32 s2, s16, s2
	s_addc_u32 s3, s17, s3
	s_delay_alu instid0(VALU_DEP_1) | instskip(SKIP_1) | instid1(VALU_DEP_1)
	v_lshlrev_b32_e32 v2, 2, v10
	v_add_co_u32 v1, s2, s2, v1
	v_add_co_ci_u32_e64 v3, null, s3, 0, s2
	s_delay_alu instid0(VALU_DEP_2) | instskip(NEXT) | instid1(VALU_DEP_2)
	v_add_co_u32 v6, vcc_lo, v1, v2
	v_add_co_ci_u32_e32 v7, vcc_lo, 0, v3, vcc_lo
	global_load_b32 v8, v[6:7], off
	s_clause 0x1
	s_load_b32 s2, s[0:1], 0x5c
	s_load_b32 s9, s[0:1], 0x50
	s_add_u32 s0, s0, 0x50
	s_addc_u32 s1, s1, 0
	s_waitcnt lgkmcnt(0)
	s_lshr_b32 s2, s2, 16
	s_cmp_lt_u32 s15, s9
	s_cselect_b32 s3, 12, 18
	s_delay_alu instid0(SALU_CYCLE_1)
	s_add_u32 s0, s0, s3
	s_addc_u32 s1, s1, 0
	global_load_u16 v13, v9, s[0:1]
	s_clause 0x2
	global_load_b32 v3, v[6:7], off offset:128
	global_load_b32 v2, v[6:7], off offset:256
	;; [unrolled: 1-line block ×3, first 2 shown]
	s_lshl_b32 s0, -1, s29
	s_delay_alu instid0(SALU_CYCLE_1) | instskip(SKIP_3) | instid1(VALU_DEP_1)
	s_not_b32 s10, s0
	s_waitcnt vmcnt(4)
	v_cmp_gt_i32_e32 vcc_lo, 0, v8
	v_cndmask_b32_e64 v6, 0x7fffffff, 0, vcc_lo
	v_xor_b32_e32 v11, v6, v8
	s_delay_alu instid0(VALU_DEP_1) | instskip(SKIP_1) | instid1(VALU_DEP_1)
	v_cmp_ne_u32_e32 vcc_lo, 0x80000000, v11
	v_cndmask_b32_e32 v6, 0x7fffffff, v11, vcc_lo
	v_lshrrev_b32_e32 v6, s28, v6
	s_delay_alu instid0(VALU_DEP_1) | instskip(SKIP_2) | instid1(VALU_DEP_3)
	v_and_b32_e32 v14, s10, v6
	v_bfe_u32 v6, v0, 10, 10
	v_bfe_u32 v0, v0, 20, 10
	v_and_b32_e32 v7, 1, v14
	v_lshlrev_b32_e32 v8, 30, v14
	v_lshlrev_b32_e32 v15, 29, v14
	;; [unrolled: 1-line block ×4, first 2 shown]
	v_add_co_u32 v7, s0, v7, -1
	s_delay_alu instid0(VALU_DEP_1)
	v_cndmask_b32_e64 v17, 0, 1, s0
	v_not_b32_e32 v21, v8
	v_cmp_gt_i32_e64 s0, 0, v8
	v_not_b32_e32 v8, v15
	v_lshlrev_b32_e32 v19, 26, v14
	v_cmp_ne_u32_e32 vcc_lo, 0, v17
	v_ashrrev_i32_e32 v21, 31, v21
	v_lshlrev_b32_e32 v20, 25, v14
	v_ashrrev_i32_e32 v8, 31, v8
	v_lshlrev_b32_e32 v17, 24, v14
	v_xor_b32_e32 v7, vcc_lo, v7
	v_cmp_gt_i32_e32 vcc_lo, 0, v15
	v_not_b32_e32 v15, v16
	v_xor_b32_e32 v21, s0, v21
	v_cmp_gt_i32_e64 s0, 0, v16
	v_and_b32_e32 v7, exec_lo, v7
	v_not_b32_e32 v16, v18
	v_ashrrev_i32_e32 v15, 31, v15
	v_xor_b32_e32 v8, vcc_lo, v8
	v_cmp_gt_i32_e32 vcc_lo, 0, v18
	v_and_b32_e32 v7, v7, v21
	v_not_b32_e32 v18, v19
	v_ashrrev_i32_e32 v16, 31, v16
	v_xor_b32_e32 v15, s0, v15
	v_cmp_gt_i32_e64 s0, 0, v19
	v_and_b32_e32 v7, v7, v8
	v_not_b32_e32 v8, v20
	v_ashrrev_i32_e32 v18, 31, v18
	v_xor_b32_e32 v16, vcc_lo, v16
	v_cmp_gt_i32_e32 vcc_lo, 0, v20
	v_and_b32_e32 v7, v7, v15
	v_not_b32_e32 v15, v17
	v_ashrrev_i32_e32 v8, 31, v8
	v_xor_b32_e32 v18, s0, v18
	v_cmp_gt_i32_e64 s0, 0, v17
	v_and_b32_e32 v7, v7, v16
	v_ashrrev_i32_e32 v15, 31, v15
	v_xor_b32_e32 v8, vcc_lo, v8
	v_mad_u32_u24 v0, v0, s2, v6
	v_mul_u32_u24_e32 v16, 9, v5
	v_and_b32_e32 v7, v7, v18
	v_xor_b32_e32 v6, s0, v15
	s_delay_alu instid0(VALU_DEP_3) | instskip(NEXT) | instid1(VALU_DEP_3)
	v_lshlrev_b32_e32 v15, 2, v16
	v_and_b32_e32 v17, v7, v8
	s_waitcnt vmcnt(3)
	s_delay_alu instid0(VALU_DEP_3)
	v_mad_u64_u32 v[7:8], null, v0, v13, v[5:6]
	ds_store_2addr_b32 v15, v9, v9 offset0:32 offset1:33
	ds_store_2addr_b32 v15, v9, v9 offset0:34 offset1:35
	;; [unrolled: 1-line block ×4, first 2 shown]
	v_and_b32_e32 v6, v17, v6
	ds_store_b32 v15, v9 offset:160
	s_waitcnt vmcnt(0) lgkmcnt(0)
	s_waitcnt_vscnt null, 0x0
	s_barrier
	v_lshrrev_b32_e32 v0, 5, v7
	v_mbcnt_lo_u32_b32 v13, v6, 0
	v_lshl_add_u32 v7, v14, 5, v14
	v_cmp_ne_u32_e64 s0, 0, v6
	buffer_gl0_inv
	v_cmp_eq_u32_e32 vcc_lo, 0, v13
	v_add_lshl_u32 v16, v0, v7, 2
	; wave barrier
	s_and_b32 s1, s0, vcc_lo
	s_delay_alu instid0(SALU_CYCLE_1)
	s_and_saveexec_b32 s0, s1
	s_cbranch_execz .LBB132_69
; %bb.68:
	v_bcnt_u32_b32 v6, v6, 0
	ds_store_b32 v16, v6 offset:128
.LBB132_69:
	s_or_b32 exec_lo, exec_lo, s0
	v_cmp_gt_i32_e32 vcc_lo, 0, v3
	; wave barrier
	v_cndmask_b32_e64 v6, 0x7fffffff, 0, vcc_lo
	s_delay_alu instid0(VALU_DEP_1) | instskip(NEXT) | instid1(VALU_DEP_1)
	v_xor_b32_e32 v14, v6, v3
	v_cmp_ne_u32_e32 vcc_lo, 0x80000000, v14
	v_cndmask_b32_e32 v3, 0x7fffffff, v14, vcc_lo
	s_delay_alu instid0(VALU_DEP_1) | instskip(NEXT) | instid1(VALU_DEP_1)
	v_lshrrev_b32_e32 v3, s28, v3
	v_and_b32_e32 v3, s10, v3
	s_delay_alu instid0(VALU_DEP_1)
	v_and_b32_e32 v6, 1, v3
	v_lshlrev_b32_e32 v7, 30, v3
	v_lshlrev_b32_e32 v8, 29, v3
	;; [unrolled: 1-line block ×4, first 2 shown]
	v_add_co_u32 v6, s0, v6, -1
	s_delay_alu instid0(VALU_DEP_1)
	v_cndmask_b32_e64 v17, 0, 1, s0
	v_not_b32_e32 v21, v7
	v_cmp_gt_i32_e64 s0, 0, v7
	v_not_b32_e32 v7, v8
	v_lshlrev_b32_e32 v19, 26, v3
	v_cmp_ne_u32_e32 vcc_lo, 0, v17
	v_ashrrev_i32_e32 v21, 31, v21
	v_lshlrev_b32_e32 v20, 25, v3
	v_ashrrev_i32_e32 v7, 31, v7
	v_lshlrev_b32_e32 v17, 24, v3
	v_xor_b32_e32 v6, vcc_lo, v6
	v_cmp_gt_i32_e32 vcc_lo, 0, v8
	v_not_b32_e32 v8, v9
	v_xor_b32_e32 v21, s0, v21
	v_cmp_gt_i32_e64 s0, 0, v9
	v_and_b32_e32 v6, exec_lo, v6
	v_not_b32_e32 v9, v18
	v_ashrrev_i32_e32 v8, 31, v8
	v_xor_b32_e32 v7, vcc_lo, v7
	v_cmp_gt_i32_e32 vcc_lo, 0, v18
	v_and_b32_e32 v6, v6, v21
	v_not_b32_e32 v18, v19
	v_ashrrev_i32_e32 v9, 31, v9
	v_xor_b32_e32 v8, s0, v8
	v_cmp_gt_i32_e64 s0, 0, v19
	v_and_b32_e32 v6, v6, v7
	v_not_b32_e32 v7, v20
	v_ashrrev_i32_e32 v18, 31, v18
	v_xor_b32_e32 v9, vcc_lo, v9
	v_cmp_gt_i32_e32 vcc_lo, 0, v20
	v_and_b32_e32 v6, v6, v8
	v_not_b32_e32 v8, v17
	v_ashrrev_i32_e32 v7, 31, v7
	v_xor_b32_e32 v18, s0, v18
	v_lshl_add_u32 v3, v3, 5, v3
	v_and_b32_e32 v6, v6, v9
	v_cmp_gt_i32_e64 s0, 0, v17
	v_ashrrev_i32_e32 v8, 31, v8
	v_xor_b32_e32 v7, vcc_lo, v7
	v_add_lshl_u32 v20, v0, v3, 2
	v_and_b32_e32 v6, v6, v18
	s_delay_alu instid0(VALU_DEP_4) | instskip(SKIP_2) | instid1(VALU_DEP_1)
	v_xor_b32_e32 v3, s0, v8
	ds_load_b32 v17, v20 offset:128
	v_and_b32_e32 v6, v6, v7
	; wave barrier
	v_and_b32_e32 v3, v6, v3
	s_delay_alu instid0(VALU_DEP_1) | instskip(SKIP_1) | instid1(VALU_DEP_2)
	v_mbcnt_lo_u32_b32 v18, v3, 0
	v_cmp_ne_u32_e64 s0, 0, v3
	v_cmp_eq_u32_e32 vcc_lo, 0, v18
	s_delay_alu instid0(VALU_DEP_2) | instskip(NEXT) | instid1(SALU_CYCLE_1)
	s_and_b32 s1, s0, vcc_lo
	s_and_saveexec_b32 s0, s1
	s_cbranch_execz .LBB132_71
; %bb.70:
	s_waitcnt lgkmcnt(0)
	v_bcnt_u32_b32 v3, v3, v17
	ds_store_b32 v20, v3 offset:128
.LBB132_71:
	s_or_b32 exec_lo, exec_lo, s0
	v_cmp_gt_i32_e32 vcc_lo, 0, v2
	; wave barrier
	v_cndmask_b32_e64 v3, 0x7fffffff, 0, vcc_lo
	s_delay_alu instid0(VALU_DEP_1) | instskip(NEXT) | instid1(VALU_DEP_1)
	v_xor_b32_e32 v19, v3, v2
	v_cmp_ne_u32_e32 vcc_lo, 0x80000000, v19
	v_cndmask_b32_e32 v2, 0x7fffffff, v19, vcc_lo
	s_delay_alu instid0(VALU_DEP_1) | instskip(NEXT) | instid1(VALU_DEP_1)
	v_lshrrev_b32_e32 v2, s28, v2
	v_and_b32_e32 v2, s10, v2
	s_delay_alu instid0(VALU_DEP_1)
	v_and_b32_e32 v3, 1, v2
	v_lshlrev_b32_e32 v6, 30, v2
	v_lshlrev_b32_e32 v7, 29, v2
	;; [unrolled: 1-line block ×4, first 2 shown]
	v_add_co_u32 v3, s0, v3, -1
	s_delay_alu instid0(VALU_DEP_1)
	v_cndmask_b32_e64 v9, 0, 1, s0
	v_not_b32_e32 v24, v6
	v_cmp_gt_i32_e64 s0, 0, v6
	v_not_b32_e32 v6, v7
	v_lshlrev_b32_e32 v22, 26, v2
	v_cmp_ne_u32_e32 vcc_lo, 0, v9
	v_ashrrev_i32_e32 v24, 31, v24
	v_lshlrev_b32_e32 v23, 25, v2
	v_ashrrev_i32_e32 v6, 31, v6
	v_lshlrev_b32_e32 v9, 24, v2
	v_xor_b32_e32 v3, vcc_lo, v3
	v_cmp_gt_i32_e32 vcc_lo, 0, v7
	v_not_b32_e32 v7, v8
	v_xor_b32_e32 v24, s0, v24
	v_cmp_gt_i32_e64 s0, 0, v8
	v_and_b32_e32 v3, exec_lo, v3
	v_not_b32_e32 v8, v21
	v_ashrrev_i32_e32 v7, 31, v7
	v_xor_b32_e32 v6, vcc_lo, v6
	v_cmp_gt_i32_e32 vcc_lo, 0, v21
	v_and_b32_e32 v3, v3, v24
	v_not_b32_e32 v21, v22
	v_ashrrev_i32_e32 v8, 31, v8
	v_xor_b32_e32 v7, s0, v7
	v_cmp_gt_i32_e64 s0, 0, v22
	v_and_b32_e32 v3, v3, v6
	v_not_b32_e32 v6, v23
	v_ashrrev_i32_e32 v21, 31, v21
	v_xor_b32_e32 v8, vcc_lo, v8
	v_cmp_gt_i32_e32 vcc_lo, 0, v23
	v_and_b32_e32 v3, v3, v7
	v_not_b32_e32 v7, v9
	v_ashrrev_i32_e32 v6, 31, v6
	v_xor_b32_e32 v21, s0, v21
	v_lshl_add_u32 v2, v2, 5, v2
	v_and_b32_e32 v3, v3, v8
	v_cmp_gt_i32_e64 s0, 0, v9
	v_ashrrev_i32_e32 v7, 31, v7
	v_xor_b32_e32 v6, vcc_lo, v6
	v_add_lshl_u32 v24, v0, v2, 2
	v_and_b32_e32 v3, v3, v21
	s_delay_alu instid0(VALU_DEP_4) | instskip(SKIP_2) | instid1(VALU_DEP_1)
	v_xor_b32_e32 v2, s0, v7
	ds_load_b32 v21, v24 offset:128
	v_and_b32_e32 v3, v3, v6
	; wave barrier
	v_and_b32_e32 v2, v3, v2
	s_delay_alu instid0(VALU_DEP_1) | instskip(SKIP_1) | instid1(VALU_DEP_2)
	v_mbcnt_lo_u32_b32 v22, v2, 0
	v_cmp_ne_u32_e64 s0, 0, v2
	v_cmp_eq_u32_e32 vcc_lo, 0, v22
	s_delay_alu instid0(VALU_DEP_2) | instskip(NEXT) | instid1(SALU_CYCLE_1)
	s_and_b32 s1, s0, vcc_lo
	s_and_saveexec_b32 s0, s1
	s_cbranch_execz .LBB132_73
; %bb.72:
	s_waitcnt lgkmcnt(0)
	v_bcnt_u32_b32 v2, v2, v21
	ds_store_b32 v24, v2 offset:128
.LBB132_73:
	s_or_b32 exec_lo, exec_lo, s0
	v_cmp_gt_i32_e32 vcc_lo, 0, v1
	; wave barrier
	v_add_nc_u32_e32 v28, 0x80, v15
	v_cndmask_b32_e64 v2, 0x7fffffff, 0, vcc_lo
	s_delay_alu instid0(VALU_DEP_1) | instskip(NEXT) | instid1(VALU_DEP_1)
	v_xor_b32_e32 v23, v2, v1
	v_cmp_ne_u32_e32 vcc_lo, 0x80000000, v23
	v_cndmask_b32_e32 v1, 0x7fffffff, v23, vcc_lo
	s_delay_alu instid0(VALU_DEP_1) | instskip(NEXT) | instid1(VALU_DEP_1)
	v_lshrrev_b32_e32 v1, s28, v1
	v_and_b32_e32 v1, s10, v1
	s_delay_alu instid0(VALU_DEP_1)
	v_and_b32_e32 v2, 1, v1
	v_lshlrev_b32_e32 v3, 30, v1
	v_lshlrev_b32_e32 v6, 29, v1
	;; [unrolled: 1-line block ×4, first 2 shown]
	v_add_co_u32 v2, s0, v2, -1
	s_delay_alu instid0(VALU_DEP_1)
	v_cndmask_b32_e64 v8, 0, 1, s0
	v_not_b32_e32 v27, v3
	v_cmp_gt_i32_e64 s0, 0, v3
	v_not_b32_e32 v3, v6
	v_lshlrev_b32_e32 v25, 26, v1
	v_cmp_ne_u32_e32 vcc_lo, 0, v8
	v_ashrrev_i32_e32 v27, 31, v27
	v_lshlrev_b32_e32 v26, 25, v1
	v_ashrrev_i32_e32 v3, 31, v3
	v_lshlrev_b32_e32 v8, 24, v1
	v_xor_b32_e32 v2, vcc_lo, v2
	v_cmp_gt_i32_e32 vcc_lo, 0, v6
	v_not_b32_e32 v6, v7
	v_xor_b32_e32 v27, s0, v27
	v_cmp_gt_i32_e64 s0, 0, v7
	v_and_b32_e32 v2, exec_lo, v2
	v_not_b32_e32 v7, v9
	v_ashrrev_i32_e32 v6, 31, v6
	v_xor_b32_e32 v3, vcc_lo, v3
	v_cmp_gt_i32_e32 vcc_lo, 0, v9
	v_and_b32_e32 v2, v2, v27
	v_not_b32_e32 v9, v25
	v_ashrrev_i32_e32 v7, 31, v7
	v_xor_b32_e32 v6, s0, v6
	v_cmp_gt_i32_e64 s0, 0, v25
	v_and_b32_e32 v2, v2, v3
	v_not_b32_e32 v3, v26
	v_ashrrev_i32_e32 v9, 31, v9
	v_xor_b32_e32 v7, vcc_lo, v7
	v_cmp_gt_i32_e32 vcc_lo, 0, v26
	v_and_b32_e32 v2, v2, v6
	v_not_b32_e32 v6, v8
	v_ashrrev_i32_e32 v3, 31, v3
	v_xor_b32_e32 v9, s0, v9
	v_lshl_add_u32 v1, v1, 5, v1
	v_and_b32_e32 v2, v2, v7
	v_cmp_gt_i32_e64 s0, 0, v8
	v_ashrrev_i32_e32 v6, 31, v6
	v_xor_b32_e32 v3, vcc_lo, v3
	v_add_lshl_u32 v27, v1, v0, 2
	v_and_b32_e32 v2, v2, v9
	s_delay_alu instid0(VALU_DEP_4) | instskip(SKIP_2) | instid1(VALU_DEP_1)
	v_xor_b32_e32 v0, s0, v6
	ds_load_b32 v25, v27 offset:128
	v_and_b32_e32 v1, v2, v3
	; wave barrier
	v_and_b32_e32 v0, v1, v0
	s_delay_alu instid0(VALU_DEP_1) | instskip(SKIP_1) | instid1(VALU_DEP_2)
	v_mbcnt_lo_u32_b32 v26, v0, 0
	v_cmp_ne_u32_e64 s0, 0, v0
	v_cmp_eq_u32_e32 vcc_lo, 0, v26
	s_delay_alu instid0(VALU_DEP_2) | instskip(NEXT) | instid1(SALU_CYCLE_1)
	s_and_b32 s1, s0, vcc_lo
	s_and_saveexec_b32 s0, s1
	s_cbranch_execz .LBB132_75
; %bb.74:
	s_waitcnt lgkmcnt(0)
	v_bcnt_u32_b32 v0, v0, v25
	ds_store_b32 v27, v0 offset:128
.LBB132_75:
	s_or_b32 exec_lo, exec_lo, s0
	; wave barrier
	s_waitcnt lgkmcnt(0)
	s_barrier
	buffer_gl0_inv
	ds_load_2addr_b32 v[8:9], v15 offset0:32 offset1:33
	ds_load_2addr_b32 v[6:7], v28 offset0:2 offset1:3
	;; [unrolled: 1-line block ×4, first 2 shown]
	ds_load_b32 v29, v28 offset:32
	v_and_b32_e32 v32, 16, v12
	v_and_b32_e32 v33, 31, v5
	s_mov_b32 s5, exec_lo
	s_delay_alu instid0(VALU_DEP_2) | instskip(SKIP_3) | instid1(VALU_DEP_1)
	v_cmp_eq_u32_e64 s3, 0, v32
	s_waitcnt lgkmcnt(3)
	v_add3_u32 v30, v9, v8, v6
	s_waitcnt lgkmcnt(2)
	v_add3_u32 v30, v30, v7, v2
	s_waitcnt lgkmcnt(1)
	s_delay_alu instid0(VALU_DEP_1) | instskip(SKIP_1) | instid1(VALU_DEP_1)
	v_add3_u32 v30, v30, v3, v0
	s_waitcnt lgkmcnt(0)
	v_add3_u32 v29, v30, v1, v29
	v_and_b32_e32 v30, 15, v12
	s_delay_alu instid0(VALU_DEP_2) | instskip(NEXT) | instid1(VALU_DEP_2)
	v_mov_b32_dpp v31, v29 row_shr:1 row_mask:0xf bank_mask:0xf
	v_cmp_eq_u32_e32 vcc_lo, 0, v30
	v_cmp_lt_u32_e64 s0, 1, v30
	v_cmp_lt_u32_e64 s1, 3, v30
	;; [unrolled: 1-line block ×3, first 2 shown]
	v_cndmask_b32_e64 v31, v31, 0, vcc_lo
	s_delay_alu instid0(VALU_DEP_1) | instskip(NEXT) | instid1(VALU_DEP_1)
	v_add_nc_u32_e32 v29, v31, v29
	v_mov_b32_dpp v31, v29 row_shr:2 row_mask:0xf bank_mask:0xf
	s_delay_alu instid0(VALU_DEP_1) | instskip(NEXT) | instid1(VALU_DEP_1)
	v_cndmask_b32_e64 v31, 0, v31, s0
	v_add_nc_u32_e32 v29, v29, v31
	s_delay_alu instid0(VALU_DEP_1) | instskip(NEXT) | instid1(VALU_DEP_1)
	v_mov_b32_dpp v31, v29 row_shr:4 row_mask:0xf bank_mask:0xf
	v_cndmask_b32_e64 v31, 0, v31, s1
	s_delay_alu instid0(VALU_DEP_1) | instskip(NEXT) | instid1(VALU_DEP_1)
	v_add_nc_u32_e32 v29, v29, v31
	v_mov_b32_dpp v31, v29 row_shr:8 row_mask:0xf bank_mask:0xf
	s_delay_alu instid0(VALU_DEP_1) | instskip(SKIP_1) | instid1(VALU_DEP_2)
	v_cndmask_b32_e64 v30, 0, v31, s2
	v_bfe_i32 v31, v12, 4, 1
	v_add_nc_u32_e32 v29, v29, v30
	ds_swizzle_b32 v30, v29 offset:swizzle(BROADCAST,32,15)
	s_waitcnt lgkmcnt(0)
	v_and_b32_e32 v31, v31, v30
	v_lshrrev_b32_e32 v30, 5, v5
	s_delay_alu instid0(VALU_DEP_2)
	v_add_nc_u32_e32 v29, v29, v31
	v_cmpx_eq_u32_e32 31, v33
	s_cbranch_execz .LBB132_77
; %bb.76:
	s_delay_alu instid0(VALU_DEP_3)
	v_lshlrev_b32_e32 v31, 2, v30
	ds_store_b32 v31, v29
.LBB132_77:
	s_or_b32 exec_lo, exec_lo, s5
	v_cmp_lt_u32_e64 s4, 31, v5
	s_mov_b32 s11, exec_lo
	s_waitcnt lgkmcnt(0)
	s_barrier
	buffer_gl0_inv
	v_cmpx_gt_u32_e32 32, v5
	s_cbranch_execz .LBB132_79
; %bb.78:
	ds_load_b32 v31, v4
	s_waitcnt lgkmcnt(0)
	v_mov_b32_dpp v32, v31 row_shr:1 row_mask:0xf bank_mask:0xf
	s_delay_alu instid0(VALU_DEP_1) | instskip(NEXT) | instid1(VALU_DEP_1)
	v_cndmask_b32_e64 v32, v32, 0, vcc_lo
	v_add_nc_u32_e32 v31, v32, v31
	s_delay_alu instid0(VALU_DEP_1) | instskip(NEXT) | instid1(VALU_DEP_1)
	v_mov_b32_dpp v32, v31 row_shr:2 row_mask:0xf bank_mask:0xf
	v_cndmask_b32_e64 v32, 0, v32, s0
	s_delay_alu instid0(VALU_DEP_1) | instskip(NEXT) | instid1(VALU_DEP_1)
	v_add_nc_u32_e32 v31, v31, v32
	v_mov_b32_dpp v32, v31 row_shr:4 row_mask:0xf bank_mask:0xf
	s_delay_alu instid0(VALU_DEP_1) | instskip(NEXT) | instid1(VALU_DEP_1)
	v_cndmask_b32_e64 v32, 0, v32, s1
	v_add_nc_u32_e32 v31, v31, v32
	s_delay_alu instid0(VALU_DEP_1) | instskip(NEXT) | instid1(VALU_DEP_1)
	v_mov_b32_dpp v32, v31 row_shr:8 row_mask:0xf bank_mask:0xf
	v_cndmask_b32_e64 v32, 0, v32, s2
	s_delay_alu instid0(VALU_DEP_1) | instskip(SKIP_3) | instid1(VALU_DEP_1)
	v_add_nc_u32_e32 v31, v31, v32
	ds_swizzle_b32 v32, v31 offset:swizzle(BROADCAST,32,15)
	s_waitcnt lgkmcnt(0)
	v_cndmask_b32_e64 v32, v32, 0, s3
	v_add_nc_u32_e32 v31, v31, v32
	ds_store_b32 v4, v31
.LBB132_79:
	s_or_b32 exec_lo, exec_lo, s11
	v_mov_b32_e32 v31, 0
	s_waitcnt lgkmcnt(0)
	s_barrier
	buffer_gl0_inv
	s_and_saveexec_b32 s0, s4
	s_cbranch_execz .LBB132_81
; %bb.80:
	v_lshl_add_u32 v30, v30, 2, -4
	ds_load_b32 v31, v30
.LBB132_81:
	s_or_b32 exec_lo, exec_lo, s0
	v_add_nc_u32_e32 v30, -1, v12
	v_cmp_lt_u32_e64 s0, 0xff, v5
	s_waitcnt lgkmcnt(0)
	v_add_nc_u32_e32 v29, v31, v29
	s_delay_alu instid0(VALU_DEP_3) | instskip(SKIP_2) | instid1(VALU_DEP_2)
	v_cmp_gt_i32_e32 vcc_lo, 0, v30
	v_cndmask_b32_e32 v30, v30, v12, vcc_lo
	v_cmp_eq_u32_e32 vcc_lo, 0, v12
	v_lshlrev_b32_e32 v30, 2, v30
	ds_bpermute_b32 v29, v30, v29
	s_waitcnt lgkmcnt(0)
	v_cndmask_b32_e32 v29, v29, v31, vcc_lo
	v_cmp_ne_u32_e32 vcc_lo, 0, v5
	s_delay_alu instid0(VALU_DEP_2) | instskip(SKIP_1) | instid1(VALU_DEP_2)
	v_cndmask_b32_e32 v29, 0, v29, vcc_lo
	v_cmp_gt_u32_e32 vcc_lo, 0x100, v5
	v_add_nc_u32_e32 v8, v29, v8
	s_delay_alu instid0(VALU_DEP_1) | instskip(NEXT) | instid1(VALU_DEP_1)
	v_add_nc_u32_e32 v9, v8, v9
	v_add_nc_u32_e32 v6, v9, v6
	s_delay_alu instid0(VALU_DEP_1) | instskip(NEXT) | instid1(VALU_DEP_1)
	v_add_nc_u32_e32 v7, v6, v7
	;; [unrolled: 3-line block ×3, first 2 shown]
	v_add_nc_u32_e32 v0, v3, v0
	s_delay_alu instid0(VALU_DEP_1)
	v_add_nc_u32_e32 v1, v0, v1
	ds_store_2addr_b32 v15, v29, v8 offset0:32 offset1:33
	ds_store_2addr_b32 v28, v9, v6 offset0:2 offset1:3
	;; [unrolled: 1-line block ×4, first 2 shown]
	ds_store_b32 v28, v1 offset:32
	v_mov_b32_e32 v0, 0
	s_waitcnt lgkmcnt(0)
	s_barrier
	buffer_gl0_inv
	ds_load_b32 v2, v16 offset:128
	ds_load_b32 v3, v20 offset:128
	;; [unrolled: 1-line block ×4, first 2 shown]
	v_mov_b32_e32 v1, 0
                                        ; implicit-def: $vgpr15
	s_and_saveexec_b32 s2, vcc_lo
	s_cbranch_execz .LBB132_85
; %bb.82:
	v_mul_u32_u24_e32 v0, 33, v5
	s_mov_b32 s3, exec_lo
	s_delay_alu instid0(VALU_DEP_1)
	v_dual_mov_b32 v1, 0x1000 :: v_dual_lshlrev_b32 v8, 2, v0
	ds_load_b32 v0, v8 offset:128
	v_cmpx_ne_u32_e32 0xff, v5
	s_cbranch_execz .LBB132_84
; %bb.83:
	ds_load_b32 v1, v8 offset:260
.LBB132_84:
	s_or_b32 exec_lo, exec_lo, s3
	s_waitcnt lgkmcnt(0)
	v_sub_nc_u32_e32 v15, v1, v0
	v_mov_b32_e32 v1, 0
.LBB132_85:
	s_or_b32 exec_lo, exec_lo, s2
	s_waitcnt lgkmcnt(3)
	v_add_nc_u32_e32 v20, v2, v13
	s_waitcnt lgkmcnt(1)
	v_add3_u32 v16, v22, v21, v6
	v_add3_u32 v17, v18, v17, v3
	s_waitcnt lgkmcnt(0)
	v_add3_u32 v13, v26, v25, v7
	v_lshlrev_b32_e32 v2, 2, v20
	v_lshlrev_b32_e32 v6, 2, v16
	;; [unrolled: 1-line block ×3, first 2 shown]
	s_delay_alu instid0(VALU_DEP_4)
	v_lshlrev_b32_e32 v7, 2, v13
	s_barrier
	buffer_gl0_inv
	ds_store_b32 v2, v11 offset:2048
	ds_store_b32 v3, v14 offset:2048
	ds_store_b32 v6, v19 offset:2048
	ds_store_b32 v7, v23 offset:2048
	s_waitcnt lgkmcnt(0)
	s_barrier
	buffer_gl0_inv
	s_and_saveexec_b32 s1, s0
	s_delay_alu instid0(SALU_CYCLE_1)
	s_xor_b32 s0, exec_lo, s1
; %bb.86:
	v_mov_b32_e32 v6, 0
; %bb.87:
	s_and_not1_saveexec_b32 s1, s0
	s_cbranch_execz .LBB132_97
; %bb.88:
	v_lshl_or_b32 v6, s15, 8, v5
	v_mov_b32_e32 v7, 0
	v_mov_b32_e32 v11, 0
	s_mov_b32 s2, 0
	s_mov_b32 s3, s15
	s_delay_alu instid0(VALU_DEP_2) | instskip(SKIP_1) | instid1(VALU_DEP_2)
	v_lshlrev_b64 v[2:3], 2, v[6:7]
	v_or_b32_e32 v6, 2.0, v15
	v_add_co_u32 v2, s0, s12, v2
	s_delay_alu instid0(VALU_DEP_1)
	v_add_co_ci_u32_e64 v3, s0, s13, v3, s0
                                        ; implicit-def: $sgpr0
	global_store_b32 v[2:3], v6, off
	s_branch .LBB132_91
	.p2align	6
.LBB132_89:                             ;   in Loop: Header=BB132_91 Depth=1
	s_or_b32 exec_lo, exec_lo, s5
.LBB132_90:                             ;   in Loop: Header=BB132_91 Depth=1
	s_delay_alu instid0(SALU_CYCLE_1) | instskip(SKIP_2) | instid1(VALU_DEP_2)
	s_or_b32 exec_lo, exec_lo, s4
	v_and_b32_e32 v8, 0x3fffffff, v14
	v_cmp_eq_u32_e64 s0, 0x80000000, v6
	v_add_nc_u32_e32 v11, v8, v11
	s_delay_alu instid0(VALU_DEP_2) | instskip(NEXT) | instid1(SALU_CYCLE_1)
	s_and_b32 s4, exec_lo, s0
	s_or_b32 s2, s4, s2
	s_delay_alu instid0(SALU_CYCLE_1)
	s_and_not1_b32 exec_lo, exec_lo, s2
	s_cbranch_execz .LBB132_96
.LBB132_91:                             ; =>This Loop Header: Depth=1
                                        ;     Child Loop BB132_94 Depth 2
	s_or_b32 s0, s0, exec_lo
	s_cmp_eq_u32 s3, 0
	s_cbranch_scc1 .LBB132_95
; %bb.92:                               ;   in Loop: Header=BB132_91 Depth=1
	s_add_i32 s3, s3, -1
	s_mov_b32 s4, exec_lo
	v_lshl_or_b32 v6, s3, 8, v5
	s_delay_alu instid0(VALU_DEP_1) | instskip(NEXT) | instid1(VALU_DEP_1)
	v_lshlrev_b64 v[8:9], 2, v[6:7]
	v_add_co_u32 v8, s0, s12, v8
	s_delay_alu instid0(VALU_DEP_1) | instskip(SKIP_3) | instid1(VALU_DEP_1)
	v_add_co_ci_u32_e64 v9, s0, s13, v9, s0
	global_load_b32 v14, v[8:9], off glc
	s_waitcnt vmcnt(0)
	v_and_b32_e32 v6, -2.0, v14
	v_cmpx_eq_u32_e32 0, v6
	s_cbranch_execz .LBB132_90
; %bb.93:                               ;   in Loop: Header=BB132_91 Depth=1
	s_mov_b32 s5, 0
.LBB132_94:                             ;   Parent Loop BB132_91 Depth=1
                                        ; =>  This Inner Loop Header: Depth=2
	global_load_b32 v14, v[8:9], off glc
	s_waitcnt vmcnt(0)
	v_and_b32_e32 v6, -2.0, v14
	s_delay_alu instid0(VALU_DEP_1) | instskip(NEXT) | instid1(VALU_DEP_1)
	v_cmp_ne_u32_e64 s0, 0, v6
	s_or_b32 s5, s0, s5
	s_delay_alu instid0(SALU_CYCLE_1)
	s_and_not1_b32 exec_lo, exec_lo, s5
	s_cbranch_execnz .LBB132_94
	s_branch .LBB132_89
.LBB132_95:                             ;   in Loop: Header=BB132_91 Depth=1
                                        ; implicit-def: $sgpr3
	s_and_b32 s4, exec_lo, s0
	s_delay_alu instid0(SALU_CYCLE_1) | instskip(NEXT) | instid1(SALU_CYCLE_1)
	s_or_b32 s2, s4, s2
	s_and_not1_b32 exec_lo, exec_lo, s2
	s_cbranch_execnz .LBB132_91
.LBB132_96:
	s_or_b32 exec_lo, exec_lo, s2
	v_add_nc_u32_e32 v6, v11, v15
	v_lshlrev_b32_e32 v7, 3, v5
	s_delay_alu instid0(VALU_DEP_2) | instskip(SKIP_3) | instid1(VALU_DEP_1)
	v_or_b32_e32 v6, 0x80000000, v6
	global_store_b32 v[2:3], v6, off
	global_load_b64 v[2:3], v7, s[24:25]
	v_sub_co_u32 v6, s0, v11, v0
	v_sub_co_ci_u32_e64 v8, s0, 0, v1, s0
	s_waitcnt vmcnt(0)
	s_delay_alu instid0(VALU_DEP_2) | instskip(SKIP_1) | instid1(VALU_DEP_3)
	v_add_co_u32 v2, s0, v6, v2
	v_mov_b32_e32 v6, 0
	v_add_co_ci_u32_e64 v3, s0, v8, v3, s0
	ds_store_b64 v7, v[2:3]
.LBB132_97:
	s_or_b32 exec_lo, exec_lo, s1
	v_lshlrev_b32_e32 v2, 3, v12
	s_lshl_b64 s[0:1], s[6:7], 3
	v_lshlrev_b32_e32 v3, 3, v10
	s_add_u32 s0, s20, s0
	s_addc_u32 s1, s21, s1
	v_add_co_u32 v2, s0, s0, v2
	s_delay_alu instid0(VALU_DEP_1) | instskip(SKIP_2) | instid1(VALU_DEP_2)
	v_add_co_ci_u32_e64 v7, null, s1, 0, s0
	s_waitcnt lgkmcnt(0)
	s_waitcnt_vscnt null, 0x0
	v_add_co_u32 v2, s0, v2, v3
	s_delay_alu instid0(VALU_DEP_1)
	v_add_co_ci_u32_e64 v3, s0, 0, v7, s0
	s_barrier
	buffer_gl0_inv
	v_lshlrev_b32_e32 v27, 2, v5
	s_clause 0x3
	global_load_b64 v[7:8], v[2:3], off
	global_load_b64 v[9:10], v[2:3], off offset:256
	global_load_b64 v[11:12], v[2:3], off offset:512
	;; [unrolled: 1-line block ×3, first 2 shown]
	ds_load_2addr_stride64_b32 v[18:19], v4 offset0:24 offset1:40
	v_lshlrev_b32_e32 v34, 3, v17
	v_lshlrev_b32_e32 v33, 3, v20
	ds_load_b32 v28, v27 offset:2048
	v_lshlrev_b32_e32 v35, 3, v16
	v_or_b32_e32 v30, 0x400, v5
	v_lshlrev_b64 v[23:24], 2, v[5:6]
	v_or_b32_e32 v31, 0x800, v5
	v_or_b32_e32 v32, 0xc00, v5
	v_lshlrev_b32_e32 v13, 3, v13
	v_lshlrev_b32_e32 v36, 2, v30
	s_add_i32 s9, s9, -1
	v_lshlrev_b32_e32 v37, 2, v31
	v_lshlrev_b32_e32 v38, 2, v32
	s_cmp_eq_u32 s15, s9
	s_cselect_b32 s1, -1, 0
	s_delay_alu instid0(SALU_CYCLE_1) | instskip(SKIP_2) | instid1(VALU_DEP_1)
	s_and_b32 s1, vcc_lo, s1
	s_waitcnt lgkmcnt(1)
	v_cmp_ne_u32_e64 s0, 0x80000000, v18
	v_cndmask_b32_e64 v14, 0x7fffffff, v18, s0
	s_waitcnt lgkmcnt(0)
	v_cmp_ne_u32_e64 s0, 0x80000000, v28
	s_delay_alu instid0(VALU_DEP_2) | instskip(NEXT) | instid1(VALU_DEP_2)
	v_lshrrev_b32_e32 v14, s28, v14
	v_cndmask_b32_e64 v25, 0x7fffffff, v28, s0
	v_cmp_ne_u32_e64 s0, 0x80000000, v19
	s_delay_alu instid0(VALU_DEP_3) | instskip(NEXT) | instid1(VALU_DEP_3)
	v_and_b32_e32 v14, s10, v14
	v_lshrrev_b32_e32 v20, s28, v25
	s_delay_alu instid0(VALU_DEP_3) | instskip(NEXT) | instid1(VALU_DEP_3)
	v_cndmask_b32_e64 v17, 0x7fffffff, v19, s0
	v_lshlrev_b32_e32 v14, 3, v14
	ds_load_b64 v[21:22], v14
	ds_load_b32 v29, v4 offset:14336
	v_lshrrev_b32_e32 v16, s28, v17
	v_and_b32_e32 v17, s10, v20
	v_add3_u32 v4, 0x800, v4, v4
	s_delay_alu instid0(VALU_DEP_3) | instskip(NEXT) | instid1(VALU_DEP_3)
	v_and_b32_e32 v16, s10, v16
	v_lshlrev_b32_e32 v39, 3, v17
	s_delay_alu instid0(VALU_DEP_2) | instskip(SKIP_3) | instid1(VALU_DEP_1)
	v_lshlrev_b32_e32 v40, 3, v16
	ds_load_b64 v[16:17], v39
	s_waitcnt lgkmcnt(1)
	v_cmp_ne_u32_e64 s0, 0x80000000, v29
	v_cndmask_b32_e64 v20, 0x7fffffff, v29, s0
	v_cmp_gt_i32_e64 s0, 0, v18
	s_delay_alu instid0(VALU_DEP_2) | instskip(NEXT) | instid1(VALU_DEP_2)
	v_lshrrev_b32_e32 v20, s28, v20
	v_cndmask_b32_e64 v25, 0x7fffffff, 0, s0
	v_cmp_gt_i32_e64 s0, 0, v19
	s_delay_alu instid0(VALU_DEP_3) | instskip(NEXT) | instid1(VALU_DEP_3)
	v_and_b32_e32 v20, s10, v20
	v_xor_b32_e32 v42, v25, v18
	ds_load_b64 v[25:26], v40
	v_cndmask_b32_e64 v41, 0x7fffffff, 0, s0
	v_cmp_gt_i32_e64 s0, 0, v28
	v_lshlrev_b32_e32 v43, 3, v20
	v_lshlrev_b64 v[20:21], 2, v[21:22]
	s_delay_alu instid0(VALU_DEP_4) | instskip(NEXT) | instid1(VALU_DEP_4)
	v_xor_b32_e32 v41, v41, v19
	v_cndmask_b32_e64 v18, 0x7fffffff, 0, s0
	v_cmp_gt_i32_e64 s0, 0, v29
	s_delay_alu instid0(VALU_DEP_2) | instskip(SKIP_3) | instid1(VALU_DEP_1)
	v_xor_b32_e32 v28, v18, v28
	ds_load_b64 v[18:19], v43
	v_cndmask_b32_e64 v44, 0x7fffffff, 0, s0
	v_add_co_u32 v20, s0, s18, v20
	v_add_co_ci_u32_e64 v21, s0, s19, v21, s0
	s_waitcnt lgkmcnt(2)
	v_lshlrev_b64 v[16:17], 2, v[16:17]
	s_delay_alu instid0(VALU_DEP_3) | instskip(SKIP_3) | instid1(VALU_DEP_4)
	v_add_co_u32 v20, s0, v20, v36
	s_waitcnt lgkmcnt(1)
	v_lshlrev_b64 v[25:26], 2, v[25:26]
	v_add_co_ci_u32_e64 v21, s0, 0, v21, s0
	v_add_co_u32 v22, s0, s18, v16
	s_delay_alu instid0(VALU_DEP_1) | instskip(NEXT) | instid1(VALU_DEP_4)
	v_add_co_ci_u32_e64 v36, s0, s19, v17, s0
	v_add_co_u32 v25, s0, s18, v25
	s_delay_alu instid0(VALU_DEP_1) | instskip(SKIP_3) | instid1(VALU_DEP_1)
	v_add_co_ci_u32_e64 v26, s0, s19, v26, s0
	s_waitcnt lgkmcnt(0)
	v_lshlrev_b64 v[16:17], 2, v[18:19]
	v_add_co_u32 v18, s0, v22, v23
	v_add_co_ci_u32_e64 v19, s0, v36, v24, s0
	v_xor_b32_e32 v29, v44, v29
	s_delay_alu instid0(VALU_DEP_4) | instskip(NEXT) | instid1(VALU_DEP_1)
	v_add_co_u32 v22, s0, s18, v16
	v_add_co_ci_u32_e64 v23, s0, s19, v17, s0
	v_add_co_u32 v16, s0, v25, v37
	s_delay_alu instid0(VALU_DEP_1) | instskip(NEXT) | instid1(VALU_DEP_4)
	v_add_co_ci_u32_e64 v17, s0, 0, v26, s0
	v_add_co_u32 v22, s0, v22, v38
	s_delay_alu instid0(VALU_DEP_1)
	v_add_co_ci_u32_e64 v23, s0, 0, v23, s0
	s_clause 0x3
	global_store_b32 v[18:19], v28, off
	global_store_b32 v[20:21], v42, off
	;; [unrolled: 1-line block ×4, first 2 shown]
	s_waitcnt vmcnt(0)
	s_waitcnt_vscnt null, 0x0
	s_barrier
	buffer_gl0_inv
	v_add_nc_u32_e32 v20, v27, v27
	v_lshlrev_b64 v[18:19], 3, v[5:6]
	v_lshlrev_b32_e32 v24, 3, v30
	v_lshlrev_b32_e32 v25, 3, v31
	;; [unrolled: 1-line block ×3, first 2 shown]
	ds_store_b64 v33, v[7:8] offset:2048
	ds_store_b64 v34, v[9:10] offset:2048
	;; [unrolled: 1-line block ×4, first 2 shown]
	s_waitcnt lgkmcnt(0)
	s_barrier
	buffer_gl0_inv
	ds_load_b64 v[2:3], v39
	ds_load_b64 v[11:12], v14
	;; [unrolled: 1-line block ×4, first 2 shown]
	ds_load_2addr_stride64_b64 v[7:10], v4 offset0:16 offset1:32
	ds_load_b64 v[20:21], v20 offset:2048
	ds_load_b64 v[22:23], v4 offset:24576
	s_waitcnt lgkmcnt(6)
	v_lshlrev_b64 v[2:3], 3, v[2:3]
	s_waitcnt lgkmcnt(5)
	v_lshlrev_b64 v[11:12], 3, v[11:12]
	;; [unrolled: 2-line block ×4, first 2 shown]
	v_add_co_u32 v2, s0, s22, v2
	s_delay_alu instid0(VALU_DEP_1) | instskip(SKIP_1) | instid1(VALU_DEP_1)
	v_add_co_ci_u32_e64 v3, s0, s23, v3, s0
	v_add_co_u32 v4, s0, s22, v11
	v_add_co_ci_u32_e64 v12, s0, s23, v12, s0
	v_add_co_u32 v13, s0, s22, v13
	s_delay_alu instid0(VALU_DEP_1) | instskip(SKIP_1) | instid1(VALU_DEP_1)
	v_add_co_ci_u32_e64 v14, s0, s23, v14, s0
	v_add_co_u32 v16, s0, s22, v16
	v_add_co_ci_u32_e64 v17, s0, s23, v17, s0
	;; [unrolled: 5-line block ×4, first 2 shown]
	s_waitcnt lgkmcnt(1)
	s_clause 0x2
	global_store_b64 v[2:3], v[20:21], off
	global_store_b64 v[11:12], v[7:8], off
	;; [unrolled: 1-line block ×3, first 2 shown]
	s_waitcnt lgkmcnt(0)
	global_store_b64 v[16:17], v[22:23], off
                                        ; implicit-def: $vgpr2_vgpr3
	s_and_saveexec_b32 s0, s1
; %bb.98:
	v_add_co_u32 v2, vcc_lo, v0, v15
	v_add_co_ci_u32_e32 v3, vcc_lo, 0, v1, vcc_lo
	s_or_b32 s8, s8, exec_lo
; %bb.99:
	s_or_b32 exec_lo, exec_lo, s0
.LBB132_100:
	s_and_saveexec_b32 s0, s8
	s_cbranch_execnz .LBB132_102
; %bb.101:
	s_nop 0
	s_sendmsg sendmsg(MSG_DEALLOC_VGPRS)
	s_endpgm
.LBB132_102:
	v_lshlrev_b32_e32 v0, 3, v5
	v_lshlrev_b64 v[4:5], 3, v[5:6]
	ds_load_b64 v[0:1], v0
	v_add_co_u32 v4, vcc_lo, s26, v4
	v_add_co_ci_u32_e32 v5, vcc_lo, s27, v5, vcc_lo
	s_waitcnt lgkmcnt(0)
	v_add_co_u32 v0, vcc_lo, v0, v2
	v_add_co_ci_u32_e32 v1, vcc_lo, v1, v3, vcc_lo
	global_store_b64 v[4:5], v[0:1], off
	s_nop 0
	s_sendmsg sendmsg(MSG_DEALLOC_VGPRS)
	s_endpgm
.LBB132_103:
	global_load_b64 v[1:2], v[10:11], off
	s_or_b32 exec_lo, exec_lo, s10
                                        ; implicit-def: $vgpr3_vgpr4
	s_and_saveexec_b32 s10, s2
	s_cbranch_execz .LBB132_47
.LBB132_104:
	global_load_b64 v[3:4], v[10:11], off offset:256
	s_or_b32 exec_lo, exec_lo, s10
                                        ; implicit-def: $vgpr6_vgpr7
	s_and_saveexec_b32 s2, s3
	s_cbranch_execz .LBB132_48
.LBB132_105:
	global_load_b64 v[6:7], v[10:11], off offset:512
	s_or_b32 exec_lo, exec_lo, s2
                                        ; implicit-def: $vgpr8_vgpr9
	s_and_saveexec_b32 s2, s4
	s_cbranch_execnz .LBB132_49
	s_branch .LBB132_50
.LBB132_106:
	v_lshlrev_b32_e32 v2, 3, v24
	ds_load_b64 v[2:3], v2
	ds_load_b64 v[6:7], v1 offset:2048
	s_waitcnt lgkmcnt(1)
	v_lshlrev_b64 v[2:3], 3, v[2:3]
	s_delay_alu instid0(VALU_DEP_1) | instskip(NEXT) | instid1(VALU_DEP_2)
	v_add_co_u32 v2, vcc_lo, s22, v2
	v_add_co_ci_u32_e32 v3, vcc_lo, s23, v3, vcc_lo
	s_delay_alu instid0(VALU_DEP_2) | instskip(NEXT) | instid1(VALU_DEP_2)
	v_add_co_u32 v2, vcc_lo, v2, v1
	v_add_co_ci_u32_e32 v3, vcc_lo, 0, v3, vcc_lo
	s_waitcnt lgkmcnt(0)
	global_store_b64 v[2:3], v[6:7], off
	s_or_b32 exec_lo, exec_lo, s2
	s_and_saveexec_b32 s2, s7
	s_cbranch_execz .LBB132_60
.LBB132_107:
	v_lshlrev_b32_e32 v2, 3, v11
	v_lshlrev_b32_e32 v4, 3, v17
	ds_load_b64 v[2:3], v2
	ds_load_b64 v[6:7], v1 offset:10240
	s_waitcnt lgkmcnt(1)
	v_lshlrev_b64 v[2:3], 3, v[2:3]
	s_delay_alu instid0(VALU_DEP_1) | instskip(NEXT) | instid1(VALU_DEP_2)
	v_add_co_u32 v2, vcc_lo, s22, v2
	v_add_co_ci_u32_e32 v3, vcc_lo, s23, v3, vcc_lo
	s_delay_alu instid0(VALU_DEP_2) | instskip(NEXT) | instid1(VALU_DEP_2)
	v_add_co_u32 v2, vcc_lo, v2, v4
	v_add_co_ci_u32_e32 v3, vcc_lo, 0, v3, vcc_lo
	s_waitcnt lgkmcnt(0)
	global_store_b64 v[2:3], v[6:7], off
	s_or_b32 exec_lo, exec_lo, s2
	s_and_saveexec_b32 s2, s8
	s_cbranch_execz .LBB132_61
.LBB132_108:
	v_lshlrev_b32_e32 v2, 3, v23
	v_lshlrev_b32_e32 v4, 3, v20
	ds_load_b64 v[2:3], v2
	ds_load_b64 v[6:7], v1 offset:18432
	s_waitcnt lgkmcnt(1)
	v_lshlrev_b64 v[2:3], 3, v[2:3]
	s_delay_alu instid0(VALU_DEP_1) | instskip(NEXT) | instid1(VALU_DEP_2)
	v_add_co_u32 v2, vcc_lo, s22, v2
	v_add_co_ci_u32_e32 v3, vcc_lo, s23, v3, vcc_lo
	s_delay_alu instid0(VALU_DEP_2) | instskip(NEXT) | instid1(VALU_DEP_2)
	v_add_co_u32 v2, vcc_lo, v2, v4
	v_add_co_ci_u32_e32 v3, vcc_lo, 0, v3, vcc_lo
	s_waitcnt lgkmcnt(0)
	global_store_b64 v[2:3], v[6:7], off
	s_or_b32 exec_lo, exec_lo, s2
	s_and_saveexec_b32 s2, s9
	s_cbranch_execnz .LBB132_62
	s_branch .LBB132_63
	.section	.rodata,"a",@progbits
	.p2align	6, 0x0
	.amdhsa_kernel _ZN7rocprim17ROCPRIM_304000_NS6detail25onesweep_iteration_kernelINS1_34wrapped_radix_sort_onesweep_configINS0_14default_configEfN2at4cuda3cub6detail10OpaqueTypeILi8EEEEELb1EPfSC_PSA_SD_mNS0_19identity_decomposerEEEvT1_T2_T3_T4_jPT5_SK_PNS1_23onesweep_lookback_stateET6_jjj
		.amdhsa_group_segment_fixed_size 36992
		.amdhsa_private_segment_fixed_size 0
		.amdhsa_kernarg_size 336
		.amdhsa_user_sgpr_count 15
		.amdhsa_user_sgpr_dispatch_ptr 0
		.amdhsa_user_sgpr_queue_ptr 0
		.amdhsa_user_sgpr_kernarg_segment_ptr 1
		.amdhsa_user_sgpr_dispatch_id 0
		.amdhsa_user_sgpr_private_segment_size 0
		.amdhsa_wavefront_size32 1
		.amdhsa_uses_dynamic_stack 0
		.amdhsa_enable_private_segment 0
		.amdhsa_system_sgpr_workgroup_id_x 1
		.amdhsa_system_sgpr_workgroup_id_y 0
		.amdhsa_system_sgpr_workgroup_id_z 0
		.amdhsa_system_sgpr_workgroup_info 0
		.amdhsa_system_vgpr_workitem_id 2
		.amdhsa_next_free_vgpr 45
		.amdhsa_next_free_sgpr 36
		.amdhsa_reserve_vcc 1
		.amdhsa_float_round_mode_32 0
		.amdhsa_float_round_mode_16_64 0
		.amdhsa_float_denorm_mode_32 3
		.amdhsa_float_denorm_mode_16_64 3
		.amdhsa_dx10_clamp 1
		.amdhsa_ieee_mode 1
		.amdhsa_fp16_overflow 0
		.amdhsa_workgroup_processor_mode 1
		.amdhsa_memory_ordered 1
		.amdhsa_forward_progress 0
		.amdhsa_shared_vgpr_count 0
		.amdhsa_exception_fp_ieee_invalid_op 0
		.amdhsa_exception_fp_denorm_src 0
		.amdhsa_exception_fp_ieee_div_zero 0
		.amdhsa_exception_fp_ieee_overflow 0
		.amdhsa_exception_fp_ieee_underflow 0
		.amdhsa_exception_fp_ieee_inexact 0
		.amdhsa_exception_int_div_zero 0
	.end_amdhsa_kernel
	.section	.text._ZN7rocprim17ROCPRIM_304000_NS6detail25onesweep_iteration_kernelINS1_34wrapped_radix_sort_onesweep_configINS0_14default_configEfN2at4cuda3cub6detail10OpaqueTypeILi8EEEEELb1EPfSC_PSA_SD_mNS0_19identity_decomposerEEEvT1_T2_T3_T4_jPT5_SK_PNS1_23onesweep_lookback_stateET6_jjj,"axG",@progbits,_ZN7rocprim17ROCPRIM_304000_NS6detail25onesweep_iteration_kernelINS1_34wrapped_radix_sort_onesweep_configINS0_14default_configEfN2at4cuda3cub6detail10OpaqueTypeILi8EEEEELb1EPfSC_PSA_SD_mNS0_19identity_decomposerEEEvT1_T2_T3_T4_jPT5_SK_PNS1_23onesweep_lookback_stateET6_jjj,comdat
.Lfunc_end132:
	.size	_ZN7rocprim17ROCPRIM_304000_NS6detail25onesweep_iteration_kernelINS1_34wrapped_radix_sort_onesweep_configINS0_14default_configEfN2at4cuda3cub6detail10OpaqueTypeILi8EEEEELb1EPfSC_PSA_SD_mNS0_19identity_decomposerEEEvT1_T2_T3_T4_jPT5_SK_PNS1_23onesweep_lookback_stateET6_jjj, .Lfunc_end132-_ZN7rocprim17ROCPRIM_304000_NS6detail25onesweep_iteration_kernelINS1_34wrapped_radix_sort_onesweep_configINS0_14default_configEfN2at4cuda3cub6detail10OpaqueTypeILi8EEEEELb1EPfSC_PSA_SD_mNS0_19identity_decomposerEEEvT1_T2_T3_T4_jPT5_SK_PNS1_23onesweep_lookback_stateET6_jjj
                                        ; -- End function
	.section	.AMDGPU.csdata,"",@progbits
; Kernel info:
; codeLenInByte = 9752
; NumSgprs: 38
; NumVgprs: 45
; ScratchSize: 0
; MemoryBound: 0
; FloatMode: 240
; IeeeMode: 1
; LDSByteSize: 36992 bytes/workgroup (compile time only)
; SGPRBlocks: 4
; VGPRBlocks: 5
; NumSGPRsForWavesPerEU: 38
; NumVGPRsForWavesPerEU: 45
; Occupancy: 16
; WaveLimiterHint : 1
; COMPUTE_PGM_RSRC2:SCRATCH_EN: 0
; COMPUTE_PGM_RSRC2:USER_SGPR: 15
; COMPUTE_PGM_RSRC2:TRAP_HANDLER: 0
; COMPUTE_PGM_RSRC2:TGID_X_EN: 1
; COMPUTE_PGM_RSRC2:TGID_Y_EN: 0
; COMPUTE_PGM_RSRC2:TGID_Z_EN: 0
; COMPUTE_PGM_RSRC2:TIDIG_COMP_CNT: 2
	.section	.text._ZN7rocprim17ROCPRIM_304000_NS6detail28radix_sort_block_sort_kernelINS1_36wrapped_radix_sort_block_sort_configINS0_13kernel_configILj256ELj4ELj4294967295EEEfN2at4cuda3cub6detail10OpaqueTypeILi8EEEEELb0EPKfPfPKSB_PSB_NS0_19identity_decomposerEEEvT1_T2_T3_T4_jT5_jj,"axG",@progbits,_ZN7rocprim17ROCPRIM_304000_NS6detail28radix_sort_block_sort_kernelINS1_36wrapped_radix_sort_block_sort_configINS0_13kernel_configILj256ELj4ELj4294967295EEEfN2at4cuda3cub6detail10OpaqueTypeILi8EEEEELb0EPKfPfPKSB_PSB_NS0_19identity_decomposerEEEvT1_T2_T3_T4_jT5_jj,comdat
	.protected	_ZN7rocprim17ROCPRIM_304000_NS6detail28radix_sort_block_sort_kernelINS1_36wrapped_radix_sort_block_sort_configINS0_13kernel_configILj256ELj4ELj4294967295EEEfN2at4cuda3cub6detail10OpaqueTypeILi8EEEEELb0EPKfPfPKSB_PSB_NS0_19identity_decomposerEEEvT1_T2_T3_T4_jT5_jj ; -- Begin function _ZN7rocprim17ROCPRIM_304000_NS6detail28radix_sort_block_sort_kernelINS1_36wrapped_radix_sort_block_sort_configINS0_13kernel_configILj256ELj4ELj4294967295EEEfN2at4cuda3cub6detail10OpaqueTypeILi8EEEEELb0EPKfPfPKSB_PSB_NS0_19identity_decomposerEEEvT1_T2_T3_T4_jT5_jj
	.globl	_ZN7rocprim17ROCPRIM_304000_NS6detail28radix_sort_block_sort_kernelINS1_36wrapped_radix_sort_block_sort_configINS0_13kernel_configILj256ELj4ELj4294967295EEEfN2at4cuda3cub6detail10OpaqueTypeILi8EEEEELb0EPKfPfPKSB_PSB_NS0_19identity_decomposerEEEvT1_T2_T3_T4_jT5_jj
	.p2align	8
	.type	_ZN7rocprim17ROCPRIM_304000_NS6detail28radix_sort_block_sort_kernelINS1_36wrapped_radix_sort_block_sort_configINS0_13kernel_configILj256ELj4ELj4294967295EEEfN2at4cuda3cub6detail10OpaqueTypeILi8EEEEELb0EPKfPfPKSB_PSB_NS0_19identity_decomposerEEEvT1_T2_T3_T4_jT5_jj,@function
_ZN7rocprim17ROCPRIM_304000_NS6detail28radix_sort_block_sort_kernelINS1_36wrapped_radix_sort_block_sort_configINS0_13kernel_configILj256ELj4ELj4294967295EEEfN2at4cuda3cub6detail10OpaqueTypeILi8EEEEELb0EPKfPfPKSB_PSB_NS0_19identity_decomposerEEEvT1_T2_T3_T4_jT5_jj: ; @_ZN7rocprim17ROCPRIM_304000_NS6detail28radix_sort_block_sort_kernelINS1_36wrapped_radix_sort_block_sort_configINS0_13kernel_configILj256ELj4ELj4294967295EEEfN2at4cuda3cub6detail10OpaqueTypeILi8EEEEELb0EPKfPfPKSB_PSB_NS0_19identity_decomposerEEEvT1_T2_T3_T4_jT5_jj
; %bb.0:
	s_clause 0x1
	s_load_b32 s2, s[0:1], 0x20
	s_load_b256 s[16:23], s[0:1], 0x0
	v_and_b32_e32 v8, 0x3ff, v0
	v_mbcnt_lo_u32_b32 v7, -1, 0
	s_lshl_b32 s24, s15, 10
	s_mov_b32 s25, 0
	s_delay_alu instid0(VALU_DEP_2) | instskip(NEXT) | instid1(VALU_DEP_2)
	v_lshlrev_b32_e32 v27, 2, v8
	v_lshlrev_b32_e32 v1, 2, v7
	;; [unrolled: 1-line block ×3, first 2 shown]
	s_delay_alu instid0(VALU_DEP_3) | instskip(NEXT) | instid1(VALU_DEP_1)
	v_and_b32_e32 v11, 0x380, v27
	v_lshlrev_b32_e32 v2, 2, v11
	v_lshlrev_b32_e32 v16, 3, v11
	v_add_nc_u32_e32 v14, v7, v11
	s_waitcnt lgkmcnt(0)
	s_lshr_b32 s3, s2, 10
	s_delay_alu instid0(SALU_CYCLE_1) | instskip(SKIP_2) | instid1(SALU_CYCLE_1)
	s_cmp_lg_u32 s15, s3
	s_cselect_b32 s28, -1, 0
	s_lshl_b64 s[26:27], s[24:25], 2
	s_add_u32 s4, s16, s26
	s_addc_u32 s5, s17, s27
	v_add_co_u32 v1, s4, s4, v1
	s_delay_alu instid0(VALU_DEP_1) | instskip(SKIP_1) | instid1(VALU_DEP_2)
	v_add_co_ci_u32_e64 v3, null, s5, 0, s4
	s_cmp_eq_u32 s15, s3
	v_add_co_u32 v9, vcc_lo, v1, v2
	s_delay_alu instid0(VALU_DEP_2)
	v_add_co_ci_u32_e32 v10, vcc_lo, 0, v3, vcc_lo
	s_mov_b32 s3, -1
	s_cbranch_scc1 .LBB133_2
; %bb.1:
	s_lshl_b64 s[4:5], s[24:25], 3
	v_add_nc_u32_e32 v17, v7, v11
	s_add_u32 s3, s20, s4
	s_addc_u32 s4, s21, s5
	v_add_co_u32 v1, s3, s3, v15
	s_delay_alu instid0(VALU_DEP_1) | instskip(SKIP_1) | instid1(VALU_DEP_3)
	v_add_co_ci_u32_e64 v2, null, s4, 0, s3
	v_add_nc_u32_e32 v11, 32, v17
	v_add_co_u32 v12, vcc_lo, v1, v16
	s_delay_alu instid0(VALU_DEP_3)
	v_add_co_ci_u32_e32 v13, vcc_lo, 0, v2, vcc_lo
	s_clause 0x3
	global_load_b32 v1, v[9:10], off
	global_load_b32 v2, v[9:10], off offset:128
	global_load_b32 v3, v[9:10], off offset:256
	;; [unrolled: 1-line block ×3, first 2 shown]
	s_clause 0x3
	global_load_b64 v[5:6], v[12:13], off
	global_load_b64 v[21:22], v[12:13], off offset:256
	global_load_b64 v[23:24], v[12:13], off offset:512
	;; [unrolled: 1-line block ×3, first 2 shown]
	v_add_nc_u32_e32 v12, 64, v17
	v_add_nc_u32_e32 v13, 0x60, v17
	s_mov_b32 s3, s25
	s_delay_alu instid0(SALU_CYCLE_1)
	s_and_not1_b32 vcc_lo, exec_lo, s3
	s_sub_i32 s16, s2, s24
	s_cbranch_vccz .LBB133_3
	s_branch .LBB133_17
.LBB133_2:
                                        ; implicit-def: $vgpr1_vgpr2_vgpr3_vgpr4
                                        ; implicit-def: $vgpr5_vgpr6
                                        ; implicit-def: $vgpr21_vgpr22
                                        ; implicit-def: $vgpr23_vgpr24
                                        ; implicit-def: $vgpr25_vgpr26
                                        ; implicit-def: $vgpr17
                                        ; implicit-def: $vgpr11
                                        ; implicit-def: $vgpr12
                                        ; implicit-def: $vgpr13
	s_and_not1_b32 vcc_lo, exec_lo, s3
	s_sub_i32 s16, s2, s24
	s_cbranch_vccnz .LBB133_17
.LBB133_3:
	s_brev_b32 s4, -2
	v_cmp_gt_u32_e32 vcc_lo, s16, v14
	s_mov_b32 s5, s4
	s_mov_b32 s6, s4
	;; [unrolled: 1-line block ×3, first 2 shown]
	s_waitcnt vmcnt(4)
	v_dual_mov_b32 v1, s4 :: v_dual_mov_b32 v2, s5
	v_dual_mov_b32 v3, s6 :: v_dual_mov_b32 v4, s7
	s_and_saveexec_b32 s2, vcc_lo
	s_cbranch_execz .LBB133_5
; %bb.4:
	global_load_b32 v1, v[9:10], off
	v_bfrev_b32_e32 v2, -2
	s_delay_alu instid0(VALU_DEP_1)
	v_mov_b32_e32 v3, v2
	v_mov_b32_e32 v4, v2
.LBB133_5:
	s_or_b32 exec_lo, exec_lo, s2
	v_add_nc_u32_e32 v11, 32, v14
	s_delay_alu instid0(VALU_DEP_1) | instskip(NEXT) | instid1(VALU_DEP_1)
	v_cmp_gt_u32_e64 s2, s16, v11
	s_and_saveexec_b32 s3, s2
	s_cbranch_execz .LBB133_7
; %bb.6:
	global_load_b32 v2, v[9:10], off offset:128
.LBB133_7:
	s_or_b32 exec_lo, exec_lo, s3
	v_add_nc_u32_e32 v12, 64, v14
	s_delay_alu instid0(VALU_DEP_1) | instskip(NEXT) | instid1(VALU_DEP_1)
	v_cmp_gt_u32_e64 s3, s16, v12
	s_and_saveexec_b32 s4, s3
	s_cbranch_execz .LBB133_9
; %bb.8:
	global_load_b32 v3, v[9:10], off offset:256
.LBB133_9:
	;; [unrolled: 9-line block ×3, first 2 shown]
	s_or_b32 exec_lo, exec_lo, s5
	s_lshl_b64 s[6:7], s[24:25], 3
	s_delay_alu instid0(SALU_CYCLE_1) | instskip(SKIP_3) | instid1(VALU_DEP_1)
	s_add_u32 s5, s20, s6
	s_addc_u32 s6, s21, s7
	s_waitcnt vmcnt(3)
	v_add_co_u32 v5, s5, s5, v15
	v_add_co_ci_u32_e64 v6, null, s6, 0, s5
	s_delay_alu instid0(VALU_DEP_2) | instskip(NEXT) | instid1(VALU_DEP_1)
	v_add_co_u32 v9, s5, v5, v16
	v_add_co_ci_u32_e64 v10, s5, 0, v6, s5
                                        ; implicit-def: $vgpr5_vgpr6
	s_and_saveexec_b32 s5, vcc_lo
	s_cbranch_execnz .LBB133_54
; %bb.12:
	s_or_b32 exec_lo, exec_lo, s5
                                        ; implicit-def: $vgpr21_vgpr22
	s_and_saveexec_b32 s5, s2
	s_cbranch_execnz .LBB133_55
.LBB133_13:
	s_or_b32 exec_lo, exec_lo, s5
                                        ; implicit-def: $vgpr23_vgpr24
	s_and_saveexec_b32 s2, s3
	s_cbranch_execnz .LBB133_56
.LBB133_14:
	s_or_b32 exec_lo, exec_lo, s2
                                        ; implicit-def: $vgpr25_vgpr26
	s_and_saveexec_b32 s2, s4
	s_cbranch_execz .LBB133_16
.LBB133_15:
	global_load_b64 v[25:26], v[9:10], off offset:768
.LBB133_16:
	s_or_b32 exec_lo, exec_lo, s2
	v_mov_b32_e32 v17, v14
.LBB133_17:
	s_clause 0x1
	s_load_b32 s2, s[0:1], 0x3c
	s_load_b64 s[14:15], s[0:1], 0x28
	s_waitcnt vmcnt(0)
	v_cmp_lt_i32_e32 vcc_lo, -1, v1
	v_bfe_u32 v16, v0, 10, 10
	v_bfe_u32 v18, v0, 20, 10
	s_mov_b32 s20, 0
	v_lshlrev_b32_e32 v36, 2, v11
	v_cndmask_b32_e64 v9, -1, 0x80000000, vcc_lo
	v_cmp_lt_i32_e32 vcc_lo, -1, v2
	s_mov_b32 s30, s20
	s_mov_b32 s31, s20
	v_and_b32_e32 v30, 0x3e0, v8
	v_xor_b32_e32 v47, v9, v1
	v_cndmask_b32_e64 v10, -1, 0x80000000, vcc_lo
	v_cmp_lt_i32_e32 vcc_lo, -1, v3
	v_add_nc_u32_e32 v31, -1, v7
	v_lshlrev_b32_e32 v37, 2, v12
	v_dual_mov_b32 v11, s30 :: v_dual_mov_b32 v12, s31
	v_cndmask_b32_e64 v14, -1, 0x80000000, vcc_lo
	v_cmp_lt_i32_e32 vcc_lo, -1, v4
	s_waitcnt lgkmcnt(0)
	s_lshr_b32 s0, s2, 16
	v_xor_b32_e32 v0, v10, v2
	v_mad_u32_u24 v9, v18, s0, v16
	s_and_b32 s0, s2, 0xffff
	v_cndmask_b32_e64 v15, -1, 0x80000000, vcc_lo
	v_xor_b32_e32 v1, v14, v3
	v_cmp_gt_i32_e32 vcc_lo, 0, v31
	v_lshlrev_b32_e32 v28, 5, v8
	v_lshlrev_b32_e32 v35, 2, v17
	v_xor_b32_e32 v2, v15, v4
	v_mad_u64_u32 v[3:4], null, v9, s0, v[8:9]
	v_min_u32_e32 v4, 0xe0, v30
	v_lshlrev_b32_e32 v38, 2, v13
	s_mov_b32 s21, s20
	v_and_b32_e32 v19, 15, v7
	v_dual_mov_b32 v9, s20 :: v_dual_and_b32 v20, 16, v7
	v_or_b32_e32 v4, 31, v4
	v_lshrrev_b32_e32 v30, 5, v3
	v_cndmask_b32_e32 v3, v31, v7, vcc_lo
	v_add_nc_u32_e32 v29, 32, v28
	v_cmp_eq_u32_e64 s4, 0, v20
	v_cmp_eq_u32_e64 s5, v4, v8
	v_lshrrev_b32_e32 v4, 3, v8
	v_lshlrev_b32_e32 v32, 2, v3
	v_and_b32_e32 v3, 7, v7
	v_cmp_gt_u32_e64 s6, 8, v8
	v_cmp_lt_u32_e64 s7, 31, v8
	v_and_b32_e32 v33, 0x7c, v4
	v_cmp_eq_u32_e64 s8, 0, v7
	v_cmp_eq_u32_e64 s9, 0, v8
	v_mul_i32_i24_e32 v31, 0xffffffe4, v8
	v_cmp_eq_u32_e64 s10, 0, v3
	v_cmp_lt_u32_e64 s11, 1, v3
	v_cmp_lt_u32_e64 s12, 3, v3
	v_add_nc_u32_e32 v34, -4, v33
	v_mov_b32_e32 v10, s21
	v_cmp_eq_u32_e64 s0, 0, v19
	v_cmp_lt_u32_e64 s1, 1, v19
	v_cmp_lt_u32_e64 s2, 3, v19
	;; [unrolled: 1-line block ×3, first 2 shown]
	v_add_nc_u32_e32 v39, v35, v35
	v_add_nc_u32_e32 v40, v36, v36
	;; [unrolled: 1-line block ×4, first 2 shown]
	s_add_i32 s17, s15, s14
	s_branch .LBB133_19
.LBB133_18:                             ;   in Loop: Header=BB133_19 Depth=1
	v_lshl_add_u32 v5, v48, 2, v52
	v_lshl_add_u32 v6, v7, 2, v51
	v_lshl_add_u32 v21, v4, 2, v50
	v_lshl_add_u32 v22, v3, 2, v49
	s_barrier
	buffer_gl0_inv
	ds_store_b32 v52, v43
	ds_store_b32 v51, v46
	;; [unrolled: 1-line block ×4, first 2 shown]
	s_waitcnt lgkmcnt(0)
	s_barrier
	buffer_gl0_inv
	ds_load_b32 v47, v35
	ds_load_b32 v0, v36
	;; [unrolled: 1-line block ×4, first 2 shown]
	s_waitcnt lgkmcnt(0)
	s_barrier
	buffer_gl0_inv
	ds_store_b64 v5, v[19:20]
	ds_store_b64 v6, v[17:18]
	;; [unrolled: 1-line block ×4, first 2 shown]
	s_waitcnt lgkmcnt(0)
	s_barrier
	buffer_gl0_inv
	ds_load_b64 v[5:6], v39
	ds_load_b64 v[21:22], v40
	ds_load_b64 v[23:24], v41
	ds_load_b64 v[25:26], v42
	s_add_i32 s15, s15, -8
	s_waitcnt lgkmcnt(0)
	s_barrier
	buffer_gl0_inv
	s_cbranch_execz .LBB133_35
.LBB133_19:                             ; =>This Inner Loop Header: Depth=1
	v_mov_b32_e32 v43, v47
	s_min_u32 s13, s15, 8
	ds_store_2addr_b64 v28, v[9:10], v[11:12] offset0:4 offset1:5
	ds_store_2addr_b64 v29, v[9:10], v[11:12] offset0:2 offset1:3
	s_lshl_b32 s13, -1, s13
	s_waitcnt lgkmcnt(0)
	v_cmp_ne_u32_e32 vcc_lo, 0x7fffffff, v43
	s_not_b32 s20, s13
	s_barrier
	buffer_gl0_inv
	v_cndmask_b32_e32 v3, 0x80000000, v43, vcc_lo
	; wave barrier
	v_mov_b32_e32 v44, v2
	v_dual_mov_b32 v46, v0 :: v_dual_mov_b32 v45, v1
	s_delay_alu instid0(VALU_DEP_3) | instskip(NEXT) | instid1(VALU_DEP_1)
	v_lshrrev_b32_e32 v3, s14, v3
	v_and_b32_e32 v3, s20, v3
	s_delay_alu instid0(VALU_DEP_1)
	v_and_b32_e32 v4, 1, v3
	v_lshlrev_b32_e32 v7, 30, v3
	v_lshlrev_b32_e32 v13, 29, v3
	;; [unrolled: 1-line block ×4, first 2 shown]
	v_add_co_u32 v4, s13, v4, -1
	s_delay_alu instid0(VALU_DEP_1)
	v_cndmask_b32_e64 v15, 0, 1, s13
	v_not_b32_e32 v19, v7
	v_cmp_gt_i32_e64 s13, 0, v7
	v_lshlrev_b32_e32 v17, 26, v3
	v_lshlrev_b32_e32 v18, 25, v3
	v_cmp_ne_u32_e32 vcc_lo, 0, v15
	v_ashrrev_i32_e32 v19, 31, v19
	v_lshlrev_b32_e32 v15, 24, v3
	v_lshl_add_u32 v1, v3, 3, v30
	v_xor_b32_e32 v4, vcc_lo, v4
	s_delay_alu instid0(VALU_DEP_4) | instskip(SKIP_1) | instid1(VALU_DEP_3)
	v_xor_b32_e32 v19, s13, v19
	v_cmp_gt_i32_e64 s13, 0, v14
	v_and_b32_e32 v4, exec_lo, v4
	s_delay_alu instid0(VALU_DEP_1)
	v_and_b32_e32 v4, v4, v19
	v_mov_b32_e32 v20, v6
	v_not_b32_e32 v7, v13
	v_cmp_gt_i32_e32 vcc_lo, 0, v13
	v_not_b32_e32 v13, v14
	v_mov_b32_e32 v19, v5
	v_not_b32_e32 v14, v16
	v_ashrrev_i32_e32 v7, 31, v7
	s_delay_alu instid0(VALU_DEP_4) | instskip(NEXT) | instid1(VALU_DEP_3)
	v_ashrrev_i32_e32 v13, 31, v13
	v_ashrrev_i32_e32 v14, 31, v14
	s_delay_alu instid0(VALU_DEP_3)
	v_xor_b32_e32 v7, vcc_lo, v7
	v_cmp_gt_i32_e32 vcc_lo, 0, v16
	v_not_b32_e32 v16, v17
	v_xor_b32_e32 v13, s13, v13
	v_cmp_gt_i32_e64 s13, 0, v17
	v_and_b32_e32 v4, v4, v7
	v_xor_b32_e32 v14, vcc_lo, v14
	v_ashrrev_i32_e32 v16, 31, v16
	s_delay_alu instid0(VALU_DEP_3) | instskip(SKIP_1) | instid1(VALU_DEP_3)
	v_and_b32_e32 v4, v4, v13
	v_not_b32_e32 v13, v15
	v_xor_b32_e32 v16, s13, v16
	v_cmp_gt_i32_e64 s13, 0, v15
	s_delay_alu instid0(VALU_DEP_4) | instskip(NEXT) | instid1(VALU_DEP_4)
	v_and_b32_e32 v4, v4, v14
	v_ashrrev_i32_e32 v13, 31, v13
	s_delay_alu instid0(VALU_DEP_2) | instskip(SKIP_2) | instid1(VALU_DEP_4)
	v_dual_mov_b32 v15, v23 :: v_dual_and_b32 v4, v4, v16
	v_not_b32_e32 v7, v18
	v_cmp_gt_i32_e32 vcc_lo, 0, v18
	v_xor_b32_e32 v13, s13, v13
	v_dual_mov_b32 v17, v21 :: v_dual_mov_b32 v18, v22
	s_delay_alu instid0(VALU_DEP_4) | instskip(SKIP_2) | instid1(VALU_DEP_3)
	v_ashrrev_i32_e32 v7, 31, v7
	v_mov_b32_e32 v16, v24
	v_lshl_add_u32 v22, v1, 2, 32
	v_xor_b32_e32 v7, vcc_lo, v7
	s_delay_alu instid0(VALU_DEP_1) | instskip(NEXT) | instid1(VALU_DEP_1)
	v_and_b32_e32 v4, v4, v7
	v_dual_mov_b32 v13, v25 :: v_dual_and_b32 v0, v4, v13
	v_mov_b32_e32 v14, v26
	s_delay_alu instid0(VALU_DEP_2) | instskip(SKIP_1) | instid1(VALU_DEP_2)
	v_mbcnt_lo_u32_b32 v21, v0, 0
	v_cmp_ne_u32_e64 s13, 0, v0
	v_cmp_eq_u32_e32 vcc_lo, 0, v21
	s_delay_alu instid0(VALU_DEP_2) | instskip(NEXT) | instid1(SALU_CYCLE_1)
	s_and_b32 s21, s13, vcc_lo
	s_and_saveexec_b32 s13, s21
	s_cbranch_execz .LBB133_21
; %bb.20:                               ;   in Loop: Header=BB133_19 Depth=1
	v_bcnt_u32_b32 v0, v0, 0
	ds_store_b32 v22, v0
.LBB133_21:                             ;   in Loop: Header=BB133_19 Depth=1
	s_or_b32 exec_lo, exec_lo, s13
	v_cmp_ne_u32_e32 vcc_lo, 0x7fffffff, v46
	; wave barrier
	v_cndmask_b32_e32 v0, 0x80000000, v46, vcc_lo
	s_delay_alu instid0(VALU_DEP_1) | instskip(NEXT) | instid1(VALU_DEP_1)
	v_lshrrev_b32_e32 v0, s14, v0
	v_and_b32_e32 v0, s20, v0
	s_delay_alu instid0(VALU_DEP_1)
	v_and_b32_e32 v1, 1, v0
	v_lshlrev_b32_e32 v2, 30, v0
	v_lshlrev_b32_e32 v3, 29, v0
	v_lshlrev_b32_e32 v4, 28, v0
	v_lshlrev_b32_e32 v6, 27, v0
	v_add_co_u32 v1, s13, v1, -1
	s_delay_alu instid0(VALU_DEP_1)
	v_cndmask_b32_e64 v5, 0, 1, s13
	v_not_b32_e32 v24, v2
	v_cmp_gt_i32_e64 s13, 0, v2
	v_not_b32_e32 v2, v3
	v_lshlrev_b32_e32 v7, 26, v0
	v_cmp_ne_u32_e32 vcc_lo, 0, v5
	v_ashrrev_i32_e32 v24, 31, v24
	v_lshlrev_b32_e32 v23, 25, v0
	v_ashrrev_i32_e32 v2, 31, v2
	v_lshlrev_b32_e32 v5, 24, v0
	v_xor_b32_e32 v1, vcc_lo, v1
	v_cmp_gt_i32_e32 vcc_lo, 0, v3
	v_not_b32_e32 v3, v4
	v_xor_b32_e32 v24, s13, v24
	v_cmp_gt_i32_e64 s13, 0, v4
	v_and_b32_e32 v1, exec_lo, v1
	v_not_b32_e32 v4, v6
	v_ashrrev_i32_e32 v3, 31, v3
	v_xor_b32_e32 v2, vcc_lo, v2
	v_cmp_gt_i32_e32 vcc_lo, 0, v6
	v_and_b32_e32 v1, v1, v24
	v_not_b32_e32 v6, v7
	v_ashrrev_i32_e32 v4, 31, v4
	v_xor_b32_e32 v3, s13, v3
	v_cmp_gt_i32_e64 s13, 0, v7
	v_and_b32_e32 v1, v1, v2
	v_not_b32_e32 v2, v23
	v_ashrrev_i32_e32 v6, 31, v6
	v_xor_b32_e32 v4, vcc_lo, v4
	v_cmp_gt_i32_e32 vcc_lo, 0, v23
	v_and_b32_e32 v1, v1, v3
	v_not_b32_e32 v3, v5
	v_ashrrev_i32_e32 v2, 31, v2
	v_xor_b32_e32 v6, s13, v6
	v_lshlrev_b32_e32 v0, 3, v0
	v_and_b32_e32 v1, v1, v4
	v_cmp_gt_i32_e64 s13, 0, v5
	v_ashrrev_i32_e32 v3, 31, v3
	v_xor_b32_e32 v2, vcc_lo, v2
	v_add_lshl_u32 v4, v0, v30, 2
	v_and_b32_e32 v1, v1, v6
	s_delay_alu instid0(VALU_DEP_4) | instskip(SKIP_3) | instid1(VALU_DEP_2)
	v_xor_b32_e32 v0, s13, v3
	ds_load_b32 v23, v4 offset:32
	v_and_b32_e32 v1, v1, v2
	v_add_nc_u32_e32 v25, 32, v4
	; wave barrier
	v_and_b32_e32 v0, v1, v0
	s_delay_alu instid0(VALU_DEP_1) | instskip(SKIP_1) | instid1(VALU_DEP_2)
	v_mbcnt_lo_u32_b32 v24, v0, 0
	v_cmp_ne_u32_e64 s13, 0, v0
	v_cmp_eq_u32_e32 vcc_lo, 0, v24
	s_delay_alu instid0(VALU_DEP_2) | instskip(NEXT) | instid1(SALU_CYCLE_1)
	s_and_b32 s21, s13, vcc_lo
	s_and_saveexec_b32 s13, s21
	s_cbranch_execz .LBB133_23
; %bb.22:                               ;   in Loop: Header=BB133_19 Depth=1
	s_waitcnt lgkmcnt(0)
	v_bcnt_u32_b32 v0, v0, v23
	ds_store_b32 v25, v0
.LBB133_23:                             ;   in Loop: Header=BB133_19 Depth=1
	s_or_b32 exec_lo, exec_lo, s13
	v_cmp_ne_u32_e32 vcc_lo, 0x7fffffff, v45
	; wave barrier
	v_cndmask_b32_e32 v0, 0x80000000, v45, vcc_lo
	s_delay_alu instid0(VALU_DEP_1) | instskip(NEXT) | instid1(VALU_DEP_1)
	v_lshrrev_b32_e32 v0, s14, v0
	v_and_b32_e32 v0, s20, v0
	s_delay_alu instid0(VALU_DEP_1)
	v_and_b32_e32 v1, 1, v0
	v_lshlrev_b32_e32 v2, 30, v0
	v_lshlrev_b32_e32 v3, 29, v0
	;; [unrolled: 1-line block ×4, first 2 shown]
	v_add_co_u32 v1, s13, v1, -1
	s_delay_alu instid0(VALU_DEP_1)
	v_cndmask_b32_e64 v5, 0, 1, s13
	v_not_b32_e32 v47, v2
	v_cmp_gt_i32_e64 s13, 0, v2
	v_not_b32_e32 v2, v3
	v_lshlrev_b32_e32 v7, 26, v0
	v_cmp_ne_u32_e32 vcc_lo, 0, v5
	v_ashrrev_i32_e32 v47, 31, v47
	v_lshlrev_b32_e32 v26, 25, v0
	v_ashrrev_i32_e32 v2, 31, v2
	v_lshlrev_b32_e32 v5, 24, v0
	v_xor_b32_e32 v1, vcc_lo, v1
	v_cmp_gt_i32_e32 vcc_lo, 0, v3
	v_not_b32_e32 v3, v4
	v_xor_b32_e32 v47, s13, v47
	v_cmp_gt_i32_e64 s13, 0, v4
	v_and_b32_e32 v1, exec_lo, v1
	v_not_b32_e32 v4, v6
	v_ashrrev_i32_e32 v3, 31, v3
	v_xor_b32_e32 v2, vcc_lo, v2
	v_cmp_gt_i32_e32 vcc_lo, 0, v6
	v_and_b32_e32 v1, v1, v47
	v_not_b32_e32 v6, v7
	v_ashrrev_i32_e32 v4, 31, v4
	v_xor_b32_e32 v3, s13, v3
	v_cmp_gt_i32_e64 s13, 0, v7
	v_and_b32_e32 v1, v1, v2
	v_not_b32_e32 v2, v26
	v_ashrrev_i32_e32 v6, 31, v6
	v_xor_b32_e32 v4, vcc_lo, v4
	v_cmp_gt_i32_e32 vcc_lo, 0, v26
	v_and_b32_e32 v1, v1, v3
	v_not_b32_e32 v3, v5
	v_ashrrev_i32_e32 v2, 31, v2
	v_xor_b32_e32 v6, s13, v6
	v_lshlrev_b32_e32 v0, 3, v0
	v_and_b32_e32 v1, v1, v4
	v_cmp_gt_i32_e64 s13, 0, v5
	v_ashrrev_i32_e32 v3, 31, v3
	v_xor_b32_e32 v2, vcc_lo, v2
	v_add_lshl_u32 v4, v0, v30, 2
	v_and_b32_e32 v1, v1, v6
	s_delay_alu instid0(VALU_DEP_4) | instskip(SKIP_3) | instid1(VALU_DEP_2)
	v_xor_b32_e32 v0, s13, v3
	ds_load_b32 v26, v4 offset:32
	v_and_b32_e32 v1, v1, v2
	v_add_nc_u32_e32 v48, 32, v4
	; wave barrier
	v_and_b32_e32 v0, v1, v0
	s_delay_alu instid0(VALU_DEP_1) | instskip(SKIP_1) | instid1(VALU_DEP_2)
	v_mbcnt_lo_u32_b32 v47, v0, 0
	v_cmp_ne_u32_e64 s13, 0, v0
	v_cmp_eq_u32_e32 vcc_lo, 0, v47
	s_delay_alu instid0(VALU_DEP_2) | instskip(NEXT) | instid1(SALU_CYCLE_1)
	s_and_b32 s21, s13, vcc_lo
	s_and_saveexec_b32 s13, s21
	s_cbranch_execz .LBB133_25
; %bb.24:                               ;   in Loop: Header=BB133_19 Depth=1
	s_waitcnt lgkmcnt(0)
	v_bcnt_u32_b32 v0, v0, v26
	ds_store_b32 v48, v0
.LBB133_25:                             ;   in Loop: Header=BB133_19 Depth=1
	s_or_b32 exec_lo, exec_lo, s13
	v_cmp_ne_u32_e32 vcc_lo, 0x7fffffff, v44
	; wave barrier
	v_cndmask_b32_e32 v0, 0x80000000, v44, vcc_lo
	s_delay_alu instid0(VALU_DEP_1) | instskip(NEXT) | instid1(VALU_DEP_1)
	v_lshrrev_b32_e32 v0, s14, v0
	v_and_b32_e32 v0, s20, v0
	s_delay_alu instid0(VALU_DEP_1)
	v_and_b32_e32 v1, 1, v0
	v_lshlrev_b32_e32 v2, 30, v0
	v_lshlrev_b32_e32 v3, 29, v0
	v_lshlrev_b32_e32 v4, 28, v0
	v_lshlrev_b32_e32 v6, 27, v0
	v_add_co_u32 v1, s13, v1, -1
	s_delay_alu instid0(VALU_DEP_1)
	v_cndmask_b32_e64 v5, 0, 1, s13
	v_not_b32_e32 v50, v2
	v_cmp_gt_i32_e64 s13, 0, v2
	v_not_b32_e32 v2, v3
	v_lshlrev_b32_e32 v7, 26, v0
	v_cmp_ne_u32_e32 vcc_lo, 0, v5
	v_ashrrev_i32_e32 v50, 31, v50
	v_lshlrev_b32_e32 v49, 25, v0
	v_ashrrev_i32_e32 v2, 31, v2
	v_lshlrev_b32_e32 v5, 24, v0
	v_xor_b32_e32 v1, vcc_lo, v1
	v_cmp_gt_i32_e32 vcc_lo, 0, v3
	v_not_b32_e32 v3, v4
	v_xor_b32_e32 v50, s13, v50
	v_cmp_gt_i32_e64 s13, 0, v4
	v_and_b32_e32 v1, exec_lo, v1
	v_not_b32_e32 v4, v6
	v_ashrrev_i32_e32 v3, 31, v3
	v_xor_b32_e32 v2, vcc_lo, v2
	v_cmp_gt_i32_e32 vcc_lo, 0, v6
	v_and_b32_e32 v1, v1, v50
	v_not_b32_e32 v6, v7
	v_ashrrev_i32_e32 v4, 31, v4
	v_xor_b32_e32 v3, s13, v3
	v_cmp_gt_i32_e64 s13, 0, v7
	v_and_b32_e32 v1, v1, v2
	v_not_b32_e32 v2, v49
	v_ashrrev_i32_e32 v6, 31, v6
	v_xor_b32_e32 v4, vcc_lo, v4
	v_cmp_gt_i32_e32 vcc_lo, 0, v49
	v_and_b32_e32 v1, v1, v3
	v_not_b32_e32 v3, v5
	v_ashrrev_i32_e32 v2, 31, v2
	v_xor_b32_e32 v6, s13, v6
	v_lshlrev_b32_e32 v0, 3, v0
	v_and_b32_e32 v1, v1, v4
	v_cmp_gt_i32_e64 s13, 0, v5
	v_ashrrev_i32_e32 v3, 31, v3
	v_xor_b32_e32 v2, vcc_lo, v2
	v_add_lshl_u32 v4, v0, v30, 2
	v_and_b32_e32 v1, v1, v6
	s_delay_alu instid0(VALU_DEP_4) | instskip(SKIP_3) | instid1(VALU_DEP_2)
	v_xor_b32_e32 v0, s13, v3
	ds_load_b32 v49, v4 offset:32
	v_and_b32_e32 v1, v1, v2
	v_add_nc_u32_e32 v51, 32, v4
	; wave barrier
	v_and_b32_e32 v0, v1, v0
	s_delay_alu instid0(VALU_DEP_1) | instskip(SKIP_1) | instid1(VALU_DEP_2)
	v_mbcnt_lo_u32_b32 v50, v0, 0
	v_cmp_ne_u32_e64 s13, 0, v0
	v_cmp_eq_u32_e32 vcc_lo, 0, v50
	s_delay_alu instid0(VALU_DEP_2) | instskip(NEXT) | instid1(SALU_CYCLE_1)
	s_and_b32 s20, s13, vcc_lo
	s_and_saveexec_b32 s13, s20
	s_cbranch_execz .LBB133_27
; %bb.26:                               ;   in Loop: Header=BB133_19 Depth=1
	s_waitcnt lgkmcnt(0)
	v_bcnt_u32_b32 v0, v0, v49
	ds_store_b32 v51, v0
.LBB133_27:                             ;   in Loop: Header=BB133_19 Depth=1
	s_or_b32 exec_lo, exec_lo, s13
	; wave barrier
	s_waitcnt lgkmcnt(0)
	s_barrier
	buffer_gl0_inv
	ds_load_2addr_b64 v[4:7], v28 offset0:4 offset1:5
	ds_load_2addr_b64 v[0:3], v29 offset0:2 offset1:3
	s_waitcnt lgkmcnt(1)
	v_add_nc_u32_e32 v52, v5, v4
	s_delay_alu instid0(VALU_DEP_1) | instskip(SKIP_1) | instid1(VALU_DEP_1)
	v_add3_u32 v52, v52, v6, v7
	s_waitcnt lgkmcnt(0)
	v_add3_u32 v52, v52, v0, v1
	s_delay_alu instid0(VALU_DEP_1) | instskip(NEXT) | instid1(VALU_DEP_1)
	v_add3_u32 v3, v52, v2, v3
	v_mov_b32_dpp v52, v3 row_shr:1 row_mask:0xf bank_mask:0xf
	s_delay_alu instid0(VALU_DEP_1) | instskip(NEXT) | instid1(VALU_DEP_1)
	v_cndmask_b32_e64 v52, v52, 0, s0
	v_add_nc_u32_e32 v3, v52, v3
	s_delay_alu instid0(VALU_DEP_1) | instskip(NEXT) | instid1(VALU_DEP_1)
	v_mov_b32_dpp v52, v3 row_shr:2 row_mask:0xf bank_mask:0xf
	v_cndmask_b32_e64 v52, 0, v52, s1
	s_delay_alu instid0(VALU_DEP_1) | instskip(NEXT) | instid1(VALU_DEP_1)
	v_add_nc_u32_e32 v3, v3, v52
	v_mov_b32_dpp v52, v3 row_shr:4 row_mask:0xf bank_mask:0xf
	s_delay_alu instid0(VALU_DEP_1) | instskip(NEXT) | instid1(VALU_DEP_1)
	v_cndmask_b32_e64 v52, 0, v52, s2
	v_add_nc_u32_e32 v3, v3, v52
	s_delay_alu instid0(VALU_DEP_1) | instskip(NEXT) | instid1(VALU_DEP_1)
	v_mov_b32_dpp v52, v3 row_shr:8 row_mask:0xf bank_mask:0xf
	v_cndmask_b32_e64 v52, 0, v52, s3
	s_delay_alu instid0(VALU_DEP_1) | instskip(SKIP_3) | instid1(VALU_DEP_1)
	v_add_nc_u32_e32 v3, v3, v52
	ds_swizzle_b32 v52, v3 offset:swizzle(BROADCAST,32,15)
	s_waitcnt lgkmcnt(0)
	v_cndmask_b32_e64 v52, v52, 0, s4
	v_add_nc_u32_e32 v3, v3, v52
	s_and_saveexec_b32 s13, s5
	s_cbranch_execz .LBB133_29
; %bb.28:                               ;   in Loop: Header=BB133_19 Depth=1
	ds_store_b32 v33, v3
.LBB133_29:                             ;   in Loop: Header=BB133_19 Depth=1
	s_or_b32 exec_lo, exec_lo, s13
	s_waitcnt lgkmcnt(0)
	s_barrier
	buffer_gl0_inv
	s_and_saveexec_b32 s13, s6
	s_cbranch_execz .LBB133_31
; %bb.30:                               ;   in Loop: Header=BB133_19 Depth=1
	v_add_nc_u32_e32 v52, v28, v31
	ds_load_b32 v53, v52
	s_waitcnt lgkmcnt(0)
	v_mov_b32_dpp v54, v53 row_shr:1 row_mask:0xf bank_mask:0xf
	s_delay_alu instid0(VALU_DEP_1) | instskip(NEXT) | instid1(VALU_DEP_1)
	v_cndmask_b32_e64 v54, v54, 0, s10
	v_add_nc_u32_e32 v53, v54, v53
	s_delay_alu instid0(VALU_DEP_1) | instskip(NEXT) | instid1(VALU_DEP_1)
	v_mov_b32_dpp v54, v53 row_shr:2 row_mask:0xf bank_mask:0xf
	v_cndmask_b32_e64 v54, 0, v54, s11
	s_delay_alu instid0(VALU_DEP_1) | instskip(NEXT) | instid1(VALU_DEP_1)
	v_add_nc_u32_e32 v53, v53, v54
	v_mov_b32_dpp v54, v53 row_shr:4 row_mask:0xf bank_mask:0xf
	s_delay_alu instid0(VALU_DEP_1) | instskip(NEXT) | instid1(VALU_DEP_1)
	v_cndmask_b32_e64 v54, 0, v54, s12
	v_add_nc_u32_e32 v53, v53, v54
	ds_store_b32 v52, v53
.LBB133_31:                             ;   in Loop: Header=BB133_19 Depth=1
	s_or_b32 exec_lo, exec_lo, s13
	v_mov_b32_e32 v52, 0
	s_waitcnt lgkmcnt(0)
	s_barrier
	buffer_gl0_inv
	s_and_saveexec_b32 s13, s7
	s_cbranch_execz .LBB133_33
; %bb.32:                               ;   in Loop: Header=BB133_19 Depth=1
	ds_load_b32 v52, v34
.LBB133_33:                             ;   in Loop: Header=BB133_19 Depth=1
	s_or_b32 exec_lo, exec_lo, s13
	s_waitcnt lgkmcnt(0)
	v_add_nc_u32_e32 v3, v52, v3
	s_add_i32 s14, s14, 8
	s_delay_alu instid0(SALU_CYCLE_1) | instskip(SKIP_3) | instid1(VALU_DEP_1)
	s_cmp_ge_u32 s14, s17
	ds_bpermute_b32 v3, v32, v3
	s_waitcnt lgkmcnt(0)
	v_cndmask_b32_e64 v3, v3, v52, s8
	v_cndmask_b32_e64 v3, v3, 0, s9
	s_delay_alu instid0(VALU_DEP_1) | instskip(NEXT) | instid1(VALU_DEP_1)
	v_add_nc_u32_e32 v4, v3, v4
	v_add_nc_u32_e32 v5, v4, v5
	s_delay_alu instid0(VALU_DEP_1) | instskip(NEXT) | instid1(VALU_DEP_1)
	v_add_nc_u32_e32 v6, v5, v6
	v_add_nc_u32_e32 v52, v6, v7
	;; [unrolled: 3-line block ×3, first 2 shown]
	s_delay_alu instid0(VALU_DEP_1)
	v_add_nc_u32_e32 v1, v0, v2
	ds_store_2addr_b64 v28, v[3:4], v[5:6] offset0:4 offset1:5
	ds_store_2addr_b64 v29, v[52:53], v[0:1] offset0:2 offset1:3
	s_waitcnt lgkmcnt(0)
	s_barrier
	buffer_gl0_inv
	ds_load_b32 v0, v22
	ds_load_b32 v1, v25
	;; [unrolled: 1-line block ×4, first 2 shown]
	s_waitcnt lgkmcnt(0)
	v_add_nc_u32_e32 v48, v0, v21
	v_add3_u32 v7, v24, v23, v1
	v_add3_u32 v4, v47, v26, v2
	;; [unrolled: 1-line block ×3, first 2 shown]
	s_delay_alu instid0(VALU_DEP_4) | instskip(NEXT) | instid1(VALU_DEP_4)
	v_lshlrev_b32_e32 v52, 2, v48
	v_lshlrev_b32_e32 v51, 2, v7
	s_delay_alu instid0(VALU_DEP_4) | instskip(NEXT) | instid1(VALU_DEP_4)
	v_lshlrev_b32_e32 v50, 2, v4
	v_lshlrev_b32_e32 v49, 2, v3
	s_cbranch_scc0 .LBB133_18
; %bb.34:
                                        ; implicit-def: $vgpr2
                                        ; implicit-def: $vgpr1
                                        ; implicit-def: $vgpr0
                                        ; implicit-def: $vgpr47
                                        ; implicit-def: $sgpr14
                                        ; implicit-def: $vgpr5_vgpr6
                                        ; implicit-def: $vgpr21_vgpr22
                                        ; implicit-def: $vgpr23_vgpr24
                                        ; implicit-def: $vgpr25_vgpr26
.LBB133_35:
	v_add_nc_u32_e32 v0, v28, v31
	s_barrier
	buffer_gl0_inv
	ds_store_b32 v52, v43
	ds_store_b32 v51, v46
	;; [unrolled: 1-line block ×4, first 2 shown]
	s_waitcnt lgkmcnt(0)
	s_barrier
	buffer_gl0_inv
	ds_load_b32 v11, v0
	ds_load_2addr_stride64_b32 v[9:10], v27 offset0:4 offset1:8
	ds_load_b32 v12, v27 offset:3072
	v_lshl_add_u32 v0, v48, 2, v52
	v_lshl_add_u32 v3, v3, 2, v49
	v_lshl_add_u32 v1, v7, 2, v51
	v_lshl_add_u32 v2, v4, 2, v50
	s_waitcnt lgkmcnt(0)
	s_barrier
	buffer_gl0_inv
	ds_store_b64 v0, v[19:20]
	ds_store_b64 v1, v[17:18]
	;; [unrolled: 1-line block ×3, first 2 shown]
	v_add_nc_u32_e32 v0, v27, v27
	ds_store_b64 v3, v[13:14]
	s_waitcnt lgkmcnt(0)
	s_barrier
	buffer_gl0_inv
	ds_load_2addr_stride64_b64 v[4:7], v0 offset1:4
	ds_load_2addr_stride64_b64 v[0:3], v0 offset0:8 offset1:12
	s_add_u32 s0, s18, s26
	s_addc_u32 s1, s19, s27
	s_mov_b32 s2, 0
	v_cmp_lt_i32_e32 vcc_lo, -1, v11
	v_cndmask_b32_e64 v13, 0x80000000, -1, vcc_lo
	v_cmp_lt_i32_e32 vcc_lo, -1, v9
	s_delay_alu instid0(VALU_DEP_2) | instskip(SKIP_3) | instid1(VALU_DEP_3)
	v_xor_b32_e32 v15, v13, v11
	v_cndmask_b32_e64 v14, 0x80000000, -1, vcc_lo
	v_cmp_lt_i32_e32 vcc_lo, -1, v10
	v_lshlrev_b32_e32 v11, 3, v8
	v_xor_b32_e32 v14, v14, v9
	v_cndmask_b32_e64 v16, 0x80000000, -1, vcc_lo
	v_cmp_lt_i32_e32 vcc_lo, -1, v12
	v_add_co_u32 v9, s0, s0, v27
	s_delay_alu instid0(VALU_DEP_3) | instskip(SKIP_4) | instid1(VALU_DEP_2)
	v_xor_b32_e32 v13, v16, v10
	v_cndmask_b32_e64 v17, 0x80000000, -1, vcc_lo
	v_add_co_ci_u32_e64 v10, null, s1, 0, s0
	s_mov_b32 s0, -1
	s_and_not1_b32 vcc_lo, exec_lo, s28
	v_xor_b32_e32 v12, v17, v12
	s_cbranch_vccz .LBB133_39
; %bb.36:
	s_and_not1_b32 vcc_lo, exec_lo, s0
	s_cbranch_vccz .LBB133_40
.LBB133_37:
	s_and_saveexec_b32 s0, s2
	s_cbranch_execnz .LBB133_53
.LBB133_38:
	s_nop 0
	s_sendmsg sendmsg(MSG_DEALLOC_VGPRS)
	s_endpgm
.LBB133_39:
	s_lshl_b64 s[0:1], s[24:25], 3
	s_mov_b32 s2, -1
	s_add_u32 s4, s22, s0
	s_addc_u32 s5, s23, s1
	v_add_co_u32 v16, s0, s4, v11
	s_delay_alu instid0(VALU_DEP_1) | instskip(NEXT) | instid1(VALU_DEP_2)
	v_add_co_ci_u32_e64 v17, null, s5, 0, s0
	v_add_co_u32 v16, vcc_lo, 0x1000, v16
	s_delay_alu instid0(VALU_DEP_2)
	v_add_co_ci_u32_e32 v17, vcc_lo, 0, v17, vcc_lo
	s_clause 0x3
	global_store_b32 v[9:10], v15, off
	global_store_b32 v[9:10], v14, off offset:1024
	global_store_b32 v[9:10], v13, off offset:2048
	;; [unrolled: 1-line block ×3, first 2 shown]
	s_waitcnt lgkmcnt(1)
	s_clause 0x1
	global_store_b64 v11, v[6:7], s[4:5] offset:2048
	global_store_b64 v11, v[4:5], s[4:5]
	s_waitcnt lgkmcnt(0)
	global_store_b64 v[16:17], v[0:1], off
	s_cbranch_execnz .LBB133_37
.LBB133_40:
	v_cmp_gt_u32_e32 vcc_lo, s16, v8
	s_and_saveexec_b32 s0, vcc_lo
	s_cbranch_execz .LBB133_42
; %bb.41:
	global_store_b32 v[9:10], v15, off
.LBB133_42:
	s_or_b32 exec_lo, exec_lo, s0
	v_add_nc_u32_e32 v15, 0x100, v8
	s_delay_alu instid0(VALU_DEP_1) | instskip(NEXT) | instid1(VALU_DEP_1)
	v_cmp_gt_u32_e64 s0, s16, v15
	s_and_saveexec_b32 s1, s0
	s_cbranch_execz .LBB133_44
; %bb.43:
	global_store_b32 v[9:10], v14, off offset:1024
.LBB133_44:
	s_or_b32 exec_lo, exec_lo, s1
	v_add_nc_u32_e32 v14, 0x200, v8
	s_delay_alu instid0(VALU_DEP_1) | instskip(NEXT) | instid1(VALU_DEP_1)
	v_cmp_gt_u32_e64 s1, s16, v14
	s_and_saveexec_b32 s2, s1
	s_cbranch_execz .LBB133_46
; %bb.45:
	global_store_b32 v[9:10], v13, off offset:2048
.LBB133_46:
	s_or_b32 exec_lo, exec_lo, s2
	v_add_nc_u32_e32 v8, 0x300, v8
	s_delay_alu instid0(VALU_DEP_1) | instskip(NEXT) | instid1(VALU_DEP_1)
	v_cmp_gt_u32_e64 s2, s16, v8
	s_and_saveexec_b32 s3, s2
	s_cbranch_execz .LBB133_48
; %bb.47:
	global_store_b32 v[9:10], v12, off offset:3072
.LBB133_48:
	s_or_b32 exec_lo, exec_lo, s3
	s_lshl_b64 s[4:5], s[24:25], 3
	s_delay_alu instid0(SALU_CYCLE_1) | instskip(SKIP_2) | instid1(VALU_DEP_1)
	s_add_u32 s3, s22, s4
	s_addc_u32 s4, s23, s5
	v_add_co_u32 v8, s3, s3, v11
	v_add_co_ci_u32_e64 v9, null, s4, 0, s3
	s_and_saveexec_b32 s3, vcc_lo
	s_cbranch_execnz .LBB133_57
; %bb.49:
	s_or_b32 exec_lo, exec_lo, s3
	s_and_saveexec_b32 s3, s0
	s_cbranch_execnz .LBB133_58
.LBB133_50:
	s_or_b32 exec_lo, exec_lo, s3
	s_and_saveexec_b32 s0, s1
	s_cbranch_execz .LBB133_52
.LBB133_51:
	s_waitcnt lgkmcnt(1)
	v_add_co_u32 v4, vcc_lo, 0x1000, v8
	v_add_co_ci_u32_e32 v5, vcc_lo, 0, v9, vcc_lo
	s_waitcnt lgkmcnt(0)
	global_store_b64 v[4:5], v[0:1], off
.LBB133_52:
	s_or_b32 exec_lo, exec_lo, s0
	s_and_saveexec_b32 s0, s2
	s_cbranch_execz .LBB133_38
.LBB133_53:
	s_lshl_b64 s[0:1], s[24:25], 3
	s_delay_alu instid0(SALU_CYCLE_1) | instskip(SKIP_3) | instid1(VALU_DEP_1)
	s_add_u32 s0, s22, s0
	s_addc_u32 s1, s23, s1
	s_waitcnt lgkmcnt(0)
	v_add_co_u32 v0, s0, s0, v11
	v_add_co_ci_u32_e64 v1, null, s1, 0, s0
	s_delay_alu instid0(VALU_DEP_2) | instskip(NEXT) | instid1(VALU_DEP_2)
	v_add_co_u32 v0, vcc_lo, 0x1000, v0
	v_add_co_ci_u32_e32 v1, vcc_lo, 0, v1, vcc_lo
	global_store_b64 v[0:1], v[2:3], off offset:2048
	s_nop 0
	s_sendmsg sendmsg(MSG_DEALLOC_VGPRS)
	s_endpgm
.LBB133_54:
	global_load_b64 v[5:6], v[9:10], off
	s_or_b32 exec_lo, exec_lo, s5
                                        ; implicit-def: $vgpr21_vgpr22
	s_and_saveexec_b32 s5, s2
	s_cbranch_execz .LBB133_13
.LBB133_55:
	global_load_b64 v[21:22], v[9:10], off offset:256
	s_or_b32 exec_lo, exec_lo, s5
                                        ; implicit-def: $vgpr23_vgpr24
	s_and_saveexec_b32 s2, s3
	s_cbranch_execz .LBB133_14
.LBB133_56:
	global_load_b64 v[23:24], v[9:10], off offset:512
	s_or_b32 exec_lo, exec_lo, s2
                                        ; implicit-def: $vgpr25_vgpr26
	s_and_saveexec_b32 s2, s4
	s_cbranch_execnz .LBB133_15
	s_branch .LBB133_16
.LBB133_57:
	s_waitcnt lgkmcnt(1)
	global_store_b64 v[8:9], v[4:5], off
	s_or_b32 exec_lo, exec_lo, s3
	s_and_saveexec_b32 s3, s0
	s_cbranch_execz .LBB133_50
.LBB133_58:
	s_waitcnt lgkmcnt(1)
	global_store_b64 v[8:9], v[6:7], off offset:2048
	s_or_b32 exec_lo, exec_lo, s3
	s_and_saveexec_b32 s0, s1
	s_cbranch_execnz .LBB133_51
	s_branch .LBB133_52
	.section	.rodata,"a",@progbits
	.p2align	6, 0x0
	.amdhsa_kernel _ZN7rocprim17ROCPRIM_304000_NS6detail28radix_sort_block_sort_kernelINS1_36wrapped_radix_sort_block_sort_configINS0_13kernel_configILj256ELj4ELj4294967295EEEfN2at4cuda3cub6detail10OpaqueTypeILi8EEEEELb0EPKfPfPKSB_PSB_NS0_19identity_decomposerEEEvT1_T2_T3_T4_jT5_jj
		.amdhsa_group_segment_fixed_size 8224
		.amdhsa_private_segment_fixed_size 0
		.amdhsa_kernarg_size 304
		.amdhsa_user_sgpr_count 15
		.amdhsa_user_sgpr_dispatch_ptr 0
		.amdhsa_user_sgpr_queue_ptr 0
		.amdhsa_user_sgpr_kernarg_segment_ptr 1
		.amdhsa_user_sgpr_dispatch_id 0
		.amdhsa_user_sgpr_private_segment_size 0
		.amdhsa_wavefront_size32 1
		.amdhsa_uses_dynamic_stack 0
		.amdhsa_enable_private_segment 0
		.amdhsa_system_sgpr_workgroup_id_x 1
		.amdhsa_system_sgpr_workgroup_id_y 0
		.amdhsa_system_sgpr_workgroup_id_z 0
		.amdhsa_system_sgpr_workgroup_info 0
		.amdhsa_system_vgpr_workitem_id 2
		.amdhsa_next_free_vgpr 55
		.amdhsa_next_free_sgpr 32
		.amdhsa_reserve_vcc 1
		.amdhsa_float_round_mode_32 0
		.amdhsa_float_round_mode_16_64 0
		.amdhsa_float_denorm_mode_32 3
		.amdhsa_float_denorm_mode_16_64 3
		.amdhsa_dx10_clamp 1
		.amdhsa_ieee_mode 1
		.amdhsa_fp16_overflow 0
		.amdhsa_workgroup_processor_mode 1
		.amdhsa_memory_ordered 1
		.amdhsa_forward_progress 0
		.amdhsa_shared_vgpr_count 0
		.amdhsa_exception_fp_ieee_invalid_op 0
		.amdhsa_exception_fp_denorm_src 0
		.amdhsa_exception_fp_ieee_div_zero 0
		.amdhsa_exception_fp_ieee_overflow 0
		.amdhsa_exception_fp_ieee_underflow 0
		.amdhsa_exception_fp_ieee_inexact 0
		.amdhsa_exception_int_div_zero 0
	.end_amdhsa_kernel
	.section	.text._ZN7rocprim17ROCPRIM_304000_NS6detail28radix_sort_block_sort_kernelINS1_36wrapped_radix_sort_block_sort_configINS0_13kernel_configILj256ELj4ELj4294967295EEEfN2at4cuda3cub6detail10OpaqueTypeILi8EEEEELb0EPKfPfPKSB_PSB_NS0_19identity_decomposerEEEvT1_T2_T3_T4_jT5_jj,"axG",@progbits,_ZN7rocprim17ROCPRIM_304000_NS6detail28radix_sort_block_sort_kernelINS1_36wrapped_radix_sort_block_sort_configINS0_13kernel_configILj256ELj4ELj4294967295EEEfN2at4cuda3cub6detail10OpaqueTypeILi8EEEEELb0EPKfPfPKSB_PSB_NS0_19identity_decomposerEEEvT1_T2_T3_T4_jT5_jj,comdat
.Lfunc_end133:
	.size	_ZN7rocprim17ROCPRIM_304000_NS6detail28radix_sort_block_sort_kernelINS1_36wrapped_radix_sort_block_sort_configINS0_13kernel_configILj256ELj4ELj4294967295EEEfN2at4cuda3cub6detail10OpaqueTypeILi8EEEEELb0EPKfPfPKSB_PSB_NS0_19identity_decomposerEEEvT1_T2_T3_T4_jT5_jj, .Lfunc_end133-_ZN7rocprim17ROCPRIM_304000_NS6detail28radix_sort_block_sort_kernelINS1_36wrapped_radix_sort_block_sort_configINS0_13kernel_configILj256ELj4ELj4294967295EEEfN2at4cuda3cub6detail10OpaqueTypeILi8EEEEELb0EPKfPfPKSB_PSB_NS0_19identity_decomposerEEEvT1_T2_T3_T4_jT5_jj
                                        ; -- End function
	.section	.AMDGPU.csdata,"",@progbits
; Kernel info:
; codeLenInByte = 4336
; NumSgprs: 34
; NumVgprs: 55
; ScratchSize: 0
; MemoryBound: 0
; FloatMode: 240
; IeeeMode: 1
; LDSByteSize: 8224 bytes/workgroup (compile time only)
; SGPRBlocks: 4
; VGPRBlocks: 6
; NumSGPRsForWavesPerEU: 34
; NumVGPRsForWavesPerEU: 55
; Occupancy: 16
; WaveLimiterHint : 1
; COMPUTE_PGM_RSRC2:SCRATCH_EN: 0
; COMPUTE_PGM_RSRC2:USER_SGPR: 15
; COMPUTE_PGM_RSRC2:TRAP_HANDLER: 0
; COMPUTE_PGM_RSRC2:TGID_X_EN: 1
; COMPUTE_PGM_RSRC2:TGID_Y_EN: 0
; COMPUTE_PGM_RSRC2:TGID_Z_EN: 0
; COMPUTE_PGM_RSRC2:TIDIG_COMP_CNT: 2
	.section	.text._ZN7rocprim17ROCPRIM_304000_NS6detail45device_block_merge_mergepath_partition_kernelINS1_37wrapped_merge_sort_block_merge_configINS0_14default_configEfN2at4cuda3cub6detail10OpaqueTypeILi8EEEEEPfjNS1_19radix_merge_compareILb0ELb0EfNS0_19identity_decomposerEEEEEvT0_T1_jPSH_T2_SH_,"axG",@progbits,_ZN7rocprim17ROCPRIM_304000_NS6detail45device_block_merge_mergepath_partition_kernelINS1_37wrapped_merge_sort_block_merge_configINS0_14default_configEfN2at4cuda3cub6detail10OpaqueTypeILi8EEEEEPfjNS1_19radix_merge_compareILb0ELb0EfNS0_19identity_decomposerEEEEEvT0_T1_jPSH_T2_SH_,comdat
	.protected	_ZN7rocprim17ROCPRIM_304000_NS6detail45device_block_merge_mergepath_partition_kernelINS1_37wrapped_merge_sort_block_merge_configINS0_14default_configEfN2at4cuda3cub6detail10OpaqueTypeILi8EEEEEPfjNS1_19radix_merge_compareILb0ELb0EfNS0_19identity_decomposerEEEEEvT0_T1_jPSH_T2_SH_ ; -- Begin function _ZN7rocprim17ROCPRIM_304000_NS6detail45device_block_merge_mergepath_partition_kernelINS1_37wrapped_merge_sort_block_merge_configINS0_14default_configEfN2at4cuda3cub6detail10OpaqueTypeILi8EEEEEPfjNS1_19radix_merge_compareILb0ELb0EfNS0_19identity_decomposerEEEEEvT0_T1_jPSH_T2_SH_
	.globl	_ZN7rocprim17ROCPRIM_304000_NS6detail45device_block_merge_mergepath_partition_kernelINS1_37wrapped_merge_sort_block_merge_configINS0_14default_configEfN2at4cuda3cub6detail10OpaqueTypeILi8EEEEEPfjNS1_19radix_merge_compareILb0ELb0EfNS0_19identity_decomposerEEEEEvT0_T1_jPSH_T2_SH_
	.p2align	8
	.type	_ZN7rocprim17ROCPRIM_304000_NS6detail45device_block_merge_mergepath_partition_kernelINS1_37wrapped_merge_sort_block_merge_configINS0_14default_configEfN2at4cuda3cub6detail10OpaqueTypeILi8EEEEEPfjNS1_19radix_merge_compareILb0ELb0EfNS0_19identity_decomposerEEEEEvT0_T1_jPSH_T2_SH_,@function
_ZN7rocprim17ROCPRIM_304000_NS6detail45device_block_merge_mergepath_partition_kernelINS1_37wrapped_merge_sort_block_merge_configINS0_14default_configEfN2at4cuda3cub6detail10OpaqueTypeILi8EEEEEPfjNS1_19radix_merge_compareILb0ELb0EfNS0_19identity_decomposerEEEEEvT0_T1_jPSH_T2_SH_: ; @_ZN7rocprim17ROCPRIM_304000_NS6detail45device_block_merge_mergepath_partition_kernelINS1_37wrapped_merge_sort_block_merge_configINS0_14default_configEfN2at4cuda3cub6detail10OpaqueTypeILi8EEEEEPfjNS1_19radix_merge_compareILb0ELb0EfNS0_19identity_decomposerEEEEEvT0_T1_jPSH_T2_SH_
; %bb.0:
	s_load_b64 s[2:3], s[0:1], 0x8
	v_lshl_or_b32 v0, s15, 7, v0
	s_waitcnt lgkmcnt(0)
	s_delay_alu instid0(VALU_DEP_1)
	v_cmp_gt_u32_e32 vcc_lo, s3, v0
	s_and_saveexec_b32 s3, vcc_lo
	s_cbranch_execz .LBB134_6
; %bb.1:
	s_load_b32 s3, s[0:1], 0x1c
	s_waitcnt lgkmcnt(0)
	s_lshr_b32 s4, s3, 9
	s_delay_alu instid0(SALU_CYCLE_1) | instskip(NEXT) | instid1(SALU_CYCLE_1)
	s_and_b32 s4, s4, 0x7ffffe
	s_sub_i32 s5, 0, s4
	s_add_i32 s4, s4, -1
	v_and_b32_e32 v1, s5, v0
	v_and_b32_e32 v5, s4, v0
	s_delay_alu instid0(VALU_DEP_2) | instskip(NEXT) | instid1(VALU_DEP_1)
	v_lshlrev_b32_e32 v1, 10, v1
	v_add_nc_u32_e32 v2, s3, v1
	s_delay_alu instid0(VALU_DEP_1) | instskip(SKIP_1) | instid1(VALU_DEP_2)
	v_min_u32_e32 v4, s2, v2
	v_min_u32_e32 v2, s2, v1
	v_add_nc_u32_e32 v3, s3, v4
	s_mov_b32 s3, 0
	s_delay_alu instid0(VALU_DEP_1) | instskip(SKIP_2) | instid1(VALU_DEP_2)
	v_min_u32_e32 v1, s2, v3
	v_lshlrev_b32_e32 v3, 10, v5
	s_mov_b32 s2, exec_lo
	v_sub_nc_u32_e32 v5, v1, v2
	v_sub_nc_u32_e32 v6, v1, v4
	s_delay_alu instid0(VALU_DEP_2) | instskip(SKIP_1) | instid1(VALU_DEP_2)
	v_min_u32_e32 v1, v5, v3
	v_sub_nc_u32_e32 v3, v4, v2
	v_sub_nc_u32_e64 v6, v1, v6 clamp
	s_delay_alu instid0(VALU_DEP_2) | instskip(NEXT) | instid1(VALU_DEP_1)
	v_min_u32_e32 v7, v1, v3
	v_cmpx_lt_u32_e64 v6, v7
	s_cbranch_execz .LBB134_5
; %bb.2:
	s_load_b64 s[4:5], s[0:1], 0x0
	v_mov_b32_e32 v5, 0
	s_delay_alu instid0(VALU_DEP_1) | instskip(SKIP_1) | instid1(VALU_DEP_2)
	v_mov_b32_e32 v3, v5
	v_lshlrev_b64 v[10:11], 2, v[4:5]
	v_lshlrev_b64 v[8:9], 2, v[2:3]
	s_waitcnt lgkmcnt(0)
	s_delay_alu instid0(VALU_DEP_1) | instskip(NEXT) | instid1(VALU_DEP_2)
	v_add_co_u32 v3, vcc_lo, s4, v8
	v_add_co_ci_u32_e32 v8, vcc_lo, s5, v9, vcc_lo
	s_delay_alu instid0(VALU_DEP_4)
	v_add_co_u32 v9, vcc_lo, s4, v10
	v_add_co_ci_u32_e32 v10, vcc_lo, s5, v11, vcc_lo
	s_set_inst_prefetch_distance 0x1
	.p2align	6
.LBB134_3:                              ; =>This Inner Loop Header: Depth=1
	v_add_nc_u32_e32 v4, v7, v6
	s_delay_alu instid0(VALU_DEP_1) | instskip(SKIP_1) | instid1(VALU_DEP_2)
	v_lshrrev_b32_e32 v4, 1, v4
	v_mov_b32_e32 v12, v5
	v_xad_u32 v11, v4, -1, v1
	v_lshlrev_b64 v[13:14], 2, v[4:5]
	s_delay_alu instid0(VALU_DEP_2) | instskip(NEXT) | instid1(VALU_DEP_2)
	v_lshlrev_b64 v[11:12], 2, v[11:12]
	v_add_co_u32 v13, vcc_lo, v3, v13
	s_delay_alu instid0(VALU_DEP_3) | instskip(NEXT) | instid1(VALU_DEP_3)
	v_add_co_ci_u32_e32 v14, vcc_lo, v8, v14, vcc_lo
	v_add_co_u32 v11, vcc_lo, v9, v11
	s_delay_alu instid0(VALU_DEP_4)
	v_add_co_ci_u32_e32 v12, vcc_lo, v10, v12, vcc_lo
	s_clause 0x1
	global_load_b32 v13, v[13:14], off
	global_load_b32 v11, v[11:12], off
	s_waitcnt vmcnt(1)
	v_cmp_ne_u32_e32 vcc_lo, 0x80000000, v13
	v_cndmask_b32_e32 v12, 0, v13, vcc_lo
	s_waitcnt vmcnt(0)
	v_cmp_ne_u32_e32 vcc_lo, 0x80000000, v11
	v_cndmask_b32_e32 v11, 0, v11, vcc_lo
	s_delay_alu instid0(VALU_DEP_3) | instskip(SKIP_1) | instid1(VALU_DEP_3)
	v_cmp_lt_i32_e32 vcc_lo, -1, v12
	v_cndmask_b32_e64 v13, -1, 0x80000000, vcc_lo
	v_cmp_lt_i32_e32 vcc_lo, -1, v11
	s_delay_alu instid0(VALU_DEP_2) | instskip(SKIP_2) | instid1(VALU_DEP_2)
	v_xor_b32_e32 v12, v13, v12
	v_cndmask_b32_e64 v14, -1, 0x80000000, vcc_lo
	v_add_nc_u32_e32 v13, 1, v4
	v_xor_b32_e32 v11, v14, v11
	s_delay_alu instid0(VALU_DEP_1) | instskip(NEXT) | instid1(VALU_DEP_3)
	v_cmp_gt_u32_e32 vcc_lo, v12, v11
	v_dual_cndmask_b32 v7, v7, v4 :: v_dual_cndmask_b32 v6, v13, v6
	s_delay_alu instid0(VALU_DEP_1) | instskip(SKIP_1) | instid1(SALU_CYCLE_1)
	v_cmp_ge_u32_e32 vcc_lo, v6, v7
	s_or_b32 s3, vcc_lo, s3
	s_and_not1_b32 exec_lo, exec_lo, s3
	s_cbranch_execnz .LBB134_3
; %bb.4:
	s_set_inst_prefetch_distance 0x2
	s_or_b32 exec_lo, exec_lo, s3
.LBB134_5:
	s_delay_alu instid0(SALU_CYCLE_1) | instskip(SKIP_2) | instid1(VALU_DEP_1)
	s_or_b32 exec_lo, exec_lo, s2
	s_load_b64 s[0:1], s[0:1], 0x10
	v_dual_mov_b32 v1, 0 :: v_dual_add_nc_u32 v2, v6, v2
	v_lshlrev_b64 v[0:1], 2, v[0:1]
	s_waitcnt lgkmcnt(0)
	s_delay_alu instid0(VALU_DEP_1) | instskip(NEXT) | instid1(VALU_DEP_2)
	v_add_co_u32 v0, vcc_lo, s0, v0
	v_add_co_ci_u32_e32 v1, vcc_lo, s1, v1, vcc_lo
	global_store_b32 v[0:1], v2, off
.LBB134_6:
	s_nop 0
	s_sendmsg sendmsg(MSG_DEALLOC_VGPRS)
	s_endpgm
	.section	.rodata,"a",@progbits
	.p2align	6, 0x0
	.amdhsa_kernel _ZN7rocprim17ROCPRIM_304000_NS6detail45device_block_merge_mergepath_partition_kernelINS1_37wrapped_merge_sort_block_merge_configINS0_14default_configEfN2at4cuda3cub6detail10OpaqueTypeILi8EEEEEPfjNS1_19radix_merge_compareILb0ELb0EfNS0_19identity_decomposerEEEEEvT0_T1_jPSH_T2_SH_
		.amdhsa_group_segment_fixed_size 0
		.amdhsa_private_segment_fixed_size 0
		.amdhsa_kernarg_size 32
		.amdhsa_user_sgpr_count 15
		.amdhsa_user_sgpr_dispatch_ptr 0
		.amdhsa_user_sgpr_queue_ptr 0
		.amdhsa_user_sgpr_kernarg_segment_ptr 1
		.amdhsa_user_sgpr_dispatch_id 0
		.amdhsa_user_sgpr_private_segment_size 0
		.amdhsa_wavefront_size32 1
		.amdhsa_uses_dynamic_stack 0
		.amdhsa_enable_private_segment 0
		.amdhsa_system_sgpr_workgroup_id_x 1
		.amdhsa_system_sgpr_workgroup_id_y 0
		.amdhsa_system_sgpr_workgroup_id_z 0
		.amdhsa_system_sgpr_workgroup_info 0
		.amdhsa_system_vgpr_workitem_id 0
		.amdhsa_next_free_vgpr 15
		.amdhsa_next_free_sgpr 16
		.amdhsa_reserve_vcc 1
		.amdhsa_float_round_mode_32 0
		.amdhsa_float_round_mode_16_64 0
		.amdhsa_float_denorm_mode_32 3
		.amdhsa_float_denorm_mode_16_64 3
		.amdhsa_dx10_clamp 1
		.amdhsa_ieee_mode 1
		.amdhsa_fp16_overflow 0
		.amdhsa_workgroup_processor_mode 1
		.amdhsa_memory_ordered 1
		.amdhsa_forward_progress 0
		.amdhsa_shared_vgpr_count 0
		.amdhsa_exception_fp_ieee_invalid_op 0
		.amdhsa_exception_fp_denorm_src 0
		.amdhsa_exception_fp_ieee_div_zero 0
		.amdhsa_exception_fp_ieee_overflow 0
		.amdhsa_exception_fp_ieee_underflow 0
		.amdhsa_exception_fp_ieee_inexact 0
		.amdhsa_exception_int_div_zero 0
	.end_amdhsa_kernel
	.section	.text._ZN7rocprim17ROCPRIM_304000_NS6detail45device_block_merge_mergepath_partition_kernelINS1_37wrapped_merge_sort_block_merge_configINS0_14default_configEfN2at4cuda3cub6detail10OpaqueTypeILi8EEEEEPfjNS1_19radix_merge_compareILb0ELb0EfNS0_19identity_decomposerEEEEEvT0_T1_jPSH_T2_SH_,"axG",@progbits,_ZN7rocprim17ROCPRIM_304000_NS6detail45device_block_merge_mergepath_partition_kernelINS1_37wrapped_merge_sort_block_merge_configINS0_14default_configEfN2at4cuda3cub6detail10OpaqueTypeILi8EEEEEPfjNS1_19radix_merge_compareILb0ELb0EfNS0_19identity_decomposerEEEEEvT0_T1_jPSH_T2_SH_,comdat
.Lfunc_end134:
	.size	_ZN7rocprim17ROCPRIM_304000_NS6detail45device_block_merge_mergepath_partition_kernelINS1_37wrapped_merge_sort_block_merge_configINS0_14default_configEfN2at4cuda3cub6detail10OpaqueTypeILi8EEEEEPfjNS1_19radix_merge_compareILb0ELb0EfNS0_19identity_decomposerEEEEEvT0_T1_jPSH_T2_SH_, .Lfunc_end134-_ZN7rocprim17ROCPRIM_304000_NS6detail45device_block_merge_mergepath_partition_kernelINS1_37wrapped_merge_sort_block_merge_configINS0_14default_configEfN2at4cuda3cub6detail10OpaqueTypeILi8EEEEEPfjNS1_19radix_merge_compareILb0ELb0EfNS0_19identity_decomposerEEEEEvT0_T1_jPSH_T2_SH_
                                        ; -- End function
	.section	.AMDGPU.csdata,"",@progbits
; Kernel info:
; codeLenInByte = 548
; NumSgprs: 18
; NumVgprs: 15
; ScratchSize: 0
; MemoryBound: 0
; FloatMode: 240
; IeeeMode: 1
; LDSByteSize: 0 bytes/workgroup (compile time only)
; SGPRBlocks: 2
; VGPRBlocks: 1
; NumSGPRsForWavesPerEU: 18
; NumVGPRsForWavesPerEU: 15
; Occupancy: 16
; WaveLimiterHint : 0
; COMPUTE_PGM_RSRC2:SCRATCH_EN: 0
; COMPUTE_PGM_RSRC2:USER_SGPR: 15
; COMPUTE_PGM_RSRC2:TRAP_HANDLER: 0
; COMPUTE_PGM_RSRC2:TGID_X_EN: 1
; COMPUTE_PGM_RSRC2:TGID_Y_EN: 0
; COMPUTE_PGM_RSRC2:TGID_Z_EN: 0
; COMPUTE_PGM_RSRC2:TIDIG_COMP_CNT: 0
	.section	.text._ZN7rocprim17ROCPRIM_304000_NS6detail35device_block_merge_mergepath_kernelINS1_37wrapped_merge_sort_block_merge_configINS0_14default_configEfN2at4cuda3cub6detail10OpaqueTypeILi8EEEEEPfSC_PSA_SD_jNS1_19radix_merge_compareILb0ELb0EfNS0_19identity_decomposerEEEEEvT0_T1_T2_T3_T4_SL_jT5_PKSL_NS1_7vsmem_tE,"axG",@progbits,_ZN7rocprim17ROCPRIM_304000_NS6detail35device_block_merge_mergepath_kernelINS1_37wrapped_merge_sort_block_merge_configINS0_14default_configEfN2at4cuda3cub6detail10OpaqueTypeILi8EEEEEPfSC_PSA_SD_jNS1_19radix_merge_compareILb0ELb0EfNS0_19identity_decomposerEEEEEvT0_T1_T2_T3_T4_SL_jT5_PKSL_NS1_7vsmem_tE,comdat
	.protected	_ZN7rocprim17ROCPRIM_304000_NS6detail35device_block_merge_mergepath_kernelINS1_37wrapped_merge_sort_block_merge_configINS0_14default_configEfN2at4cuda3cub6detail10OpaqueTypeILi8EEEEEPfSC_PSA_SD_jNS1_19radix_merge_compareILb0ELb0EfNS0_19identity_decomposerEEEEEvT0_T1_T2_T3_T4_SL_jT5_PKSL_NS1_7vsmem_tE ; -- Begin function _ZN7rocprim17ROCPRIM_304000_NS6detail35device_block_merge_mergepath_kernelINS1_37wrapped_merge_sort_block_merge_configINS0_14default_configEfN2at4cuda3cub6detail10OpaqueTypeILi8EEEEEPfSC_PSA_SD_jNS1_19radix_merge_compareILb0ELb0EfNS0_19identity_decomposerEEEEEvT0_T1_T2_T3_T4_SL_jT5_PKSL_NS1_7vsmem_tE
	.globl	_ZN7rocprim17ROCPRIM_304000_NS6detail35device_block_merge_mergepath_kernelINS1_37wrapped_merge_sort_block_merge_configINS0_14default_configEfN2at4cuda3cub6detail10OpaqueTypeILi8EEEEEPfSC_PSA_SD_jNS1_19radix_merge_compareILb0ELb0EfNS0_19identity_decomposerEEEEEvT0_T1_T2_T3_T4_SL_jT5_PKSL_NS1_7vsmem_tE
	.p2align	8
	.type	_ZN7rocprim17ROCPRIM_304000_NS6detail35device_block_merge_mergepath_kernelINS1_37wrapped_merge_sort_block_merge_configINS0_14default_configEfN2at4cuda3cub6detail10OpaqueTypeILi8EEEEEPfSC_PSA_SD_jNS1_19radix_merge_compareILb0ELb0EfNS0_19identity_decomposerEEEEEvT0_T1_T2_T3_T4_SL_jT5_PKSL_NS1_7vsmem_tE,@function
_ZN7rocprim17ROCPRIM_304000_NS6detail35device_block_merge_mergepath_kernelINS1_37wrapped_merge_sort_block_merge_configINS0_14default_configEfN2at4cuda3cub6detail10OpaqueTypeILi8EEEEEPfSC_PSA_SD_jNS1_19radix_merge_compareILb0ELb0EfNS0_19identity_decomposerEEEEEvT0_T1_T2_T3_T4_SL_jT5_PKSL_NS1_7vsmem_tE: ; @_ZN7rocprim17ROCPRIM_304000_NS6detail35device_block_merge_mergepath_kernelINS1_37wrapped_merge_sort_block_merge_configINS0_14default_configEfN2at4cuda3cub6detail10OpaqueTypeILi8EEEEEPfSC_PSA_SD_jNS1_19radix_merge_compareILb0ELb0EfNS0_19identity_decomposerEEEEEvT0_T1_T2_T3_T4_SL_jT5_PKSL_NS1_7vsmem_tE
; %bb.0:
	s_clause 0x1
	s_load_b64 s[22:23], s[0:1], 0x40
	s_load_b128 s[8:11], s[0:1], 0x20
	s_add_u32 s20, s0, 64
	s_addc_u32 s21, s1, 0
	s_waitcnt lgkmcnt(0)
	s_mul_i32 s2, s23, s15
	s_delay_alu instid0(SALU_CYCLE_1) | instskip(NEXT) | instid1(SALU_CYCLE_1)
	s_add_i32 s2, s2, s14
	s_mul_i32 s2, s2, s22
	s_delay_alu instid0(SALU_CYCLE_1) | instskip(NEXT) | instid1(SALU_CYCLE_1)
	s_add_i32 s18, s2, s13
	s_cmp_ge_u32 s18, s10
	s_cbranch_scc1 .LBB135_59
; %bb.1:
	s_load_b64 s[2:3], s[0:1], 0x30
	s_lshr_b32 s28, s8, 10
	s_mov_b32 s15, 0
	s_cmp_lg_u32 s18, s28
	s_mov_b32 s19, s15
	s_cselect_b32 s12, -1, 0
	s_lshl_b64 s[4:5], s[18:19], 2
	v_mov_b32_e32 v4, 0
	s_mov_b32 s17, s15
	v_lshlrev_b32_e32 v5, 2, v0
	s_waitcnt lgkmcnt(0)
	s_add_u32 s2, s2, s4
	s_addc_u32 s3, s3, s5
	s_lshr_b32 s10, s9, 9
	s_load_b64 s[24:25], s[2:3], 0x0
	s_load_b256 s[0:7], s[0:1], 0x0
	global_load_b32 v1, v4, s[20:21] offset:14
	s_and_b32 s10, s10, 0x7ffffe
	s_delay_alu instid0(SALU_CYCLE_1)
	s_sub_i32 s11, 0, s10
	s_lshl_b32 s10, s18, 10
	s_and_b32 s14, s18, s11
	s_or_b32 s11, s18, s11
	s_lshl_b32 s16, s14, 11
	s_lshl_b32 s14, s14, 10
	s_add_i32 s16, s16, s9
	s_sub_i32 s19, s10, s14
	s_sub_i32 s14, s16, s14
	s_add_i32 s16, s16, s19
	s_min_u32 s19, s8, s14
	s_add_i32 s9, s14, s9
	s_waitcnt lgkmcnt(0)
	s_sub_i32 s14, s16, s24
	s_sub_i32 s23, s16, s25
	s_min_u32 s16, s8, s14
	s_addk_i32 s23, 0x400
	s_cmp_eq_u32 s11, -1
	s_mov_b32 s14, s24
	s_cselect_b32 s9, s9, s23
	s_cselect_b32 s11, s19, s25
	s_min_u32 s9, s9, s8
	s_lshl_b64 s[26:27], s[14:15], 2
	s_sub_i32 s11, s11, s24
	s_sub_i32 s19, s9, s16
	s_add_u32 s24, s0, s26
	s_addc_u32 s25, s1, s27
	s_lshl_b64 s[26:27], s[16:17], 2
	v_cmp_gt_u32_e32 vcc_lo, s11, v0
	s_add_u32 s23, s0, s26
	s_addc_u32 s1, s1, s27
	s_cmp_lt_u32 s13, s22
	s_cselect_b32 s0, 12, 18
	s_delay_alu instid0(SALU_CYCLE_1)
	s_add_u32 s20, s20, s0
	s_addc_u32 s21, s21, 0
	s_cmp_eq_u32 s18, s28
	s_mov_b32 s0, -1
	s_waitcnt vmcnt(0)
	v_lshrrev_b32_e32 v3, 16, v1
	v_and_b32_e32 v1, 0xffff, v1
	global_load_u16 v2, v4, s[20:21]
	v_mul_lo_u32 v1, v1, v3
	s_waitcnt vmcnt(0)
	s_delay_alu instid0(VALU_DEP_1) | instskip(NEXT) | instid1(VALU_DEP_1)
	v_mul_lo_u32 v1, v1, v2
	v_add_nc_u32_e32 v1, v1, v0
	s_cbranch_scc1 .LBB135_3
; %bb.2:
	v_subrev_nc_u32_e32 v3, s11, v0
	v_add_co_u32 v10, s0, s24, v5
	s_delay_alu instid0(VALU_DEP_1) | instskip(NEXT) | instid1(VALU_DEP_3)
	v_add_co_ci_u32_e64 v11, null, s25, 0, s0
	v_lshlrev_b64 v[6:7], 2, v[3:4]
	v_subrev_nc_u32_e32 v3, s11, v1
	s_add_i32 s9, s19, s11
	s_delay_alu instid0(VALU_DEP_2) | instskip(NEXT) | instid1(VALU_DEP_1)
	v_add_co_u32 v6, s0, s23, v6
	v_add_co_ci_u32_e64 v7, s0, s1, v7, s0
	v_mov_b32_e32 v2, v4
	s_delay_alu instid0(VALU_DEP_1) | instskip(SKIP_1) | instid1(VALU_DEP_2)
	v_lshlrev_b64 v[8:9], 2, v[1:2]
	v_lshlrev_b64 v[2:3], 2, v[3:4]
	v_add_co_u32 v4, s0, s24, v8
	s_delay_alu instid0(VALU_DEP_1) | instskip(NEXT) | instid1(VALU_DEP_3)
	v_add_co_ci_u32_e64 v8, s0, s25, v9, s0
	v_add_co_u32 v12, s0, s23, v2
	s_delay_alu instid0(VALU_DEP_1) | instskip(SKIP_3) | instid1(VALU_DEP_2)
	v_add_co_ci_u32_e64 v9, s0, s1, v3, s0
	v_cndmask_b32_e32 v3, v7, v11, vcc_lo
	v_cmp_gt_u32_e64 s0, s11, v1
	v_cndmask_b32_e32 v2, v6, v10, vcc_lo
	v_cndmask_b32_e64 v9, v9, v8, s0
	v_cndmask_b32_e64 v8, v12, v4, s0
	global_load_b32 v7, v[2:3], off
	global_load_b32 v8, v[8:9], off
	s_mov_b32 s0, s15
	s_delay_alu instid0(SALU_CYCLE_1)
	s_and_not1_b32 vcc_lo, exec_lo, s0
	s_cbranch_vccz .LBB135_4
	s_branch .LBB135_9
.LBB135_3:
                                        ; implicit-def: $vgpr8
                                        ; implicit-def: $vgpr7
                                        ; implicit-def: $sgpr9
	s_and_not1_b32 vcc_lo, exec_lo, s0
	s_cbranch_vccnz .LBB135_9
.LBB135_4:
	s_add_i32 s9, s19, s11
	s_mov_b32 s0, exec_lo
                                        ; implicit-def: $vgpr7
	v_cmpx_gt_u32_e64 s9, v0
	s_cbranch_execz .LBB135_6
; %bb.5:
	v_subrev_nc_u32_e32 v2, s11, v0
	v_add_co_u32 v4, s13, s24, v5
	v_mov_b32_e32 v3, 0
	v_add_co_ci_u32_e64 v6, null, s25, 0, s13
	s_delay_alu instid0(VALU_DEP_2) | instskip(NEXT) | instid1(VALU_DEP_1)
	v_lshlrev_b64 v[2:3], 2, v[2:3]
	v_add_co_u32 v2, vcc_lo, s23, v2
	s_delay_alu instid0(VALU_DEP_2) | instskip(SKIP_1) | instid1(VALU_DEP_2)
	v_add_co_ci_u32_e32 v3, vcc_lo, s1, v3, vcc_lo
	v_cmp_gt_u32_e32 vcc_lo, s11, v0
	v_dual_cndmask_b32 v2, v2, v4 :: v_dual_cndmask_b32 v3, v3, v6
	global_load_b32 v7, v[2:3], off
.LBB135_6:
	s_or_b32 exec_lo, exec_lo, s0
	s_delay_alu instid0(SALU_CYCLE_1)
	s_mov_b32 s13, exec_lo
                                        ; implicit-def: $vgpr8
	v_cmpx_gt_u32_e64 s9, v1
	s_cbranch_execz .LBB135_8
; %bb.7:
	v_mov_b32_e32 v2, 0
	s_delay_alu instid0(VALU_DEP_1) | instskip(NEXT) | instid1(VALU_DEP_1)
	v_lshlrev_b64 v[3:4], 2, v[1:2]
	v_add_co_u32 v3, vcc_lo, s24, v3
	s_delay_alu instid0(VALU_DEP_2) | instskip(SKIP_2) | instid1(VALU_DEP_1)
	v_add_co_ci_u32_e32 v4, vcc_lo, s25, v4, vcc_lo
	v_cmp_gt_u32_e32 vcc_lo, s11, v1
	v_subrev_nc_u32_e32 v1, s11, v1
	v_lshlrev_b64 v[1:2], 2, v[1:2]
	s_delay_alu instid0(VALU_DEP_1) | instskip(NEXT) | instid1(VALU_DEP_1)
	v_add_co_u32 v1, s0, s23, v1
	v_add_co_ci_u32_e64 v2, s0, s1, v2, s0
	s_delay_alu instid0(VALU_DEP_1)
	v_dual_cndmask_b32 v1, v1, v3 :: v_dual_cndmask_b32 v2, v2, v4
	global_load_b32 v8, v[1:2], off
.LBB135_8:
	s_or_b32 exec_lo, exec_lo, s13
.LBB135_9:
	v_lshlrev_b32_e32 v6, 1, v0
	s_mov_b32 s0, exec_lo
	s_waitcnt vmcnt(0)
	ds_store_2addr_stride64_b32 v5, v7, v8 offset1:8
	s_waitcnt lgkmcnt(0)
	s_barrier
	v_min_u32_e32 v2, s9, v6
	buffer_gl0_inv
	v_sub_nc_u32_e64 v1, v2, s19 clamp
	v_min_u32_e32 v3, s11, v2
	s_delay_alu instid0(VALU_DEP_1)
	v_cmpx_lt_u32_e64 v1, v3
	s_cbranch_execz .LBB135_13
; %bb.10:
	v_lshlrev_b32_e32 v4, 2, v2
	s_mov_b32 s1, 0
	s_delay_alu instid0(VALU_DEP_1)
	v_lshl_add_u32 v4, s11, 2, v4
	s_set_inst_prefetch_distance 0x1
	.p2align	6
.LBB135_11:                             ; =>This Inner Loop Header: Depth=1
	v_add_nc_u32_e32 v9, v3, v1
	s_delay_alu instid0(VALU_DEP_1) | instskip(NEXT) | instid1(VALU_DEP_1)
	v_lshrrev_b32_e32 v9, 1, v9
	v_not_b32_e32 v10, v9
	v_lshlrev_b32_e32 v11, 2, v9
	s_delay_alu instid0(VALU_DEP_2)
	v_lshl_add_u32 v10, v10, 2, v4
	ds_load_b32 v11, v11
	ds_load_b32 v10, v10
	s_waitcnt lgkmcnt(1)
	v_cmp_ne_u32_e32 vcc_lo, 0x80000000, v11
	v_cndmask_b32_e32 v11, 0, v11, vcc_lo
	s_waitcnt lgkmcnt(0)
	v_cmp_ne_u32_e32 vcc_lo, 0x80000000, v10
	v_cndmask_b32_e32 v10, 0, v10, vcc_lo
	s_delay_alu instid0(VALU_DEP_3) | instskip(SKIP_1) | instid1(VALU_DEP_3)
	v_cmp_lt_i32_e32 vcc_lo, -1, v11
	v_cndmask_b32_e64 v12, -1, 0x80000000, vcc_lo
	v_cmp_lt_i32_e32 vcc_lo, -1, v10
	s_delay_alu instid0(VALU_DEP_2) | instskip(SKIP_2) | instid1(VALU_DEP_1)
	v_xor_b32_e32 v11, v12, v11
	v_add_nc_u32_e32 v12, 1, v9
	v_cndmask_b32_e64 v13, -1, 0x80000000, vcc_lo
	v_xor_b32_e32 v10, v13, v10
	s_delay_alu instid0(VALU_DEP_1) | instskip(SKIP_2) | instid1(VALU_DEP_1)
	v_cmp_gt_u32_e32 vcc_lo, v11, v10
	v_cndmask_b32_e32 v3, v3, v9, vcc_lo
	v_cndmask_b32_e32 v1, v12, v1, vcc_lo
	v_cmp_ge_u32_e32 vcc_lo, v1, v3
	s_or_b32 s1, vcc_lo, s1
	s_delay_alu instid0(SALU_CYCLE_1)
	s_and_not1_b32 exec_lo, exec_lo, s1
	s_cbranch_execnz .LBB135_11
; %bb.12:
	s_set_inst_prefetch_distance 0x2
	s_or_b32 exec_lo, exec_lo, s1
.LBB135_13:
	s_delay_alu instid0(SALU_CYCLE_1) | instskip(SKIP_2) | instid1(VALU_DEP_2)
	s_or_b32 exec_lo, exec_lo, s0
	v_sub_nc_u32_e32 v2, v2, v1
	v_cmp_ge_u32_e32 vcc_lo, s11, v1
                                        ; implicit-def: $vgpr10
                                        ; implicit-def: $vgpr11
	v_add_nc_u32_e32 v4, s11, v2
	s_delay_alu instid0(VALU_DEP_1) | instskip(NEXT) | instid1(VALU_DEP_1)
	v_cmp_ge_u32_e64 s0, s9, v4
	s_or_b32 s0, vcc_lo, s0
	s_delay_alu instid0(SALU_CYCLE_1)
	s_and_saveexec_b32 s1, s0
	s_cbranch_execz .LBB135_25
; %bb.14:
	v_cmp_le_u32_e32 vcc_lo, s11, v1
	s_mov_b32 s13, exec_lo
                                        ; implicit-def: $vgpr2
	v_cmpx_gt_u32_e64 s11, v1
	s_cbranch_execz .LBB135_16
; %bb.15:
	v_lshlrev_b32_e32 v2, 2, v1
	ds_load_b32 v2, v2
.LBB135_16:
	s_or_b32 exec_lo, exec_lo, s13
	v_cmp_le_u32_e64 s13, s9, v4
	s_mov_b32 s18, exec_lo
                                        ; implicit-def: $vgpr3
	v_cmpx_gt_u32_e64 s9, v4
	s_cbranch_execz .LBB135_18
; %bb.17:
	v_lshlrev_b32_e32 v3, 2, v4
	ds_load_b32 v3, v3
.LBB135_18:
	s_or_b32 exec_lo, exec_lo, s18
	s_or_b32 s18, vcc_lo, s13
	s_mov_b32 s0, -1
	s_xor_b32 s20, s18, -1
	s_delay_alu instid0(SALU_CYCLE_1)
	s_and_saveexec_b32 s18, s20
	s_cbranch_execz .LBB135_20
; %bb.19:
	s_waitcnt lgkmcnt(0)
	v_cmp_ne_u32_e32 vcc_lo, 0x80000000, v2
	s_and_not1_b32 s13, s13, exec_lo
	v_cndmask_b32_e32 v7, 0, v2, vcc_lo
	v_cmp_ne_u32_e32 vcc_lo, 0x80000000, v3
	v_cndmask_b32_e32 v8, 0, v3, vcc_lo
	s_delay_alu instid0(VALU_DEP_3) | instskip(SKIP_1) | instid1(VALU_DEP_3)
	v_cmp_lt_i32_e32 vcc_lo, -1, v7
	v_cndmask_b32_e64 v9, -1, 0x80000000, vcc_lo
	v_cmp_lt_i32_e32 vcc_lo, -1, v8
	s_delay_alu instid0(VALU_DEP_2) | instskip(SKIP_1) | instid1(VALU_DEP_1)
	v_xor_b32_e32 v7, v9, v7
	v_cndmask_b32_e64 v10, -1, 0x80000000, vcc_lo
	v_xor_b32_e32 v8, v10, v8
	s_delay_alu instid0(VALU_DEP_1) | instskip(SKIP_1) | instid1(SALU_CYCLE_1)
	v_cmp_le_u32_e32 vcc_lo, v7, v8
	s_and_b32 s20, vcc_lo, exec_lo
	s_or_b32 s13, s13, s20
.LBB135_20:
	s_or_b32 exec_lo, exec_lo, s18
	v_cndmask_b32_e64 v11, v4, v1, s13
	v_mov_b32_e32 v7, s11
	s_mov_b32 s18, exec_lo
	s_delay_alu instid0(VALU_DEP_2) | instskip(NEXT) | instid1(VALU_DEP_2)
	v_add_nc_u32_e32 v8, 1, v11
	v_cndmask_b32_e64 v7, s9, v7, s13
	s_delay_alu instid0(VALU_DEP_2) | instskip(NEXT) | instid1(VALU_DEP_2)
	v_cndmask_b32_e64 v4, v8, v4, s13
	v_add_nc_u32_e32 v7, -1, v7
	s_delay_alu instid0(VALU_DEP_1) | instskip(SKIP_1) | instid1(VALU_DEP_2)
	v_min_u32_e32 v7, v8, v7
	v_cndmask_b32_e64 v8, v1, v8, s13
	v_lshlrev_b32_e32 v7, 2, v7
	ds_load_b32 v7, v7
	s_waitcnt lgkmcnt(0)
	v_cndmask_b32_e64 v1, v7, v3, s13
	v_cndmask_b32_e64 v9, v2, v7, s13
	v_cmpx_gt_u32_e64 s9, v4
	s_cbranch_execz .LBB135_24
; %bb.21:
	s_mov_b32 s20, 0
	s_mov_b32 s0, exec_lo
	v_cmpx_gt_u32_e64 s11, v8
	s_cbranch_execz .LBB135_23
; %bb.22:
	v_cmp_ne_u32_e32 vcc_lo, 0x80000000, v9
	v_cndmask_b32_e32 v7, 0, v9, vcc_lo
	v_cmp_ne_u32_e32 vcc_lo, 0x80000000, v1
	v_cndmask_b32_e32 v10, 0, v1, vcc_lo
	s_delay_alu instid0(VALU_DEP_3) | instskip(SKIP_1) | instid1(VALU_DEP_3)
	v_cmp_lt_i32_e32 vcc_lo, -1, v7
	v_cndmask_b32_e64 v12, -1, 0x80000000, vcc_lo
	v_cmp_lt_i32_e32 vcc_lo, -1, v10
	s_delay_alu instid0(VALU_DEP_2) | instskip(SKIP_1) | instid1(VALU_DEP_1)
	v_xor_b32_e32 v7, v12, v7
	v_cndmask_b32_e64 v13, -1, 0x80000000, vcc_lo
	v_xor_b32_e32 v10, v13, v10
	s_delay_alu instid0(VALU_DEP_1)
	v_cmp_le_u32_e32 vcc_lo, v7, v10
	s_and_b32 s20, vcc_lo, exec_lo
.LBB135_23:
	s_or_b32 exec_lo, exec_lo, s0
	s_delay_alu instid0(SALU_CYCLE_1)
	s_or_not1_b32 s0, s20, exec_lo
.LBB135_24:
	s_or_b32 exec_lo, exec_lo, s18
	v_cndmask_b32_e64 v7, v3, v2, s13
	v_cndmask_b32_e64 v10, v4, v8, s0
	;; [unrolled: 1-line block ×3, first 2 shown]
.LBB135_25:
	s_or_b32 exec_lo, exec_lo, s1
	s_lshl_b64 s[0:1], s[14:15], 3
	v_or_b32_e32 v9, 0x200, v0
	s_add_u32 s13, s4, s0
	s_addc_u32 s14, s5, s1
	s_lshl_b64 s[16:17], s[16:17], 3
	v_cmp_gt_u32_e64 s1, s11, v0
	v_cmp_le_u32_e64 s0, s11, v0
	s_add_u32 s4, s4, s16
	s_mov_b32 s15, 0
	s_addc_u32 s5, s5, s17
	s_and_not1_b32 vcc_lo, exec_lo, s12
	s_barrier
	buffer_gl0_inv
	s_cbranch_vccnz .LBB135_27
; %bb.26:
	v_subrev_nc_u32_e32 v1, s11, v0
	v_mov_b32_e32 v2, 0
	v_lshlrev_b32_e32 v14, 3, v0
	s_delay_alu instid0(VALU_DEP_2) | instskip(NEXT) | instid1(VALU_DEP_2)
	v_lshlrev_b64 v[3:4], 3, v[1:2]
	v_add_co_u32 v15, s15, s13, v14
	s_delay_alu instid0(VALU_DEP_1) | instskip(SKIP_1) | instid1(VALU_DEP_3)
	v_add_co_ci_u32_e64 v16, null, s14, 0, s15
	s_mov_b32 s15, -1
	v_add_co_u32 v1, vcc_lo, s4, v3
	s_delay_alu instid0(VALU_DEP_4) | instskip(NEXT) | instid1(VALU_DEP_1)
	v_add_co_ci_u32_e32 v3, vcc_lo, s5, v4, vcc_lo
	v_cndmask_b32_e64 v4, v3, v16, s1
	s_delay_alu instid0(VALU_DEP_3)
	v_cndmask_b32_e64 v3, v1, v15, s1
	v_subrev_nc_u32_e32 v1, s11, v9
	global_load_b64 v[12:13], v[3:4], off
	v_lshlrev_b64 v[1:2], 3, v[1:2]
	v_add_co_u32 v3, vcc_lo, 0x1000, v15
	v_add_co_ci_u32_e32 v4, vcc_lo, 0, v16, vcc_lo
	s_delay_alu instid0(VALU_DEP_3) | instskip(NEXT) | instid1(VALU_DEP_4)
	v_add_co_u32 v1, vcc_lo, s4, v1
	v_add_co_ci_u32_e32 v2, vcc_lo, s5, v2, vcc_lo
	v_cmp_gt_u32_e32 vcc_lo, s11, v9
	s_delay_alu instid0(VALU_DEP_2)
	v_dual_cndmask_b32 v1, v1, v3 :: v_dual_cndmask_b32 v2, v2, v4
	v_or_b32_e32 v4, 0x1000, v14
	s_waitcnt vmcnt(0)
	ds_store_b64 v14, v[12:13]
	s_cbranch_execz .LBB135_28
	s_branch .LBB135_39
.LBB135_27:
                                        ; implicit-def: $vgpr4
                                        ; implicit-def: $vgpr1_vgpr2
.LBB135_28:
	s_mov_b32 s1, 0
                                        ; implicit-def: $vgpr1_vgpr2
	s_and_saveexec_b32 s16, s0
	s_delay_alu instid0(SALU_CYCLE_1)
	s_xor_b32 s0, exec_lo, s16
	s_cbranch_execnz .LBB135_60
; %bb.29:
	s_and_not1_saveexec_b32 s0, s0
	s_cbranch_execnz .LBB135_63
.LBB135_30:
	s_or_b32 exec_lo, exec_lo, s0
	v_lshl_add_u32 v12, v0, 2, v5
	s_and_saveexec_b32 s0, s1
	s_cbranch_execz .LBB135_32
.LBB135_31:
	global_load_b64 v[1:2], v[1:2], off
	s_waitcnt vmcnt(0)
	ds_store_b64 v12, v[1:2]
.LBB135_32:
	s_or_b32 exec_lo, exec_lo, s0
	s_delay_alu instid0(SALU_CYCLE_1)
	s_mov_b32 s0, exec_lo
                                        ; implicit-def: $vgpr4
                                        ; implicit-def: $vgpr1_vgpr2
	v_cmpx_le_u32_e64 s11, v9
	s_xor_b32 s0, exec_lo, s0
	s_cbranch_execz .LBB135_36
; %bb.33:
	v_subrev_nc_u32_e32 v3, s11, v9
	s_mov_b32 s11, s15
	s_mov_b32 s1, exec_lo
                                        ; implicit-def: $vgpr4
                                        ; implicit-def: $vgpr1_vgpr2
	s_delay_alu instid0(VALU_DEP_1)
	v_cmpx_gt_u32_e64 s19, v3
; %bb.34:
	v_mov_b32_e32 v4, 0
	s_or_b32 s11, s15, exec_lo
	s_delay_alu instid0(VALU_DEP_1) | instskip(SKIP_1) | instid1(VALU_DEP_2)
	v_lshlrev_b64 v[1:2], 3, v[3:4]
	v_or_b32_e32 v4, 0x1000, v12
	v_add_co_u32 v1, vcc_lo, s4, v1
	s_delay_alu instid0(VALU_DEP_3)
	v_add_co_ci_u32_e32 v2, vcc_lo, s5, v2, vcc_lo
; %bb.35:
	s_or_b32 exec_lo, exec_lo, s1
	s_delay_alu instid0(SALU_CYCLE_1) | instskip(SKIP_1) | instid1(SALU_CYCLE_1)
	s_and_not1_b32 s1, s15, exec_lo
	s_and_b32 s4, s11, exec_lo
                                        ; implicit-def: $vgpr12
	s_or_b32 s15, s1, s4
.LBB135_36:
	s_and_not1_saveexec_b32 s0, s0
; %bb.37:
	v_lshlrev_b32_e32 v1, 3, v9
	v_or_b32_e32 v4, 0x1000, v12
	s_or_b32 s15, s15, exec_lo
	s_delay_alu instid0(VALU_DEP_2) | instskip(NEXT) | instid1(VALU_DEP_1)
	v_add_co_u32 v1, s1, s13, v1
	v_add_co_ci_u32_e64 v2, null, s14, 0, s1
; %bb.38:
	s_or_b32 exec_lo, exec_lo, s0
.LBB135_39:
	s_and_saveexec_b32 s0, s15
	s_cbranch_execz .LBB135_41
; %bb.40:
	global_load_b64 v[1:2], v[1:2], off
	s_waitcnt vmcnt(0)
	ds_store_b64 v4, v[1:2]
.LBB135_41:
	s_or_b32 exec_lo, exec_lo, s0
	v_add_nc_u32_e32 v1, s10, v6
	s_and_not1_b32 vcc_lo, exec_lo, s12
	s_waitcnt lgkmcnt(0)
	s_barrier
	buffer_gl0_inv
	s_cbranch_vccnz .LBB135_43
; %bb.42:
	v_lshlrev_b32_e32 v2, 3, v11
	s_mov_b32 s0, -1
	ds_load_b64 v[3:4], v2
	v_mov_b32_e32 v2, 0
	s_delay_alu instid0(VALU_DEP_1) | instskip(NEXT) | instid1(VALU_DEP_1)
	v_lshlrev_b64 v[12:13], 3, v[1:2]
	v_add_co_u32 v12, vcc_lo, s6, v12
	s_delay_alu instid0(VALU_DEP_2)
	v_add_co_ci_u32_e32 v13, vcc_lo, s7, v13, vcc_lo
	s_waitcnt lgkmcnt(0)
	global_store_b64 v[12:13], v[3:4], off
	s_cbranch_execz .LBB135_44
	s_branch .LBB135_49
.LBB135_43:
	s_mov_b32 s0, 0
.LBB135_44:
	s_mov_b32 s1, exec_lo
	v_cmpx_gt_u32_e64 s9, v6
	s_cbranch_execz .LBB135_46
; %bb.45:
	v_lshlrev_b32_e32 v2, 3, v11
	ds_load_b64 v[3:4], v2
	v_mov_b32_e32 v2, 0
	s_delay_alu instid0(VALU_DEP_1) | instskip(NEXT) | instid1(VALU_DEP_1)
	v_lshlrev_b64 v[11:12], 3, v[1:2]
	v_add_co_u32 v11, vcc_lo, s6, v11
	s_delay_alu instid0(VALU_DEP_2)
	v_add_co_ci_u32_e32 v12, vcc_lo, s7, v12, vcc_lo
	s_waitcnt lgkmcnt(0)
	global_store_b64 v[11:12], v[3:4], off
.LBB135_46:
	s_or_b32 exec_lo, exec_lo, s1
	v_or_b32_e32 v2, 1, v6
	s_mov_b32 s1, exec_lo
	s_delay_alu instid0(VALU_DEP_1)
	v_cmpx_gt_u32_e64 s9, v2
; %bb.47:
	v_mov_b32_e32 v2, 0
	s_or_b32 s0, s0, exec_lo
; %bb.48:
	s_or_b32 exec_lo, exec_lo, s1
.LBB135_49:
	s_and_saveexec_b32 s1, s0
	s_cbranch_execz .LBB135_51
; %bb.50:
	v_lshlrev_b32_e32 v3, 3, v10
	v_lshlrev_b64 v[1:2], 3, v[1:2]
	ds_load_b64 v[3:4], v3
	v_add_co_u32 v1, vcc_lo, s6, v1
	v_add_co_ci_u32_e32 v2, vcc_lo, s7, v2, vcc_lo
	s_waitcnt lgkmcnt(0)
	global_store_b64 v[1:2], v[3:4], off offset:8
.LBB135_51:
	s_or_b32 exec_lo, exec_lo, s1
	v_lshrrev_b32_e32 v1, 2, v0
	v_lshrrev_b32_e32 v2, 3, v0
	;; [unrolled: 1-line block ×3, first 2 shown]
	s_mov_b32 s11, 0
	s_waitcnt_vscnt null, 0x0
	v_and_b32_e32 v1, 0x7c, v1
	s_lshl_b64 s[0:1], s[10:11], 2
	v_and_b32_e32 v2, 60, v2
	v_and_b32_e32 v4, 0x7c, v3
	s_add_u32 s0, s2, s0
	v_lshl_add_u32 v1, v6, 2, v1
	s_barrier
	buffer_gl0_inv
	s_barrier
	buffer_gl0_inv
	s_addc_u32 s1, s3, s1
	ds_store_2addr_b32 v1, v7, v8 offset1:1
	v_add_co_u32 v1, s0, s0, v5
	v_add_nc_u32_e32 v3, v5, v2
	v_add_nc_u32_e32 v6, v5, v4
	v_add_co_ci_u32_e64 v2, null, s1, 0, s0
	s_and_b32 vcc_lo, exec_lo, s12
	s_waitcnt lgkmcnt(0)
	s_cbranch_vccz .LBB135_53
; %bb.52:
	s_barrier
	buffer_gl0_inv
	ds_load_b32 v5, v3
	ds_load_b32 v4, v6 offset:2048
	s_mov_b32 s11, -1
	s_waitcnt lgkmcnt(1)
	global_store_b32 v[1:2], v5, off
	s_cbranch_execz .LBB135_54
	s_branch .LBB135_57
.LBB135_53:
                                        ; implicit-def: $vgpr4
.LBB135_54:
	s_waitcnt lgkmcnt(0)
	s_waitcnt_vscnt null, 0x0
	s_barrier
	buffer_gl0_inv
	ds_load_b32 v4, v6 offset:2048
	s_sub_i32 s0, s8, s10
	s_mov_b32 s1, exec_lo
	v_cmpx_gt_u32_e64 s0, v0
	s_cbranch_execz .LBB135_56
; %bb.55:
	ds_load_b32 v0, v3
	s_waitcnt lgkmcnt(0)
	global_store_b32 v[1:2], v0, off
.LBB135_56:
	s_or_b32 exec_lo, exec_lo, s1
	v_cmp_gt_u32_e64 s11, s0, v9
.LBB135_57:
	s_delay_alu instid0(VALU_DEP_1)
	s_and_saveexec_b32 s0, s11
	s_cbranch_execz .LBB135_59
; %bb.58:
	s_waitcnt lgkmcnt(0)
	global_store_b32 v[1:2], v4, off offset:2048
.LBB135_59:
	s_nop 0
	s_sendmsg sendmsg(MSG_DEALLOC_VGPRS)
	s_endpgm
.LBB135_60:
	v_subrev_nc_u32_e32 v3, s11, v0
	s_mov_b32 s16, exec_lo
                                        ; implicit-def: $vgpr1_vgpr2
	s_delay_alu instid0(VALU_DEP_1)
	v_cmpx_gt_u32_e64 s19, v3
	s_xor_b32 s16, exec_lo, s16
; %bb.61:
	v_mov_b32_e32 v4, 0
	s_mov_b32 s1, exec_lo
	s_delay_alu instid0(VALU_DEP_1) | instskip(NEXT) | instid1(VALU_DEP_1)
	v_lshlrev_b64 v[1:2], 3, v[3:4]
	v_add_co_u32 v1, vcc_lo, s4, v1
	s_delay_alu instid0(VALU_DEP_2)
	v_add_co_ci_u32_e32 v2, vcc_lo, s5, v2, vcc_lo
; %bb.62:
	s_or_b32 exec_lo, exec_lo, s16
	s_delay_alu instid0(SALU_CYCLE_1)
	s_and_b32 s1, s1, exec_lo
	s_and_not1_saveexec_b32 s0, s0
	s_cbranch_execz .LBB135_30
.LBB135_63:
	v_lshlrev_b32_e32 v1, 3, v0
	s_or_b32 s1, s1, exec_lo
	s_delay_alu instid0(VALU_DEP_1) | instskip(NEXT) | instid1(VALU_DEP_1)
	v_add_co_u32 v1, s16, s13, v1
	v_add_co_ci_u32_e64 v2, null, s14, 0, s16
	s_or_b32 exec_lo, exec_lo, s0
	v_lshl_add_u32 v12, v0, 2, v5
	s_and_saveexec_b32 s0, s1
	s_cbranch_execnz .LBB135_31
	s_branch .LBB135_32
	.section	.rodata,"a",@progbits
	.p2align	6, 0x0
	.amdhsa_kernel _ZN7rocprim17ROCPRIM_304000_NS6detail35device_block_merge_mergepath_kernelINS1_37wrapped_merge_sort_block_merge_configINS0_14default_configEfN2at4cuda3cub6detail10OpaqueTypeILi8EEEEEPfSC_PSA_SD_jNS1_19radix_merge_compareILb0ELb0EfNS0_19identity_decomposerEEEEEvT0_T1_T2_T3_T4_SL_jT5_PKSL_NS1_7vsmem_tE
		.amdhsa_group_segment_fixed_size 8208
		.amdhsa_private_segment_fixed_size 0
		.amdhsa_kernarg_size 320
		.amdhsa_user_sgpr_count 13
		.amdhsa_user_sgpr_dispatch_ptr 0
		.amdhsa_user_sgpr_queue_ptr 0
		.amdhsa_user_sgpr_kernarg_segment_ptr 1
		.amdhsa_user_sgpr_dispatch_id 0
		.amdhsa_user_sgpr_private_segment_size 0
		.amdhsa_wavefront_size32 1
		.amdhsa_uses_dynamic_stack 0
		.amdhsa_enable_private_segment 0
		.amdhsa_system_sgpr_workgroup_id_x 1
		.amdhsa_system_sgpr_workgroup_id_y 1
		.amdhsa_system_sgpr_workgroup_id_z 1
		.amdhsa_system_sgpr_workgroup_info 0
		.amdhsa_system_vgpr_workitem_id 0
		.amdhsa_next_free_vgpr 17
		.amdhsa_next_free_sgpr 29
		.amdhsa_reserve_vcc 1
		.amdhsa_float_round_mode_32 0
		.amdhsa_float_round_mode_16_64 0
		.amdhsa_float_denorm_mode_32 3
		.amdhsa_float_denorm_mode_16_64 3
		.amdhsa_dx10_clamp 1
		.amdhsa_ieee_mode 1
		.amdhsa_fp16_overflow 0
		.amdhsa_workgroup_processor_mode 1
		.amdhsa_memory_ordered 1
		.amdhsa_forward_progress 0
		.amdhsa_shared_vgpr_count 0
		.amdhsa_exception_fp_ieee_invalid_op 0
		.amdhsa_exception_fp_denorm_src 0
		.amdhsa_exception_fp_ieee_div_zero 0
		.amdhsa_exception_fp_ieee_overflow 0
		.amdhsa_exception_fp_ieee_underflow 0
		.amdhsa_exception_fp_ieee_inexact 0
		.amdhsa_exception_int_div_zero 0
	.end_amdhsa_kernel
	.section	.text._ZN7rocprim17ROCPRIM_304000_NS6detail35device_block_merge_mergepath_kernelINS1_37wrapped_merge_sort_block_merge_configINS0_14default_configEfN2at4cuda3cub6detail10OpaqueTypeILi8EEEEEPfSC_PSA_SD_jNS1_19radix_merge_compareILb0ELb0EfNS0_19identity_decomposerEEEEEvT0_T1_T2_T3_T4_SL_jT5_PKSL_NS1_7vsmem_tE,"axG",@progbits,_ZN7rocprim17ROCPRIM_304000_NS6detail35device_block_merge_mergepath_kernelINS1_37wrapped_merge_sort_block_merge_configINS0_14default_configEfN2at4cuda3cub6detail10OpaqueTypeILi8EEEEEPfSC_PSA_SD_jNS1_19radix_merge_compareILb0ELb0EfNS0_19identity_decomposerEEEEEvT0_T1_T2_T3_T4_SL_jT5_PKSL_NS1_7vsmem_tE,comdat
.Lfunc_end135:
	.size	_ZN7rocprim17ROCPRIM_304000_NS6detail35device_block_merge_mergepath_kernelINS1_37wrapped_merge_sort_block_merge_configINS0_14default_configEfN2at4cuda3cub6detail10OpaqueTypeILi8EEEEEPfSC_PSA_SD_jNS1_19radix_merge_compareILb0ELb0EfNS0_19identity_decomposerEEEEEvT0_T1_T2_T3_T4_SL_jT5_PKSL_NS1_7vsmem_tE, .Lfunc_end135-_ZN7rocprim17ROCPRIM_304000_NS6detail35device_block_merge_mergepath_kernelINS1_37wrapped_merge_sort_block_merge_configINS0_14default_configEfN2at4cuda3cub6detail10OpaqueTypeILi8EEEEEPfSC_PSA_SD_jNS1_19radix_merge_compareILb0ELb0EfNS0_19identity_decomposerEEEEEvT0_T1_T2_T3_T4_SL_jT5_PKSL_NS1_7vsmem_tE
                                        ; -- End function
	.section	.AMDGPU.csdata,"",@progbits
; Kernel info:
; codeLenInByte = 2752
; NumSgprs: 31
; NumVgprs: 17
; ScratchSize: 0
; MemoryBound: 1
; FloatMode: 240
; IeeeMode: 1
; LDSByteSize: 8208 bytes/workgroup (compile time only)
; SGPRBlocks: 3
; VGPRBlocks: 2
; NumSGPRsForWavesPerEU: 31
; NumVGPRsForWavesPerEU: 17
; Occupancy: 16
; WaveLimiterHint : 1
; COMPUTE_PGM_RSRC2:SCRATCH_EN: 0
; COMPUTE_PGM_RSRC2:USER_SGPR: 13
; COMPUTE_PGM_RSRC2:TRAP_HANDLER: 0
; COMPUTE_PGM_RSRC2:TGID_X_EN: 1
; COMPUTE_PGM_RSRC2:TGID_Y_EN: 1
; COMPUTE_PGM_RSRC2:TGID_Z_EN: 1
; COMPUTE_PGM_RSRC2:TIDIG_COMP_CNT: 0
	.section	.text._ZN7rocprim17ROCPRIM_304000_NS6detail33device_block_merge_oddeven_kernelINS1_37wrapped_merge_sort_block_merge_configINS0_14default_configEfN2at4cuda3cub6detail10OpaqueTypeILi8EEEEEPfSC_PSA_SD_jNS1_19radix_merge_compareILb0ELb0EfNS0_19identity_decomposerEEEEEvT0_T1_T2_T3_T4_SL_T5_,"axG",@progbits,_ZN7rocprim17ROCPRIM_304000_NS6detail33device_block_merge_oddeven_kernelINS1_37wrapped_merge_sort_block_merge_configINS0_14default_configEfN2at4cuda3cub6detail10OpaqueTypeILi8EEEEEPfSC_PSA_SD_jNS1_19radix_merge_compareILb0ELb0EfNS0_19identity_decomposerEEEEEvT0_T1_T2_T3_T4_SL_T5_,comdat
	.protected	_ZN7rocprim17ROCPRIM_304000_NS6detail33device_block_merge_oddeven_kernelINS1_37wrapped_merge_sort_block_merge_configINS0_14default_configEfN2at4cuda3cub6detail10OpaqueTypeILi8EEEEEPfSC_PSA_SD_jNS1_19radix_merge_compareILb0ELb0EfNS0_19identity_decomposerEEEEEvT0_T1_T2_T3_T4_SL_T5_ ; -- Begin function _ZN7rocprim17ROCPRIM_304000_NS6detail33device_block_merge_oddeven_kernelINS1_37wrapped_merge_sort_block_merge_configINS0_14default_configEfN2at4cuda3cub6detail10OpaqueTypeILi8EEEEEPfSC_PSA_SD_jNS1_19radix_merge_compareILb0ELb0EfNS0_19identity_decomposerEEEEEvT0_T1_T2_T3_T4_SL_T5_
	.globl	_ZN7rocprim17ROCPRIM_304000_NS6detail33device_block_merge_oddeven_kernelINS1_37wrapped_merge_sort_block_merge_configINS0_14default_configEfN2at4cuda3cub6detail10OpaqueTypeILi8EEEEEPfSC_PSA_SD_jNS1_19radix_merge_compareILb0ELb0EfNS0_19identity_decomposerEEEEEvT0_T1_T2_T3_T4_SL_T5_
	.p2align	8
	.type	_ZN7rocprim17ROCPRIM_304000_NS6detail33device_block_merge_oddeven_kernelINS1_37wrapped_merge_sort_block_merge_configINS0_14default_configEfN2at4cuda3cub6detail10OpaqueTypeILi8EEEEEPfSC_PSA_SD_jNS1_19radix_merge_compareILb0ELb0EfNS0_19identity_decomposerEEEEEvT0_T1_T2_T3_T4_SL_T5_,@function
_ZN7rocprim17ROCPRIM_304000_NS6detail33device_block_merge_oddeven_kernelINS1_37wrapped_merge_sort_block_merge_configINS0_14default_configEfN2at4cuda3cub6detail10OpaqueTypeILi8EEEEEPfSC_PSA_SD_jNS1_19radix_merge_compareILb0ELb0EfNS0_19identity_decomposerEEEEEvT0_T1_T2_T3_T4_SL_T5_: ; @_ZN7rocprim17ROCPRIM_304000_NS6detail33device_block_merge_oddeven_kernelINS1_37wrapped_merge_sort_block_merge_configINS0_14default_configEfN2at4cuda3cub6detail10OpaqueTypeILi8EEEEEPfSC_PSA_SD_jNS1_19radix_merge_compareILb0ELb0EfNS0_19identity_decomposerEEEEEvT0_T1_T2_T3_T4_SL_T5_
; %bb.0:
	s_load_b64 s[16:17], s[0:1], 0x20
	s_waitcnt lgkmcnt(0)
	s_lshr_b32 s2, s16, 8
	s_delay_alu instid0(SALU_CYCLE_1) | instskip(SKIP_4) | instid1(SALU_CYCLE_1)
	s_cmp_lg_u32 s15, s2
	s_cselect_b32 s4, -1, 0
	s_cmp_eq_u32 s15, s2
	s_cselect_b32 s3, -1, 0
	s_lshl_b32 s12, s15, 8
	s_sub_i32 s2, s16, s12
	s_delay_alu instid0(SALU_CYCLE_1) | instskip(NEXT) | instid1(VALU_DEP_1)
	v_cmp_gt_u32_e64 s2, s2, v0
	s_or_b32 s4, s4, s2
	s_delay_alu instid0(SALU_CYCLE_1)
	s_and_saveexec_b32 s5, s4
	s_cbranch_execz .LBB136_26
; %bb.1:
	s_load_b256 s[4:11], s[0:1], 0x0
	s_mov_b32 s13, 0
	v_lshlrev_b32_e32 v1, 3, v0
	s_lshl_b64 s[0:1], s[12:13], 2
	v_lshlrev_b32_e32 v3, 2, v0
	v_add_nc_u32_e32 v5, s12, v0
	s_waitcnt lgkmcnt(0)
	s_add_u32 s0, s4, s0
	s_addc_u32 s1, s5, s1
	s_lshl_b64 s[18:19], s[12:13], 3
	s_delay_alu instid0(SALU_CYCLE_1) | instskip(SKIP_4) | instid1(SALU_CYCLE_1)
	s_add_u32 s8, s8, s18
	s_addc_u32 s9, s9, s19
	global_load_b64 v[1:2], v1, s[8:9]
	global_load_b32 v7, v3, s[0:1]
	s_lshr_b32 s0, s17, 8
	s_sub_i32 s1, 0, s0
	s_delay_alu instid0(SALU_CYCLE_1) | instskip(NEXT) | instid1(SALU_CYCLE_1)
	s_and_b32 s1, s15, s1
	s_and_b32 s0, s1, s0
	s_lshl_b32 s9, s1, 8
	s_sub_i32 s1, 0, s17
	s_cmp_eq_u32 s0, 0
	s_cselect_b32 s0, -1, 0
	s_delay_alu instid0(SALU_CYCLE_1) | instskip(SKIP_1) | instid1(SALU_CYCLE_1)
	s_and_b32 s8, s0, exec_lo
	s_cselect_b32 s1, s17, s1
	s_add_i32 s1, s1, s9
	s_delay_alu instid0(SALU_CYCLE_1)
	s_cmp_lt_u32 s1, s16
	s_cbranch_scc1 .LBB136_6
; %bb.2:
	s_and_b32 vcc_lo, exec_lo, s3
	s_cbranch_vccz .LBB136_7
; %bb.3:
	s_mov_b32 s8, 0
	s_mov_b32 s12, exec_lo
                                        ; implicit-def: $vgpr3_vgpr4
	v_cmpx_gt_u32_e64 s16, v5
	s_cbranch_execz .LBB136_5
; %bb.4:
	v_mov_b32_e32 v6, 0
	s_mov_b32 s13, exec_lo
	s_delay_alu instid0(VALU_DEP_1) | instskip(SKIP_1) | instid1(VALU_DEP_2)
	v_lshlrev_b64 v[3:4], 2, v[5:6]
	v_lshlrev_b64 v[8:9], 3, v[5:6]
	v_add_co_u32 v10, vcc_lo, s6, v3
	s_delay_alu instid0(VALU_DEP_3) | instskip(NEXT) | instid1(VALU_DEP_3)
	v_add_co_ci_u32_e32 v11, vcc_lo, s7, v4, vcc_lo
	v_add_co_u32 v3, vcc_lo, s10, v8
	s_delay_alu instid0(VALU_DEP_4)
	v_add_co_ci_u32_e32 v4, vcc_lo, s11, v9, vcc_lo
	s_waitcnt vmcnt(0)
	global_store_b32 v[10:11], v7, off
.LBB136_5:
	s_or_b32 exec_lo, exec_lo, s12
	s_delay_alu instid0(SALU_CYCLE_1)
	s_and_b32 vcc_lo, exec_lo, s8
	s_cbranch_vccnz .LBB136_8
	s_branch .LBB136_9
.LBB136_6:
                                        ; implicit-def: $vgpr3_vgpr4
	s_cbranch_execnz .LBB136_10
	s_branch .LBB136_24
.LBB136_7:
                                        ; implicit-def: $vgpr3_vgpr4
	s_cbranch_execz .LBB136_9
.LBB136_8:
	v_mov_b32_e32 v6, 0
	s_or_b32 s13, s13, exec_lo
	s_delay_alu instid0(VALU_DEP_1) | instskip(SKIP_1) | instid1(VALU_DEP_2)
	v_lshlrev_b64 v[3:4], 2, v[5:6]
	v_lshlrev_b64 v[8:9], 3, v[5:6]
	v_add_co_u32 v10, vcc_lo, s6, v3
	s_delay_alu instid0(VALU_DEP_3) | instskip(NEXT) | instid1(VALU_DEP_3)
	v_add_co_ci_u32_e32 v11, vcc_lo, s7, v4, vcc_lo
	v_add_co_u32 v3, vcc_lo, s10, v8
	s_delay_alu instid0(VALU_DEP_4)
	v_add_co_ci_u32_e32 v4, vcc_lo, s11, v9, vcc_lo
	s_waitcnt vmcnt(0)
	global_store_b32 v[10:11], v7, off
.LBB136_9:
	s_branch .LBB136_24
.LBB136_10:
	s_min_u32 s8, s1, s16
	s_and_b32 vcc_lo, exec_lo, s3
	s_add_i32 s12, s9, s8
	s_min_u32 s9, s9, s8
	v_subrev_nc_u32_e32 v0, s12, v5
	s_add_i32 s12, s8, s17
	s_delay_alu instid0(SALU_CYCLE_1) | instskip(NEXT) | instid1(VALU_DEP_1)
	s_min_u32 s3, s12, s16
	v_add_nc_u32_e32 v0, s9, v0
	s_cbranch_vccz .LBB136_18
; %bb.11:
                                        ; implicit-def: $vgpr3_vgpr4
	s_and_saveexec_b32 s9, s2
	s_cbranch_execz .LBB136_17
; %bb.12:
	v_mov_b32_e32 v5, s8
	s_cmp_ge_u32 s1, s3
	s_cbranch_scc1 .LBB136_16
; %bb.13:
	s_waitcnt vmcnt(0)
	v_cmp_ne_u32_e32 vcc_lo, 0x80000000, v7
	v_mov_b32_e32 v5, s8
	s_mov_b32 s2, 0
	v_dual_mov_b32 v6, s3 :: v_dual_cndmask_b32 v3, 0, v7
	s_delay_alu instid0(VALU_DEP_1) | instskip(SKIP_1) | instid1(VALU_DEP_1)
	v_cmp_lt_i32_e32 vcc_lo, -1, v3
	v_cndmask_b32_e64 v4, -1, 0x80000000, vcc_lo
	v_xor_b32_e32 v8, v4, v3
	v_mov_b32_e32 v4, 0
	s_set_inst_prefetch_distance 0x1
	.p2align	6
.LBB136_14:                             ; =>This Inner Loop Header: Depth=1
	v_add_nc_u32_e32 v3, v5, v6
	s_delay_alu instid0(VALU_DEP_1) | instskip(NEXT) | instid1(VALU_DEP_1)
	v_lshrrev_b32_e32 v3, 1, v3
	v_lshlrev_b64 v[9:10], 2, v[3:4]
	s_delay_alu instid0(VALU_DEP_1) | instskip(NEXT) | instid1(VALU_DEP_2)
	v_add_co_u32 v9, vcc_lo, s4, v9
	v_add_co_ci_u32_e32 v10, vcc_lo, s5, v10, vcc_lo
	global_load_b32 v9, v[9:10], off
	s_waitcnt vmcnt(0)
	v_cmp_ne_u32_e32 vcc_lo, 0x80000000, v9
	v_cndmask_b32_e32 v9, 0, v9, vcc_lo
	s_delay_alu instid0(VALU_DEP_1) | instskip(SKIP_1) | instid1(VALU_DEP_1)
	v_cmp_lt_i32_e32 vcc_lo, -1, v9
	v_cndmask_b32_e64 v10, -1, 0x80000000, vcc_lo
	v_xor_b32_e32 v9, v10, v9
	s_delay_alu instid0(VALU_DEP_1) | instskip(SKIP_3) | instid1(VALU_DEP_1)
	v_cmp_gt_u32_e32 vcc_lo, v8, v9
	v_cndmask_b32_e64 v10, 0, 1, vcc_lo
	v_cmp_le_u32_e32 vcc_lo, v9, v8
	v_cndmask_b32_e64 v9, 0, 1, vcc_lo
	v_cndmask_b32_e64 v9, v9, v10, s0
	v_add_nc_u32_e32 v10, 1, v3
	s_delay_alu instid0(VALU_DEP_2) | instskip(NEXT) | instid1(VALU_DEP_1)
	v_and_b32_e32 v9, 1, v9
	v_cmp_eq_u32_e32 vcc_lo, 1, v9
	v_cndmask_b32_e32 v6, v3, v6, vcc_lo
	s_delay_alu instid0(VALU_DEP_4) | instskip(NEXT) | instid1(VALU_DEP_1)
	v_cndmask_b32_e32 v5, v5, v10, vcc_lo
	v_cmp_ge_u32_e32 vcc_lo, v5, v6
	s_or_b32 s2, vcc_lo, s2
	s_delay_alu instid0(SALU_CYCLE_1)
	s_and_not1_b32 exec_lo, exec_lo, s2
	s_cbranch_execnz .LBB136_14
; %bb.15:
	s_set_inst_prefetch_distance 0x2
	s_or_b32 exec_lo, exec_lo, s2
.LBB136_16:
	s_delay_alu instid0(VALU_DEP_1) | instskip(SKIP_1) | instid1(VALU_DEP_1)
	v_dual_mov_b32 v4, 0 :: v_dual_add_nc_u32 v3, v5, v0
	s_or_b32 s13, s13, exec_lo
	v_lshlrev_b64 v[5:6], 2, v[3:4]
	v_lshlrev_b64 v[3:4], 3, v[3:4]
	s_delay_alu instid0(VALU_DEP_2) | instskip(NEXT) | instid1(VALU_DEP_3)
	v_add_co_u32 v5, vcc_lo, s6, v5
	v_add_co_ci_u32_e32 v6, vcc_lo, s7, v6, vcc_lo
	s_delay_alu instid0(VALU_DEP_3) | instskip(NEXT) | instid1(VALU_DEP_4)
	v_add_co_u32 v3, vcc_lo, s10, v3
	v_add_co_ci_u32_e32 v4, vcc_lo, s11, v4, vcc_lo
	s_waitcnt vmcnt(0)
	global_store_b32 v[5:6], v7, off
.LBB136_17:
	s_or_b32 exec_lo, exec_lo, s9
	s_branch .LBB136_24
.LBB136_18:
                                        ; implicit-def: $vgpr3_vgpr4
	s_cbranch_execz .LBB136_24
; %bb.19:
	v_mov_b32_e32 v5, s8
	s_cmp_ge_u32 s1, s3
	s_cbranch_scc1 .LBB136_23
; %bb.20:
	s_waitcnt vmcnt(0)
	v_cmp_ne_u32_e32 vcc_lo, 0x80000000, v7
	v_mov_b32_e32 v5, s8
	s_mov_b32 s1, 0
	v_dual_mov_b32 v6, s3 :: v_dual_cndmask_b32 v3, 0, v7
	s_delay_alu instid0(VALU_DEP_1) | instskip(SKIP_1) | instid1(VALU_DEP_1)
	v_cmp_lt_i32_e32 vcc_lo, -1, v3
	v_cndmask_b32_e64 v4, -1, 0x80000000, vcc_lo
	v_xor_b32_e32 v8, v4, v3
	v_mov_b32_e32 v4, 0
	s_set_inst_prefetch_distance 0x1
	.p2align	6
.LBB136_21:                             ; =>This Inner Loop Header: Depth=1
	v_add_nc_u32_e32 v3, v5, v6
	s_delay_alu instid0(VALU_DEP_1) | instskip(NEXT) | instid1(VALU_DEP_1)
	v_lshrrev_b32_e32 v3, 1, v3
	v_lshlrev_b64 v[9:10], 2, v[3:4]
	s_delay_alu instid0(VALU_DEP_1) | instskip(NEXT) | instid1(VALU_DEP_2)
	v_add_co_u32 v9, vcc_lo, s4, v9
	v_add_co_ci_u32_e32 v10, vcc_lo, s5, v10, vcc_lo
	global_load_b32 v9, v[9:10], off
	s_waitcnt vmcnt(0)
	v_cmp_ne_u32_e32 vcc_lo, 0x80000000, v9
	v_cndmask_b32_e32 v9, 0, v9, vcc_lo
	s_delay_alu instid0(VALU_DEP_1) | instskip(SKIP_1) | instid1(VALU_DEP_1)
	v_cmp_lt_i32_e32 vcc_lo, -1, v9
	v_cndmask_b32_e64 v10, -1, 0x80000000, vcc_lo
	v_xor_b32_e32 v9, v10, v9
	s_delay_alu instid0(VALU_DEP_1) | instskip(SKIP_3) | instid1(VALU_DEP_1)
	v_cmp_gt_u32_e32 vcc_lo, v8, v9
	v_cndmask_b32_e64 v10, 0, 1, vcc_lo
	v_cmp_le_u32_e32 vcc_lo, v9, v8
	v_cndmask_b32_e64 v9, 0, 1, vcc_lo
	v_cndmask_b32_e64 v9, v9, v10, s0
	v_add_nc_u32_e32 v10, 1, v3
	s_delay_alu instid0(VALU_DEP_2) | instskip(NEXT) | instid1(VALU_DEP_1)
	v_and_b32_e32 v9, 1, v9
	v_cmp_eq_u32_e32 vcc_lo, 1, v9
	v_cndmask_b32_e32 v6, v3, v6, vcc_lo
	s_delay_alu instid0(VALU_DEP_4) | instskip(NEXT) | instid1(VALU_DEP_1)
	v_cndmask_b32_e32 v5, v5, v10, vcc_lo
	v_cmp_ge_u32_e32 vcc_lo, v5, v6
	s_or_b32 s1, vcc_lo, s1
	s_delay_alu instid0(SALU_CYCLE_1)
	s_and_not1_b32 exec_lo, exec_lo, s1
	s_cbranch_execnz .LBB136_21
; %bb.22:
	s_set_inst_prefetch_distance 0x2
	s_or_b32 exec_lo, exec_lo, s1
.LBB136_23:
	s_delay_alu instid0(VALU_DEP_1) | instskip(SKIP_1) | instid1(VALU_DEP_1)
	v_dual_mov_b32 v4, 0 :: v_dual_add_nc_u32 v3, v5, v0
	s_mov_b32 s13, -1
	v_lshlrev_b64 v[5:6], 2, v[3:4]
	v_lshlrev_b64 v[3:4], 3, v[3:4]
	s_delay_alu instid0(VALU_DEP_2) | instskip(NEXT) | instid1(VALU_DEP_3)
	v_add_co_u32 v5, vcc_lo, s6, v5
	v_add_co_ci_u32_e32 v6, vcc_lo, s7, v6, vcc_lo
	s_delay_alu instid0(VALU_DEP_3) | instskip(NEXT) | instid1(VALU_DEP_4)
	v_add_co_u32 v3, vcc_lo, s10, v3
	v_add_co_ci_u32_e32 v4, vcc_lo, s11, v4, vcc_lo
	s_waitcnt vmcnt(0)
	global_store_b32 v[5:6], v7, off
.LBB136_24:
	s_and_b32 exec_lo, exec_lo, s13
	s_cbranch_execz .LBB136_26
; %bb.25:
	s_waitcnt vmcnt(1)
	global_store_b64 v[3:4], v[1:2], off
.LBB136_26:
	s_nop 0
	s_sendmsg sendmsg(MSG_DEALLOC_VGPRS)
	s_endpgm
	.section	.rodata,"a",@progbits
	.p2align	6, 0x0
	.amdhsa_kernel _ZN7rocprim17ROCPRIM_304000_NS6detail33device_block_merge_oddeven_kernelINS1_37wrapped_merge_sort_block_merge_configINS0_14default_configEfN2at4cuda3cub6detail10OpaqueTypeILi8EEEEEPfSC_PSA_SD_jNS1_19radix_merge_compareILb0ELb0EfNS0_19identity_decomposerEEEEEvT0_T1_T2_T3_T4_SL_T5_
		.amdhsa_group_segment_fixed_size 0
		.amdhsa_private_segment_fixed_size 0
		.amdhsa_kernarg_size 44
		.amdhsa_user_sgpr_count 15
		.amdhsa_user_sgpr_dispatch_ptr 0
		.amdhsa_user_sgpr_queue_ptr 0
		.amdhsa_user_sgpr_kernarg_segment_ptr 1
		.amdhsa_user_sgpr_dispatch_id 0
		.amdhsa_user_sgpr_private_segment_size 0
		.amdhsa_wavefront_size32 1
		.amdhsa_uses_dynamic_stack 0
		.amdhsa_enable_private_segment 0
		.amdhsa_system_sgpr_workgroup_id_x 1
		.amdhsa_system_sgpr_workgroup_id_y 0
		.amdhsa_system_sgpr_workgroup_id_z 0
		.amdhsa_system_sgpr_workgroup_info 0
		.amdhsa_system_vgpr_workitem_id 0
		.amdhsa_next_free_vgpr 12
		.amdhsa_next_free_sgpr 20
		.amdhsa_reserve_vcc 1
		.amdhsa_float_round_mode_32 0
		.amdhsa_float_round_mode_16_64 0
		.amdhsa_float_denorm_mode_32 3
		.amdhsa_float_denorm_mode_16_64 3
		.amdhsa_dx10_clamp 1
		.amdhsa_ieee_mode 1
		.amdhsa_fp16_overflow 0
		.amdhsa_workgroup_processor_mode 1
		.amdhsa_memory_ordered 1
		.amdhsa_forward_progress 0
		.amdhsa_shared_vgpr_count 0
		.amdhsa_exception_fp_ieee_invalid_op 0
		.amdhsa_exception_fp_denorm_src 0
		.amdhsa_exception_fp_ieee_div_zero 0
		.amdhsa_exception_fp_ieee_overflow 0
		.amdhsa_exception_fp_ieee_underflow 0
		.amdhsa_exception_fp_ieee_inexact 0
		.amdhsa_exception_int_div_zero 0
	.end_amdhsa_kernel
	.section	.text._ZN7rocprim17ROCPRIM_304000_NS6detail33device_block_merge_oddeven_kernelINS1_37wrapped_merge_sort_block_merge_configINS0_14default_configEfN2at4cuda3cub6detail10OpaqueTypeILi8EEEEEPfSC_PSA_SD_jNS1_19radix_merge_compareILb0ELb0EfNS0_19identity_decomposerEEEEEvT0_T1_T2_T3_T4_SL_T5_,"axG",@progbits,_ZN7rocprim17ROCPRIM_304000_NS6detail33device_block_merge_oddeven_kernelINS1_37wrapped_merge_sort_block_merge_configINS0_14default_configEfN2at4cuda3cub6detail10OpaqueTypeILi8EEEEEPfSC_PSA_SD_jNS1_19radix_merge_compareILb0ELb0EfNS0_19identity_decomposerEEEEEvT0_T1_T2_T3_T4_SL_T5_,comdat
.Lfunc_end136:
	.size	_ZN7rocprim17ROCPRIM_304000_NS6detail33device_block_merge_oddeven_kernelINS1_37wrapped_merge_sort_block_merge_configINS0_14default_configEfN2at4cuda3cub6detail10OpaqueTypeILi8EEEEEPfSC_PSA_SD_jNS1_19radix_merge_compareILb0ELb0EfNS0_19identity_decomposerEEEEEvT0_T1_T2_T3_T4_SL_T5_, .Lfunc_end136-_ZN7rocprim17ROCPRIM_304000_NS6detail33device_block_merge_oddeven_kernelINS1_37wrapped_merge_sort_block_merge_configINS0_14default_configEfN2at4cuda3cub6detail10OpaqueTypeILi8EEEEEPfSC_PSA_SD_jNS1_19radix_merge_compareILb0ELb0EfNS0_19identity_decomposerEEEEEvT0_T1_T2_T3_T4_SL_T5_
                                        ; -- End function
	.section	.AMDGPU.csdata,"",@progbits
; Kernel info:
; codeLenInByte = 1156
; NumSgprs: 22
; NumVgprs: 12
; ScratchSize: 0
; MemoryBound: 0
; FloatMode: 240
; IeeeMode: 1
; LDSByteSize: 0 bytes/workgroup (compile time only)
; SGPRBlocks: 2
; VGPRBlocks: 1
; NumSGPRsForWavesPerEU: 22
; NumVGPRsForWavesPerEU: 12
; Occupancy: 16
; WaveLimiterHint : 0
; COMPUTE_PGM_RSRC2:SCRATCH_EN: 0
; COMPUTE_PGM_RSRC2:USER_SGPR: 15
; COMPUTE_PGM_RSRC2:TRAP_HANDLER: 0
; COMPUTE_PGM_RSRC2:TGID_X_EN: 1
; COMPUTE_PGM_RSRC2:TGID_Y_EN: 0
; COMPUTE_PGM_RSRC2:TGID_Z_EN: 0
; COMPUTE_PGM_RSRC2:TIDIG_COMP_CNT: 0
	.section	.text._ZN7rocprim17ROCPRIM_304000_NS6detail26onesweep_histograms_kernelINS1_34wrapped_radix_sort_onesweep_configINS0_14default_configEfN2at4cuda3cub6detail10OpaqueTypeILi8EEEEELb0EPKfmNS0_19identity_decomposerEEEvT1_PT2_SG_SG_T3_jj,"axG",@progbits,_ZN7rocprim17ROCPRIM_304000_NS6detail26onesweep_histograms_kernelINS1_34wrapped_radix_sort_onesweep_configINS0_14default_configEfN2at4cuda3cub6detail10OpaqueTypeILi8EEEEELb0EPKfmNS0_19identity_decomposerEEEvT1_PT2_SG_SG_T3_jj,comdat
	.protected	_ZN7rocprim17ROCPRIM_304000_NS6detail26onesweep_histograms_kernelINS1_34wrapped_radix_sort_onesweep_configINS0_14default_configEfN2at4cuda3cub6detail10OpaqueTypeILi8EEEEELb0EPKfmNS0_19identity_decomposerEEEvT1_PT2_SG_SG_T3_jj ; -- Begin function _ZN7rocprim17ROCPRIM_304000_NS6detail26onesweep_histograms_kernelINS1_34wrapped_radix_sort_onesweep_configINS0_14default_configEfN2at4cuda3cub6detail10OpaqueTypeILi8EEEEELb0EPKfmNS0_19identity_decomposerEEEvT1_PT2_SG_SG_T3_jj
	.globl	_ZN7rocprim17ROCPRIM_304000_NS6detail26onesweep_histograms_kernelINS1_34wrapped_radix_sort_onesweep_configINS0_14default_configEfN2at4cuda3cub6detail10OpaqueTypeILi8EEEEELb0EPKfmNS0_19identity_decomposerEEEvT1_PT2_SG_SG_T3_jj
	.p2align	8
	.type	_ZN7rocprim17ROCPRIM_304000_NS6detail26onesweep_histograms_kernelINS1_34wrapped_radix_sort_onesweep_configINS0_14default_configEfN2at4cuda3cub6detail10OpaqueTypeILi8EEEEELb0EPKfmNS0_19identity_decomposerEEEvT1_PT2_SG_SG_T3_jj,@function
_ZN7rocprim17ROCPRIM_304000_NS6detail26onesweep_histograms_kernelINS1_34wrapped_radix_sort_onesweep_configINS0_14default_configEfN2at4cuda3cub6detail10OpaqueTypeILi8EEEEELb0EPKfmNS0_19identity_decomposerEEEvT1_PT2_SG_SG_T3_jj: ; @_ZN7rocprim17ROCPRIM_304000_NS6detail26onesweep_histograms_kernelINS1_34wrapped_radix_sort_onesweep_configINS0_14default_configEfN2at4cuda3cub6detail10OpaqueTypeILi8EEEEELb0EPKfmNS0_19identity_decomposerEEEvT1_PT2_SG_SG_T3_jj
; %bb.0:
	s_clause 0x1
	s_load_b256 s[4:11], s[0:1], 0x0
	s_load_b64 s[12:13], s[0:1], 0x24
	s_mov_b32 s2, s15
	s_mov_b32 s3, 0
	v_lshlrev_b32_e32 v7, 2, v0
	s_lshl_b64 s[0:1], s[2:3], 14
	s_waitcnt lgkmcnt(0)
	v_cmp_ge_u64_e64 s9, s[2:3], s[10:11]
	s_add_u32 s4, s4, s0
	s_addc_u32 s5, s5, s1
	s_mov_b32 s0, -1
	s_delay_alu instid0(VALU_DEP_1)
	s_and_b32 vcc_lo, exec_lo, s9
	s_cbranch_vccz .LBB137_34
; %bb.1:
	v_lshlrev_b32_e32 v8, 2, v0
	s_lshl_b32 s0, s10, 12
                                        ; implicit-def: $vgpr1_vgpr2_vgpr3_vgpr4
	s_delay_alu instid0(SALU_CYCLE_1) | instskip(NEXT) | instid1(SALU_CYCLE_1)
	s_sub_i32 s3, s8, s0
	v_cmp_gt_u32_e64 s2, s3, v0
	s_delay_alu instid0(VALU_DEP_2) | instskip(NEXT) | instid1(VALU_DEP_1)
	v_add_co_u32 v5, s0, s4, v8
	v_add_co_ci_u32_e64 v6, null, s5, 0, s0
	s_delay_alu instid0(VALU_DEP_3)
	s_and_saveexec_b32 s0, s2
	s_cbranch_execz .LBB137_3
; %bb.2:
	global_load_b32 v1, v[5:6], off
.LBB137_3:
	s_or_b32 exec_lo, exec_lo, s0
	v_or_b32_e32 v9, 0x400, v0
	s_delay_alu instid0(VALU_DEP_1) | instskip(NEXT) | instid1(VALU_DEP_1)
	v_cmp_gt_u32_e64 s1, s3, v9
	s_and_saveexec_b32 s0, s1
	s_cbranch_execz .LBB137_5
; %bb.4:
	v_add_co_u32 v9, vcc_lo, 0x1000, v5
	v_add_co_ci_u32_e32 v10, vcc_lo, 0, v6, vcc_lo
	global_load_b32 v2, v[9:10], off
.LBB137_5:
	s_or_b32 exec_lo, exec_lo, s0
	v_or_b32_e32 v9, 0x800, v0
	s_delay_alu instid0(VALU_DEP_1) | instskip(NEXT) | instid1(VALU_DEP_1)
	v_cmp_gt_u32_e64 s0, s3, v9
	s_and_saveexec_b32 s8, s0
	s_cbranch_execz .LBB137_7
; %bb.6:
	v_add_co_u32 v9, vcc_lo, 0x2000, v5
	v_add_co_ci_u32_e32 v10, vcc_lo, 0, v6, vcc_lo
	global_load_b32 v3, v[9:10], off
.LBB137_7:
	s_or_b32 exec_lo, exec_lo, s8
	v_or_b32_e32 v9, 0xc00, v0
	s_delay_alu instid0(VALU_DEP_1)
	v_cmp_gt_u32_e32 vcc_lo, s3, v9
	s_and_saveexec_b32 s8, vcc_lo
	s_cbranch_execz .LBB137_9
; %bb.8:
	v_add_co_u32 v4, s3, 0x3000, v5
	s_delay_alu instid0(VALU_DEP_1)
	v_add_co_ci_u32_e64 v5, s3, 0, v6, s3
	global_load_b32 v4, v[4:5], off
.LBB137_9:
	s_or_b32 exec_lo, exec_lo, s8
	v_or_b32_e32 v5, 0xfffffc00, v0
	v_mov_b32_e32 v6, 0
	s_mov_b32 s8, 0
.LBB137_10:                             ; =>This Inner Loop Header: Depth=1
	s_delay_alu instid0(VALU_DEP_2) | instskip(SKIP_3) | instid1(VALU_DEP_1)
	v_add_nc_u32_e32 v5, 0x400, v5
	ds_store_b32 v8, v6
	v_add_nc_u32_e32 v8, 0x1000, v8
	v_cmp_lt_u32_e64 s3, 0xbff, v5
	s_or_b32 s8, s3, s8
	s_delay_alu instid0(SALU_CYCLE_1)
	s_and_not1_b32 exec_lo, exec_lo, s8
	s_cbranch_execnz .LBB137_10
; %bb.11:
	s_or_b32 exec_lo, exec_lo, s8
	s_cmp_gt_u32 s13, s12
	s_waitcnt vmcnt(0) lgkmcnt(0)
	s_cselect_b32 s8, -1, 0
	s_cmp_le_u32 s13, s12
	s_barrier
	buffer_gl0_inv
	s_cbranch_scc1 .LBB137_28
; %bb.12:
	v_cmp_lt_i32_e64 s3, -1, v1
	v_and_b32_e32 v6, 3, v0
	s_sub_i32 s9, s13, s12
	s_mov_b32 s10, s12
	s_delay_alu instid0(VALU_DEP_2) | instskip(NEXT) | instid1(VALU_DEP_1)
	v_cndmask_b32_e64 v5, -1, 0x80000000, s3
	v_xor_b32_e32 v8, v5, v1
	v_mov_b32_e32 v5, 1
	v_lshlrev_b32_e32 v1, 2, v6
	s_delay_alu instid0(VALU_DEP_3) | instskip(NEXT) | instid1(VALU_DEP_1)
	v_cmp_ne_u32_e64 s3, 0x7fffffff, v8
	v_cndmask_b32_e64 v6, 0x80000000, v8, s3
	s_delay_alu instid0(VALU_DEP_3)
	v_mov_b32_e32 v8, v1
	s_mov_b32 s3, s9
	s_branch .LBB137_14
	.p2align	6
.LBB137_13:                             ;   in Loop: Header=BB137_14 Depth=1
	s_or_b32 exec_lo, exec_lo, s11
	v_add_nc_u32_e32 v8, 0x1000, v8
	s_add_i32 s10, s10, 8
	s_add_i32 s3, s3, -8
	s_cmp_ge_u32 s10, s13
	s_cbranch_scc1 .LBB137_16
.LBB137_14:                             ; =>This Inner Loop Header: Depth=1
	s_and_saveexec_b32 s11, s2
	s_cbranch_execz .LBB137_13
; %bb.15:                               ;   in Loop: Header=BB137_14 Depth=1
	v_lshrrev_b32_e32 v9, s10, v6
	s_min_u32 s14, s3, 8
	s_delay_alu instid0(VALU_DEP_1) | instid1(SALU_CYCLE_1)
	v_bfe_u32 v9, v9, 0, s14
	s_delay_alu instid0(VALU_DEP_1)
	v_lshl_add_u32 v9, v9, 4, v8
	ds_add_u32 v9, v5
	s_branch .LBB137_13
.LBB137_16:
	v_cmp_lt_i32_e64 s2, -1, v2
	v_mov_b32_e32 v6, v1
	s_mov_b32 s3, s12
	s_delay_alu instid0(VALU_DEP_2) | instskip(NEXT) | instid1(VALU_DEP_1)
	v_cndmask_b32_e64 v5, -1, 0x80000000, s2
	v_xor_b32_e32 v5, v5, v2
	v_mov_b32_e32 v2, 1
	s_delay_alu instid0(VALU_DEP_2) | instskip(NEXT) | instid1(VALU_DEP_1)
	v_cmp_ne_u32_e64 s2, 0x7fffffff, v5
	v_cndmask_b32_e64 v5, 0x80000000, v5, s2
	s_mov_b32 s2, s9
	s_branch .LBB137_18
	.p2align	6
.LBB137_17:                             ;   in Loop: Header=BB137_18 Depth=1
	s_or_b32 exec_lo, exec_lo, s10
	v_add_nc_u32_e32 v6, 0x1000, v6
	s_add_i32 s3, s3, 8
	s_add_i32 s2, s2, -8
	s_cmp_lt_u32 s3, s13
	s_cbranch_scc0 .LBB137_20
.LBB137_18:                             ; =>This Inner Loop Header: Depth=1
	s_and_saveexec_b32 s10, s1
	s_cbranch_execz .LBB137_17
; %bb.19:                               ;   in Loop: Header=BB137_18 Depth=1
	v_lshrrev_b32_e32 v8, s3, v5
	s_min_u32 s11, s2, 8
	s_delay_alu instid0(VALU_DEP_1) | instid1(SALU_CYCLE_1)
	v_bfe_u32 v8, v8, 0, s11
	s_delay_alu instid0(VALU_DEP_1)
	v_lshl_add_u32 v8, v8, 4, v6
	ds_add_u32 v8, v2
	s_branch .LBB137_17
.LBB137_20:
	v_cmp_lt_i32_e64 s1, -1, v3
	s_mov_b32 s2, s12
	v_mov_b32_e32 v5, v1
	s_delay_alu instid0(VALU_DEP_2) | instskip(NEXT) | instid1(VALU_DEP_1)
	v_cndmask_b32_e64 v2, -1, 0x80000000, s1
	v_xor_b32_e32 v3, v2, v3
	v_mov_b32_e32 v2, 1
	s_delay_alu instid0(VALU_DEP_2) | instskip(NEXT) | instid1(VALU_DEP_1)
	v_cmp_ne_u32_e64 s1, 0x7fffffff, v3
	v_cndmask_b32_e64 v3, 0x80000000, v3, s1
	s_mov_b32 s1, s9
	s_branch .LBB137_22
	.p2align	6
.LBB137_21:                             ;   in Loop: Header=BB137_22 Depth=1
	s_or_b32 exec_lo, exec_lo, s3
	v_add_nc_u32_e32 v5, 0x1000, v5
	s_add_i32 s2, s2, 8
	s_add_i32 s1, s1, -8
	s_cmp_lt_u32 s2, s13
	s_cbranch_scc0 .LBB137_24
.LBB137_22:                             ; =>This Inner Loop Header: Depth=1
	s_and_saveexec_b32 s3, s0
	s_cbranch_execz .LBB137_21
; %bb.23:                               ;   in Loop: Header=BB137_22 Depth=1
	v_lshrrev_b32_e32 v6, s2, v3
	s_min_u32 s10, s1, 8
	s_delay_alu instid0(VALU_DEP_1) | instid1(SALU_CYCLE_1)
	v_bfe_u32 v6, v6, 0, s10
	s_delay_alu instid0(VALU_DEP_1)
	v_lshl_add_u32 v6, v6, 4, v5
	ds_add_u32 v6, v2
	s_branch .LBB137_21
.LBB137_24:
	v_cmp_lt_i32_e64 s0, -1, v4
	v_mov_b32_e32 v3, 1
	s_delay_alu instid0(VALU_DEP_2) | instskip(NEXT) | instid1(VALU_DEP_1)
	v_cndmask_b32_e64 v2, -1, 0x80000000, s0
	v_xor_b32_e32 v2, v2, v4
	s_delay_alu instid0(VALU_DEP_1) | instskip(NEXT) | instid1(VALU_DEP_1)
	v_cmp_ne_u32_e64 s0, 0x7fffffff, v2
	v_cndmask_b32_e64 v2, 0x80000000, v2, s0
	s_mov_b32 s0, s12
	s_branch .LBB137_26
	.p2align	6
.LBB137_25:                             ;   in Loop: Header=BB137_26 Depth=1
	s_or_b32 exec_lo, exec_lo, s1
	v_add_nc_u32_e32 v1, 0x1000, v1
	s_add_i32 s0, s0, 8
	s_add_i32 s9, s9, -8
	s_cmp_lt_u32 s0, s13
	s_cbranch_scc0 .LBB137_28
.LBB137_26:                             ; =>This Inner Loop Header: Depth=1
	s_and_saveexec_b32 s1, vcc_lo
	s_cbranch_execz .LBB137_25
; %bb.27:                               ;   in Loop: Header=BB137_26 Depth=1
	v_lshrrev_b32_e32 v4, s0, v2
	s_min_u32 s2, s9, 8
	s_delay_alu instid0(VALU_DEP_1) | instid1(SALU_CYCLE_1)
	v_bfe_u32 v4, v4, 0, s2
	s_delay_alu instid0(VALU_DEP_1)
	v_lshl_add_u32 v4, v4, 4, v1
	ds_add_u32 v4, v3
	s_branch .LBB137_25
.LBB137_28:
	s_and_b32 vcc_lo, exec_lo, s8
	s_waitcnt lgkmcnt(0)
	s_barrier
	buffer_gl0_inv
	s_cbranch_vccz .LBB137_33
; %bb.29:
	v_cmp_gt_u32_e32 vcc_lo, 0x100, v0
	v_dual_mov_b32 v2, 0 :: v_dual_lshlrev_b32 v3, 4, v0
	v_mov_b32_e32 v1, v0
	s_mov_b32 s1, s12
	s_set_inst_prefetch_distance 0x1
	s_branch .LBB137_31
	.p2align	6
.LBB137_30:                             ;   in Loop: Header=BB137_31 Depth=1
	s_or_b32 exec_lo, exec_lo, s2
	v_add_nc_u32_e32 v1, 0x100, v1
	v_add_nc_u32_e32 v3, 0x1000, v3
	s_add_i32 s1, s1, 8
	s_delay_alu instid0(SALU_CYCLE_1)
	s_cmp_lt_u32 s1, s13
	s_cbranch_scc0 .LBB137_33
.LBB137_31:                             ; =>This Inner Loop Header: Depth=1
	s_and_saveexec_b32 s2, vcc_lo
	s_cbranch_execz .LBB137_30
; %bb.32:                               ;   in Loop: Header=BB137_31 Depth=1
	ds_load_2addr_b32 v[4:5], v3 offset1:1
	ds_load_2addr_b32 v[8:9], v3 offset0:2 offset1:3
	v_lshlrev_b64 v[10:11], 3, v[1:2]
	s_waitcnt lgkmcnt(1)
	v_add_nc_u32_e32 v6, v5, v4
	s_delay_alu instid0(VALU_DEP_2) | instskip(NEXT) | instid1(VALU_DEP_1)
	v_add_co_u32 v4, s0, s6, v10
	v_add_co_ci_u32_e64 v5, s0, s7, v11, s0
	s_waitcnt lgkmcnt(0)
	s_delay_alu instid0(VALU_DEP_3)
	v_add3_u32 v8, v6, v8, v9
	v_mov_b32_e32 v9, v2
	global_atomic_add_u64 v[4:5], v[8:9], off
	s_branch .LBB137_30
.LBB137_33:
	s_set_inst_prefetch_distance 0x2
	s_mov_b32 s0, 0
.LBB137_34:
	s_delay_alu instid0(SALU_CYCLE_1)
	s_and_b32 vcc_lo, exec_lo, s0
	s_cbranch_vccz .LBB137_58
; %bb.35:
	v_add_co_u32 v3, s0, s4, v7
	s_delay_alu instid0(VALU_DEP_1) | instskip(SKIP_1) | instid1(VALU_DEP_2)
	v_add_co_ci_u32_e64 v4, null, s5, 0, s0
	s_cmp_eq_u32 s12, 0
	v_add_co_u32 v1, vcc_lo, v3, 0x2000
	s_delay_alu instid0(VALU_DEP_2)
	v_add_co_ci_u32_e32 v2, vcc_lo, 0, v4, vcc_lo
	v_add_co_u32 v8, vcc_lo, 0x3000, v3
	v_add_co_ci_u32_e32 v9, vcc_lo, 0, v4, vcc_lo
	s_clause 0x3
	global_load_b32 v6, v7, s[4:5]
	global_load_b32 v3, v[1:2], off
	global_load_b32 v4, v[1:2], off offset:-4096
	global_load_b32 v5, v[8:9], off
	s_cselect_b32 s0, -1, 0
	s_cmp_eq_u32 s13, 32
	v_or_b32_e32 v8, 0xfffffc00, v0
	s_cselect_b32 s1, -1, 0
	s_delay_alu instid0(SALU_CYCLE_1)
	s_and_b32 s1, s0, s1
	s_mov_b32 s0, 0
	s_and_b32 vcc_lo, exec_lo, s1
	s_mov_b32 s1, -1
	s_cbranch_vccnz .LBB137_53
; %bb.36:
	v_or_b32_e32 v1, 0xfffffc00, v0
	v_mov_b32_e32 v2, 0
.LBB137_37:                             ; =>This Inner Loop Header: Depth=1
	s_delay_alu instid0(VALU_DEP_2) | instskip(SKIP_4) | instid1(SALU_CYCLE_1)
	v_add_nc_u32_e32 v1, 0x400, v1
	ds_store_b32 v7, v2
	v_add_nc_u32_e32 v7, 0x1000, v7
	v_cmp_lt_u32_e32 vcc_lo, 0xbff, v1
	s_or_b32 s0, vcc_lo, s0
	s_and_not1_b32 exec_lo, exec_lo, s0
	s_cbranch_execnz .LBB137_37
; %bb.38:
	s_or_b32 exec_lo, exec_lo, s0
	s_cmp_gt_u32 s13, s12
	s_waitcnt vmcnt(0) lgkmcnt(0)
	s_waitcnt_vscnt null, 0x0
	s_cselect_b32 s0, -1, 0
	s_cmp_le_u32 s13, s12
	s_barrier
	buffer_gl0_inv
	s_cbranch_scc1 .LBB137_47
; %bb.39:
	v_cmp_lt_i32_e32 vcc_lo, -1, v6
	s_sub_i32 s1, s13, s12
	s_mov_b32 s3, s12
	s_mov_b32 s2, s1
	v_cndmask_b32_e64 v1, -1, 0x80000000, vcc_lo
	s_delay_alu instid0(VALU_DEP_1) | instskip(NEXT) | instid1(VALU_DEP_1)
	v_xor_b32_e32 v7, v1, v6
	v_cmp_ne_u32_e32 vcc_lo, 0x7fffffff, v7
	v_dual_cndmask_b32 v7, 0x80000000, v7 :: v_dual_and_b32 v2, 3, v0
	s_delay_alu instid0(VALU_DEP_1) | instskip(NEXT) | instid1(VALU_DEP_1)
	v_dual_mov_b32 v2, 1 :: v_dual_lshlrev_b32 v1, 2, v2
	v_mov_b32_e32 v9, v1
.LBB137_40:                             ; =>This Inner Loop Header: Depth=1
	s_delay_alu instid0(VALU_DEP_3)
	v_lshrrev_b32_e32 v10, s3, v7
	s_min_u32 s4, s2, 8
	s_add_i32 s3, s3, 8
	s_add_i32 s2, s2, -8
	s_cmp_ge_u32 s3, s13
	v_bfe_u32 v10, v10, 0, s4
	s_delay_alu instid0(VALU_DEP_1)
	v_lshl_add_u32 v10, v10, 4, v9
	v_add_nc_u32_e32 v9, 0x1000, v9
	ds_add_u32 v10, v2
	s_cbranch_scc0 .LBB137_40
; %bb.41:
	v_cmp_lt_i32_e32 vcc_lo, -1, v4
	v_mov_b32_e32 v9, v1
	s_mov_b32 s2, s1
	s_mov_b32 s3, s12
	v_cndmask_b32_e64 v2, -1, 0x80000000, vcc_lo
	s_delay_alu instid0(VALU_DEP_1) | instskip(NEXT) | instid1(VALU_DEP_1)
	v_xor_b32_e32 v7, v2, v4
	v_cmp_ne_u32_e32 vcc_lo, 0x7fffffff, v7
	v_dual_mov_b32 v2, 1 :: v_dual_cndmask_b32 v7, 0x80000000, v7
.LBB137_42:                             ; =>This Inner Loop Header: Depth=1
	s_delay_alu instid0(VALU_DEP_1)
	v_lshrrev_b32_e32 v10, s3, v7
	s_min_u32 s4, s2, 8
	s_add_i32 s3, s3, 8
	s_add_i32 s2, s2, -8
	s_cmp_lt_u32 s3, s13
	v_bfe_u32 v10, v10, 0, s4
	s_delay_alu instid0(VALU_DEP_1)
	v_lshl_add_u32 v10, v10, 4, v9
	v_add_nc_u32_e32 v9, 0x1000, v9
	ds_add_u32 v10, v2
	s_cbranch_scc1 .LBB137_42
; %bb.43:
	v_cmp_lt_i32_e32 vcc_lo, -1, v3
	v_mov_b32_e32 v9, v1
	s_mov_b32 s2, s1
	s_mov_b32 s3, s12
	v_cndmask_b32_e64 v2, -1, 0x80000000, vcc_lo
	s_delay_alu instid0(VALU_DEP_1) | instskip(NEXT) | instid1(VALU_DEP_1)
	v_xor_b32_e32 v7, v2, v3
	v_cmp_ne_u32_e32 vcc_lo, 0x7fffffff, v7
	v_dual_mov_b32 v2, 1 :: v_dual_cndmask_b32 v7, 0x80000000, v7
.LBB137_44:                             ; =>This Inner Loop Header: Depth=1
	s_delay_alu instid0(VALU_DEP_1)
	v_lshrrev_b32_e32 v10, s3, v7
	s_min_u32 s4, s2, 8
	s_add_i32 s3, s3, 8
	s_add_i32 s2, s2, -8
	s_cmp_lt_u32 s3, s13
	v_bfe_u32 v10, v10, 0, s4
	s_delay_alu instid0(VALU_DEP_1)
	v_lshl_add_u32 v10, v10, 4, v9
	v_add_nc_u32_e32 v9, 0x1000, v9
	ds_add_u32 v10, v2
	s_cbranch_scc1 .LBB137_44
; %bb.45:
	v_cmp_lt_i32_e32 vcc_lo, -1, v5
	s_mov_b32 s2, s12
	v_mov_b32_e32 v7, 1
	v_cndmask_b32_e64 v2, -1, 0x80000000, vcc_lo
	s_delay_alu instid0(VALU_DEP_1) | instskip(NEXT) | instid1(VALU_DEP_1)
	v_xor_b32_e32 v2, v2, v5
	v_cmp_ne_u32_e32 vcc_lo, 0x7fffffff, v2
	v_cndmask_b32_e32 v2, 0x80000000, v2, vcc_lo
.LBB137_46:                             ; =>This Inner Loop Header: Depth=1
	s_delay_alu instid0(VALU_DEP_1)
	v_lshrrev_b32_e32 v9, s2, v2
	s_min_u32 s3, s1, 8
	s_add_i32 s2, s2, 8
	s_add_i32 s1, s1, -8
	s_cmp_lt_u32 s2, s13
	v_bfe_u32 v9, v9, 0, s3
	s_delay_alu instid0(VALU_DEP_1)
	v_lshl_add_u32 v9, v9, 4, v1
	v_add_nc_u32_e32 v1, 0x1000, v1
	ds_add_u32 v9, v7
	s_cbranch_scc1 .LBB137_46
.LBB137_47:
	s_and_b32 vcc_lo, exec_lo, s0
	s_waitcnt lgkmcnt(0)
	s_barrier
	buffer_gl0_inv
	s_cbranch_vccz .LBB137_52
; %bb.48:
	v_cmp_gt_u32_e32 vcc_lo, 0x100, v0
	v_dual_mov_b32 v2, 0 :: v_dual_lshlrev_b32 v7, 4, v0
	v_mov_b32_e32 v1, v0
	s_set_inst_prefetch_distance 0x1
	s_branch .LBB137_50
	.p2align	6
.LBB137_49:                             ;   in Loop: Header=BB137_50 Depth=1
	s_or_b32 exec_lo, exec_lo, s1
	v_add_nc_u32_e32 v1, 0x100, v1
	v_add_nc_u32_e32 v7, 0x1000, v7
	s_add_i32 s12, s12, 8
	s_delay_alu instid0(SALU_CYCLE_1)
	s_cmp_ge_u32 s12, s13
	s_cbranch_scc1 .LBB137_52
.LBB137_50:                             ; =>This Inner Loop Header: Depth=1
	s_and_saveexec_b32 s1, vcc_lo
	s_cbranch_execz .LBB137_49
; %bb.51:                               ;   in Loop: Header=BB137_50 Depth=1
	ds_load_2addr_b32 v[9:10], v7 offset1:1
	ds_load_2addr_b32 v[11:12], v7 offset0:2 offset1:3
	v_lshlrev_b64 v[13:14], 3, v[1:2]
	s_waitcnt lgkmcnt(1)
	v_add_nc_u32_e32 v15, v10, v9
	s_delay_alu instid0(VALU_DEP_2) | instskip(NEXT) | instid1(VALU_DEP_1)
	v_add_co_u32 v9, s0, s6, v13
	v_add_co_ci_u32_e64 v10, s0, s7, v14, s0
	s_waitcnt lgkmcnt(0)
	s_delay_alu instid0(VALU_DEP_3)
	v_add3_u32 v11, v15, v11, v12
	v_mov_b32_e32 v12, v2
	global_atomic_add_u64 v[9:10], v[11:12], off
	s_branch .LBB137_49
.LBB137_52:
	s_set_inst_prefetch_distance 0x2
	s_mov_b32 s1, 0
.LBB137_53:
	s_delay_alu instid0(SALU_CYCLE_1)
	s_and_b32 vcc_lo, exec_lo, s1
	s_cbranch_vccz .LBB137_58
; %bb.54:
	v_dual_mov_b32 v2, 0 :: v_dual_lshlrev_b32 v1, 2, v0
	s_mov_b32 s0, 0
	s_delay_alu instid0(VALU_DEP_1)
	v_mov_b32_e32 v7, v1
.LBB137_55:                             ; =>This Inner Loop Header: Depth=1
	v_add_nc_u32_e32 v8, 0x400, v8
	ds_store_b32 v7, v2
	v_add_nc_u32_e32 v7, 0x1000, v7
	v_cmp_lt_u32_e32 vcc_lo, 0xbff, v8
	s_or_b32 s0, vcc_lo, s0
	s_delay_alu instid0(SALU_CYCLE_1)
	s_and_not1_b32 exec_lo, exec_lo, s0
	s_cbranch_execnz .LBB137_55
; %bb.56:
	s_or_b32 exec_lo, exec_lo, s0
	s_waitcnt vmcnt(3)
	v_cmp_lt_i32_e32 vcc_lo, -1, v6
	s_waitcnt vmcnt(0) lgkmcnt(0)
	s_waitcnt_vscnt null, 0x0
	s_barrier
	buffer_gl0_inv
	s_mov_b32 s0, exec_lo
	v_cndmask_b32_e64 v2, -1, 0x80000000, vcc_lo
	v_mov_b32_e32 v11, 1
	s_delay_alu instid0(VALU_DEP_2) | instskip(NEXT) | instid1(VALU_DEP_1)
	v_xor_b32_e32 v2, v2, v6
	v_cmp_ne_u32_e32 vcc_lo, 0x7fffffff, v2
	v_cndmask_b32_e32 v2, 0x80000000, v2, vcc_lo
	v_cmp_lt_i32_e32 vcc_lo, -1, v4
	v_cndmask_b32_e64 v6, -1, 0x80000000, vcc_lo
	v_cmp_lt_i32_e32 vcc_lo, -1, v3
	s_delay_alu instid0(VALU_DEP_2) | instskip(SKIP_2) | instid1(VALU_DEP_2)
	v_xor_b32_e32 v4, v6, v4
	v_cndmask_b32_e64 v7, -1, 0x80000000, vcc_lo
	v_cmp_lt_i32_e32 vcc_lo, -1, v5
	v_xor_b32_e32 v3, v7, v3
	v_cndmask_b32_e64 v10, -1, 0x80000000, vcc_lo
	v_cmp_ne_u32_e32 vcc_lo, 0x7fffffff, v4
	v_lshlrev_b32_e32 v9, 2, v2
	v_lshrrev_b32_e32 v7, 6, v2
	s_delay_alu instid0(VALU_DEP_4) | instskip(SKIP_3) | instid1(VALU_DEP_3)
	v_xor_b32_e32 v5, v10, v5
	v_cndmask_b32_e32 v4, 0x80000000, v4, vcc_lo
	v_cmp_ne_u32_e32 vcc_lo, 0x7fffffff, v3
	v_and_b32_e32 v8, 3, v0
	v_lshrrev_b32_e32 v10, 6, v4
	v_cndmask_b32_e32 v3, 0x80000000, v3, vcc_lo
	s_delay_alu instid0(VALU_DEP_3)
	v_and_or_b32 v6, 0x3fc, v9, v8
	v_cmp_ne_u32_e32 vcc_lo, 0x7fffffff, v5
	v_lshrrev_b32_e32 v9, 14, v2
	v_lshrrev_b32_e32 v2, 22, v2
	v_and_or_b32 v7, 0x3fc, v7, v8
	v_dual_cndmask_b32 v5, 0x80000000, v5 :: v_dual_lshlrev_b32 v6, 2, v6
	s_delay_alu instid0(VALU_DEP_4) | instskip(NEXT) | instid1(VALU_DEP_4)
	v_and_or_b32 v9, 0x3fc, v9, v8
	v_and_or_b32 v2, 0x3fc, v2, v8
	s_delay_alu instid0(VALU_DEP_4)
	v_lshlrev_b32_e32 v7, 2, v7
	ds_add_u32 v6, v11
	v_lshlrev_b32_e32 v6, 2, v4
	v_lshlrev_b32_e32 v9, 2, v9
	v_and_or_b32 v10, 0x3fc, v10, v8
	v_lshlrev_b32_e32 v2, 2, v2
	ds_add_u32 v7, v11 offset:4096
	ds_add_u32 v9, v11 offset:8192
	;; [unrolled: 1-line block ×3, first 2 shown]
	v_and_or_b32 v6, 0x3fc, v6, v8
	v_lshrrev_b32_e32 v7, 14, v4
	v_lshrrev_b32_e32 v4, 22, v4
	;; [unrolled: 1-line block ×3, first 2 shown]
	s_delay_alu instid0(VALU_DEP_4)
	v_lshlrev_b32_e32 v2, 2, v6
	v_lshlrev_b32_e32 v6, 2, v10
	ds_add_u32 v2, v11
	ds_add_u32 v6, v11 offset:4096
	v_and_or_b32 v2, 0x3fc, v7, v8
	v_lshlrev_b32_e32 v6, 2, v3
	v_and_or_b32 v4, 0x3fc, v4, v8
	v_lshrrev_b32_e32 v7, 6, v3
	v_and_or_b32 v9, 0x3fc, v9, v8
	v_lshlrev_b32_e32 v2, 2, v2
	v_and_or_b32 v6, 0x3fc, v6, v8
	v_lshlrev_b32_e32 v4, 2, v4
	v_and_or_b32 v7, 0x3fc, v7, v8
	ds_add_u32 v2, v11 offset:8192
	ds_add_u32 v4, v11 offset:12288
	v_lshlrev_b32_e32 v2, 2, v6
	v_lshlrev_b32_e32 v4, 2, v7
	;; [unrolled: 1-line block ×3, first 2 shown]
	ds_add_u32 v2, v11
	ds_add_u32 v4, v11 offset:4096
	ds_add_u32 v6, v11 offset:8192
	v_lshrrev_b32_e32 v2, 22, v3
	v_lshlrev_b32_e32 v3, 2, v5
	v_lshrrev_b32_e32 v4, 6, v5
	v_lshrrev_b32_e32 v6, 14, v5
	;; [unrolled: 1-line block ×3, first 2 shown]
	v_and_or_b32 v2, 0x3fc, v2, v8
	v_and_or_b32 v3, 0x3fc, v3, v8
	;; [unrolled: 1-line block ×5, first 2 shown]
	v_lshlrev_b32_e32 v2, 2, v2
	v_lshlrev_b32_e32 v3, 2, v3
	;; [unrolled: 1-line block ×5, first 2 shown]
	ds_add_u32 v2, v11 offset:12288
	ds_add_u32 v3, v11
	ds_add_u32 v4, v11 offset:4096
	ds_add_u32 v6, v11 offset:8192
	;; [unrolled: 1-line block ×3, first 2 shown]
	s_waitcnt lgkmcnt(0)
	s_barrier
	buffer_gl0_inv
	v_cmpx_gt_u32_e32 0x100, v0
	s_cbranch_execz .LBB137_58
; %bb.57:
	v_lshlrev_b32_e32 v6, 2, v1
	v_lshlrev_b32_e32 v7, 3, v0
	ds_load_2addr_b32 v[1:2], v6 offset1:1
	ds_load_2addr_b32 v[3:4], v6 offset0:2 offset1:3
	s_waitcnt lgkmcnt(1)
	v_dual_mov_b32 v1, 0 :: v_dual_add_nc_u32 v2, v2, v1
	s_waitcnt lgkmcnt(0)
	s_delay_alu instid0(VALU_DEP_1)
	v_add3_u32 v0, v2, v3, v4
	v_add_nc_u32_e32 v2, 0x1000, v6
	v_add_nc_u32_e32 v4, 0x1008, v6
	global_atomic_add_u64 v7, v[0:1], s[6:7]
	ds_load_2addr_b32 v[2:3], v2 offset1:1
	ds_load_2addr_b32 v[4:5], v4 offset1:1
	s_waitcnt lgkmcnt(1)
	v_add_nc_u32_e32 v0, v3, v2
	v_add_nc_u32_e32 v2, 0x2000, v6
	s_waitcnt lgkmcnt(0)
	s_delay_alu instid0(VALU_DEP_2)
	v_add3_u32 v0, v0, v4, v5
	v_add_nc_u32_e32 v4, 0x2008, v6
	global_atomic_add_u64 v7, v[0:1], s[6:7] offset:2048
	ds_load_2addr_b32 v[2:3], v2 offset1:1
	ds_load_2addr_b32 v[4:5], v4 offset1:1
	s_waitcnt lgkmcnt(1)
	v_add_nc_u32_e32 v0, v3, v2
	v_or_b32_e32 v2, 0x1000, v7
	v_add_nc_u32_e32 v3, 0x3000, v6
	s_waitcnt lgkmcnt(0)
	s_delay_alu instid0(VALU_DEP_3)
	v_add3_u32 v0, v0, v4, v5
	v_add_nc_u32_e32 v4, 0x3008, v6
	global_atomic_add_u64 v2, v[0:1], s[6:7]
	ds_load_2addr_b32 v[2:3], v3 offset1:1
	ds_load_2addr_b32 v[4:5], v4 offset1:1
	s_waitcnt lgkmcnt(1)
	v_add_nc_u32_e32 v0, v3, v2
	v_or_b32_e32 v2, 0x1800, v7
	s_waitcnt lgkmcnt(0)
	s_delay_alu instid0(VALU_DEP_2)
	v_add3_u32 v0, v0, v4, v5
	global_atomic_add_u64 v2, v[0:1], s[6:7]
.LBB137_58:
	s_nop 0
	s_sendmsg sendmsg(MSG_DEALLOC_VGPRS)
	s_endpgm
	.section	.rodata,"a",@progbits
	.p2align	6, 0x0
	.amdhsa_kernel _ZN7rocprim17ROCPRIM_304000_NS6detail26onesweep_histograms_kernelINS1_34wrapped_radix_sort_onesweep_configINS0_14default_configEfN2at4cuda3cub6detail10OpaqueTypeILi8EEEEELb0EPKfmNS0_19identity_decomposerEEEvT1_PT2_SG_SG_T3_jj
		.amdhsa_group_segment_fixed_size 16384
		.amdhsa_private_segment_fixed_size 0
		.amdhsa_kernarg_size 44
		.amdhsa_user_sgpr_count 15
		.amdhsa_user_sgpr_dispatch_ptr 0
		.amdhsa_user_sgpr_queue_ptr 0
		.amdhsa_user_sgpr_kernarg_segment_ptr 1
		.amdhsa_user_sgpr_dispatch_id 0
		.amdhsa_user_sgpr_private_segment_size 0
		.amdhsa_wavefront_size32 1
		.amdhsa_uses_dynamic_stack 0
		.amdhsa_enable_private_segment 0
		.amdhsa_system_sgpr_workgroup_id_x 1
		.amdhsa_system_sgpr_workgroup_id_y 0
		.amdhsa_system_sgpr_workgroup_id_z 0
		.amdhsa_system_sgpr_workgroup_info 0
		.amdhsa_system_vgpr_workitem_id 0
		.amdhsa_next_free_vgpr 16
		.amdhsa_next_free_sgpr 16
		.amdhsa_reserve_vcc 1
		.amdhsa_float_round_mode_32 0
		.amdhsa_float_round_mode_16_64 0
		.amdhsa_float_denorm_mode_32 3
		.amdhsa_float_denorm_mode_16_64 3
		.amdhsa_dx10_clamp 1
		.amdhsa_ieee_mode 1
		.amdhsa_fp16_overflow 0
		.amdhsa_workgroup_processor_mode 1
		.amdhsa_memory_ordered 1
		.amdhsa_forward_progress 0
		.amdhsa_shared_vgpr_count 0
		.amdhsa_exception_fp_ieee_invalid_op 0
		.amdhsa_exception_fp_denorm_src 0
		.amdhsa_exception_fp_ieee_div_zero 0
		.amdhsa_exception_fp_ieee_overflow 0
		.amdhsa_exception_fp_ieee_underflow 0
		.amdhsa_exception_fp_ieee_inexact 0
		.amdhsa_exception_int_div_zero 0
	.end_amdhsa_kernel
	.section	.text._ZN7rocprim17ROCPRIM_304000_NS6detail26onesweep_histograms_kernelINS1_34wrapped_radix_sort_onesweep_configINS0_14default_configEfN2at4cuda3cub6detail10OpaqueTypeILi8EEEEELb0EPKfmNS0_19identity_decomposerEEEvT1_PT2_SG_SG_T3_jj,"axG",@progbits,_ZN7rocprim17ROCPRIM_304000_NS6detail26onesweep_histograms_kernelINS1_34wrapped_radix_sort_onesweep_configINS0_14default_configEfN2at4cuda3cub6detail10OpaqueTypeILi8EEEEELb0EPKfmNS0_19identity_decomposerEEEvT1_PT2_SG_SG_T3_jj,comdat
.Lfunc_end137:
	.size	_ZN7rocprim17ROCPRIM_304000_NS6detail26onesweep_histograms_kernelINS1_34wrapped_radix_sort_onesweep_configINS0_14default_configEfN2at4cuda3cub6detail10OpaqueTypeILi8EEEEELb0EPKfmNS0_19identity_decomposerEEEvT1_PT2_SG_SG_T3_jj, .Lfunc_end137-_ZN7rocprim17ROCPRIM_304000_NS6detail26onesweep_histograms_kernelINS1_34wrapped_radix_sort_onesweep_configINS0_14default_configEfN2at4cuda3cub6detail10OpaqueTypeILi8EEEEELb0EPKfmNS0_19identity_decomposerEEEvT1_PT2_SG_SG_T3_jj
                                        ; -- End function
	.section	.AMDGPU.csdata,"",@progbits
; Kernel info:
; codeLenInByte = 3220
; NumSgprs: 18
; NumVgprs: 16
; ScratchSize: 0
; MemoryBound: 0
; FloatMode: 240
; IeeeMode: 1
; LDSByteSize: 16384 bytes/workgroup (compile time only)
; SGPRBlocks: 2
; VGPRBlocks: 1
; NumSGPRsForWavesPerEU: 18
; NumVGPRsForWavesPerEU: 16
; Occupancy: 16
; WaveLimiterHint : 1
; COMPUTE_PGM_RSRC2:SCRATCH_EN: 0
; COMPUTE_PGM_RSRC2:USER_SGPR: 15
; COMPUTE_PGM_RSRC2:TRAP_HANDLER: 0
; COMPUTE_PGM_RSRC2:TGID_X_EN: 1
; COMPUTE_PGM_RSRC2:TGID_Y_EN: 0
; COMPUTE_PGM_RSRC2:TGID_Z_EN: 0
; COMPUTE_PGM_RSRC2:TIDIG_COMP_CNT: 0
	.section	.text._ZN7rocprim17ROCPRIM_304000_NS6detail25onesweep_iteration_kernelINS1_34wrapped_radix_sort_onesweep_configINS0_14default_configEfN2at4cuda3cub6detail10OpaqueTypeILi8EEEEELb0EPKfPfPKSA_PSA_mNS0_19identity_decomposerEEEvT1_T2_T3_T4_jPT5_SO_PNS1_23onesweep_lookback_stateET6_jjj,"axG",@progbits,_ZN7rocprim17ROCPRIM_304000_NS6detail25onesweep_iteration_kernelINS1_34wrapped_radix_sort_onesweep_configINS0_14default_configEfN2at4cuda3cub6detail10OpaqueTypeILi8EEEEELb0EPKfPfPKSA_PSA_mNS0_19identity_decomposerEEEvT1_T2_T3_T4_jPT5_SO_PNS1_23onesweep_lookback_stateET6_jjj,comdat
	.protected	_ZN7rocprim17ROCPRIM_304000_NS6detail25onesweep_iteration_kernelINS1_34wrapped_radix_sort_onesweep_configINS0_14default_configEfN2at4cuda3cub6detail10OpaqueTypeILi8EEEEELb0EPKfPfPKSA_PSA_mNS0_19identity_decomposerEEEvT1_T2_T3_T4_jPT5_SO_PNS1_23onesweep_lookback_stateET6_jjj ; -- Begin function _ZN7rocprim17ROCPRIM_304000_NS6detail25onesweep_iteration_kernelINS1_34wrapped_radix_sort_onesweep_configINS0_14default_configEfN2at4cuda3cub6detail10OpaqueTypeILi8EEEEELb0EPKfPfPKSA_PSA_mNS0_19identity_decomposerEEEvT1_T2_T3_T4_jPT5_SO_PNS1_23onesweep_lookback_stateET6_jjj
	.globl	_ZN7rocprim17ROCPRIM_304000_NS6detail25onesweep_iteration_kernelINS1_34wrapped_radix_sort_onesweep_configINS0_14default_configEfN2at4cuda3cub6detail10OpaqueTypeILi8EEEEELb0EPKfPfPKSA_PSA_mNS0_19identity_decomposerEEEvT1_T2_T3_T4_jPT5_SO_PNS1_23onesweep_lookback_stateET6_jjj
	.p2align	8
	.type	_ZN7rocprim17ROCPRIM_304000_NS6detail25onesweep_iteration_kernelINS1_34wrapped_radix_sort_onesweep_configINS0_14default_configEfN2at4cuda3cub6detail10OpaqueTypeILi8EEEEELb0EPKfPfPKSA_PSA_mNS0_19identity_decomposerEEEvT1_T2_T3_T4_jPT5_SO_PNS1_23onesweep_lookback_stateET6_jjj,@function
_ZN7rocprim17ROCPRIM_304000_NS6detail25onesweep_iteration_kernelINS1_34wrapped_radix_sort_onesweep_configINS0_14default_configEfN2at4cuda3cub6detail10OpaqueTypeILi8EEEEELb0EPKfPfPKSA_PSA_mNS0_19identity_decomposerEEEvT1_T2_T3_T4_jPT5_SO_PNS1_23onesweep_lookback_stateET6_jjj: ; @_ZN7rocprim17ROCPRIM_304000_NS6detail25onesweep_iteration_kernelINS1_34wrapped_radix_sort_onesweep_configINS0_14default_configEfN2at4cuda3cub6detail10OpaqueTypeILi8EEEEELb0EPKfPfPKSA_PSA_mNS0_19identity_decomposerEEEvT1_T2_T3_T4_jPT5_SO_PNS1_23onesweep_lookback_stateET6_jjj
; %bb.0:
	s_clause 0x3
	s_load_b128 s[28:31], s[0:1], 0x44
	s_load_b256 s[16:23], s[0:1], 0x0
	s_load_b128 s[24:27], s[0:1], 0x28
	s_load_b64 s[12:13], s[0:1], 0x38
	v_and_b32_e32 v5, 0x3ff, v0
	v_mbcnt_lo_u32_b32 v12, -1, 0
	s_waitcnt lgkmcnt(0)
	s_cmp_ge_u32 s15, s30
	s_cbranch_scc0 .LBB138_66
; %bb.1:
	s_load_b32 s8, s[0:1], 0x20
	s_brev_b32 s4, -2
	s_lshl_b32 s9, s30, 12
	s_mov_b32 s5, s4
	s_mov_b32 s6, s4
	;; [unrolled: 1-line block ×3, first 2 shown]
	v_lshlrev_b32_e32 v13, 2, v5
	s_lshl_b32 s30, s15, 12
	s_mov_b32 s31, 0
	v_lshlrev_b32_e32 v1, 2, v12
	s_lshl_b64 s[2:3], s[30:31], 2
	v_and_b32_e32 v10, 0xf80, v13
	s_delay_alu instid0(VALU_DEP_1)
	v_lshlrev_b32_e32 v2, 2, v10
	s_waitcnt lgkmcnt(0)
	s_sub_i32 s34, s8, s9
	s_add_u32 s2, s16, s2
	s_addc_u32 s3, s17, s3
	v_add_co_u32 v1, s2, s2, v1
	s_delay_alu instid0(VALU_DEP_1) | instskip(NEXT) | instid1(VALU_DEP_2)
	v_add_co_ci_u32_e64 v3, null, s3, 0, s2
	v_add_co_u32 v6, s2, v1, v2
	s_delay_alu instid0(VALU_DEP_1)
	v_add_co_ci_u32_e64 v7, s2, 0, v3, s2
	v_mov_b32_e32 v1, s4
	v_mov_b32_e32 v3, s6
	v_or_b32_e32 v8, v12, v10
	v_mov_b32_e32 v2, s5
	v_mov_b32_e32 v4, s7
	s_delay_alu instid0(VALU_DEP_3)
	v_cmp_gt_u32_e32 vcc_lo, s34, v8
	s_and_saveexec_b32 s2, vcc_lo
	s_cbranch_execz .LBB138_3
; %bb.2:
	global_load_b32 v1, v[6:7], off
	v_bfrev_b32_e32 v2, -2
	s_delay_alu instid0(VALU_DEP_1)
	v_mov_b32_e32 v3, v2
	v_mov_b32_e32 v4, v2
.LBB138_3:
	s_or_b32 exec_lo, exec_lo, s2
	v_add_nc_u32_e32 v9, 32, v8
	s_delay_alu instid0(VALU_DEP_1) | instskip(NEXT) | instid1(VALU_DEP_1)
	v_cmp_gt_u32_e64 s2, s34, v9
	s_and_saveexec_b32 s3, s2
	s_cbranch_execz .LBB138_5
; %bb.4:
	global_load_b32 v2, v[6:7], off offset:128
.LBB138_5:
	s_or_b32 exec_lo, exec_lo, s3
	v_add_nc_u32_e32 v9, 64, v8
	s_delay_alu instid0(VALU_DEP_1) | instskip(NEXT) | instid1(VALU_DEP_1)
	v_cmp_gt_u32_e64 s3, s34, v9
	s_and_saveexec_b32 s4, s3
	s_cbranch_execz .LBB138_7
; %bb.6:
	global_load_b32 v3, v[6:7], off offset:256
.LBB138_7:
	s_or_b32 exec_lo, exec_lo, s4
	v_add_nc_u32_e32 v8, 0x60, v8
	s_delay_alu instid0(VALU_DEP_1) | instskip(NEXT) | instid1(VALU_DEP_1)
	v_cmp_gt_u32_e64 s4, s34, v8
	s_and_saveexec_b32 s5, s4
	s_cbranch_execz .LBB138_9
; %bb.8:
	global_load_b32 v4, v[6:7], off offset:384
.LBB138_9:
	s_or_b32 exec_lo, exec_lo, s5
	s_clause 0x1
	s_load_b32 s5, s[0:1], 0x5c
	s_load_b32 s14, s[0:1], 0x50
	s_add_u32 s6, s0, 0x50
	s_addc_u32 s7, s1, 0
	s_waitcnt lgkmcnt(0)
	s_lshr_b32 s8, s5, 16
	s_cmp_lt_u32 s15, s14
	s_cselect_b32 s5, 12, 18
	s_delay_alu instid0(SALU_CYCLE_1) | instskip(SKIP_3) | instid1(VALU_DEP_1)
	s_add_u32 s6, s6, s5
	s_waitcnt vmcnt(0)
	v_cmp_lt_i32_e64 s5, -1, v1
	s_addc_u32 s7, s7, 0
	v_cndmask_b32_e64 v7, -1, 0x80000000, s5
	s_delay_alu instid0(VALU_DEP_1) | instskip(NEXT) | instid1(VALU_DEP_1)
	v_xor_b32_e32 v11, v7, v1
	v_cmp_ne_u32_e64 s5, 0x7fffffff, v11
	s_delay_alu instid0(VALU_DEP_1) | instskip(SKIP_1) | instid1(SALU_CYCLE_1)
	v_cndmask_b32_e64 v1, 0x80000000, v11, s5
	s_lshl_b32 s5, -1, s29
	s_not_b32 s33, s5
	s_delay_alu instid0(VALU_DEP_1) | instskip(NEXT) | instid1(VALU_DEP_1)
	v_lshrrev_b32_e32 v1, s28, v1
	v_dual_mov_b32 v9, 0 :: v_dual_and_b32 v16, s33, v1
	global_load_u16 v6, v9, s[6:7]
	v_bfe_u32 v1, v0, 10, 10
	v_and_b32_e32 v7, 1, v16
	v_lshlrev_b32_e32 v8, 30, v16
	v_lshlrev_b32_e32 v14, 29, v16
	;; [unrolled: 1-line block ×4, first 2 shown]
	v_add_co_u32 v7, s5, v7, -1
	s_delay_alu instid0(VALU_DEP_1)
	v_cndmask_b32_e64 v17, 0, 1, s5
	v_not_b32_e32 v21, v8
	v_cmp_gt_i32_e64 s6, 0, v8
	v_not_b32_e32 v8, v14
	v_lshlrev_b32_e32 v19, 26, v16
	v_cmp_ne_u32_e64 s5, 0, v17
	v_ashrrev_i32_e32 v21, 31, v21
	v_lshlrev_b32_e32 v20, 25, v16
	v_ashrrev_i32_e32 v8, 31, v8
	v_lshlrev_b32_e32 v17, 24, v16
	v_xor_b32_e32 v7, s5, v7
	v_cmp_gt_i32_e64 s5, 0, v14
	v_not_b32_e32 v14, v15
	v_xor_b32_e32 v21, s6, v21
	v_cmp_gt_i32_e64 s6, 0, v15
	v_and_b32_e32 v7, exec_lo, v7
	v_not_b32_e32 v15, v18
	v_ashrrev_i32_e32 v14, 31, v14
	v_xor_b32_e32 v8, s5, v8
	v_cmp_gt_i32_e64 s5, 0, v18
	v_and_b32_e32 v7, v7, v21
	v_not_b32_e32 v18, v19
	v_ashrrev_i32_e32 v15, 31, v15
	v_xor_b32_e32 v14, s6, v14
	v_cmp_gt_i32_e64 s6, 0, v19
	v_and_b32_e32 v7, v7, v8
	;; [unrolled: 5-line block ×4, first 2 shown]
	v_bfe_u32 v15, v0, 20, 10
	v_ashrrev_i32_e32 v14, 31, v14
	v_xor_b32_e32 v8, s5, v8
	v_mul_u32_u24_e32 v17, 9, v5
	v_and_b32_e32 v7, v7, v18
	v_mad_u32_u24 v1, v15, s8, v1
	v_xor_b32_e32 v15, s6, v14
	s_delay_alu instid0(VALU_DEP_4) | instskip(NEXT) | instid1(VALU_DEP_4)
	v_lshlrev_b32_e32 v14, 2, v17
	v_and_b32_e32 v18, v7, v8
	ds_store_2addr_b32 v14, v9, v9 offset0:32 offset1:33
	ds_store_2addr_b32 v14, v9, v9 offset0:34 offset1:35
	;; [unrolled: 1-line block ×4, first 2 shown]
	ds_store_b32 v14, v9 offset:160
	s_waitcnt vmcnt(0) lgkmcnt(0)
	s_barrier
	buffer_gl0_inv
	; wave barrier
	v_mad_u64_u32 v[7:8], null, v1, v6, v[5:6]
	v_and_b32_e32 v6, v18, v15
	s_delay_alu instid0(VALU_DEP_1) | instskip(NEXT) | instid1(VALU_DEP_3)
	v_mbcnt_lo_u32_b32 v15, v6, 0
	v_lshrrev_b32_e32 v1, 5, v7
	v_lshl_add_u32 v7, v16, 5, v16
	v_cmp_ne_u32_e64 s6, 0, v6
	s_delay_alu instid0(VALU_DEP_4) | instskip(NEXT) | instid1(VALU_DEP_3)
	v_cmp_eq_u32_e64 s5, 0, v15
	v_add_lshl_u32 v16, v7, v1, 2
	s_delay_alu instid0(VALU_DEP_2) | instskip(NEXT) | instid1(SALU_CYCLE_1)
	s_and_b32 s6, s6, s5
	s_and_saveexec_b32 s5, s6
	s_cbranch_execz .LBB138_11
; %bb.10:
	v_bcnt_u32_b32 v6, v6, 0
	ds_store_b32 v16, v6 offset:128
.LBB138_11:
	s_or_b32 exec_lo, exec_lo, s5
	v_cmp_lt_i32_e64 s5, -1, v2
	; wave barrier
	s_delay_alu instid0(VALU_DEP_1) | instskip(NEXT) | instid1(VALU_DEP_1)
	v_cndmask_b32_e64 v6, -1, 0x80000000, s5
	v_xor_b32_e32 v17, v6, v2
	s_delay_alu instid0(VALU_DEP_1) | instskip(NEXT) | instid1(VALU_DEP_1)
	v_cmp_ne_u32_e64 s5, 0x7fffffff, v17
	v_cndmask_b32_e64 v2, 0x80000000, v17, s5
	s_delay_alu instid0(VALU_DEP_1) | instskip(NEXT) | instid1(VALU_DEP_1)
	v_lshrrev_b32_e32 v2, s28, v2
	v_and_b32_e32 v2, s33, v2
	s_delay_alu instid0(VALU_DEP_1)
	v_and_b32_e32 v6, 1, v2
	v_lshlrev_b32_e32 v7, 30, v2
	v_lshlrev_b32_e32 v8, 29, v2
	;; [unrolled: 1-line block ×4, first 2 shown]
	v_add_co_u32 v6, s5, v6, -1
	s_delay_alu instid0(VALU_DEP_1)
	v_cndmask_b32_e64 v18, 0, 1, s5
	v_not_b32_e32 v22, v7
	v_cmp_gt_i32_e64 s6, 0, v7
	v_not_b32_e32 v7, v8
	v_lshlrev_b32_e32 v20, 26, v2
	v_cmp_ne_u32_e64 s5, 0, v18
	v_ashrrev_i32_e32 v22, 31, v22
	v_lshlrev_b32_e32 v21, 25, v2
	v_ashrrev_i32_e32 v7, 31, v7
	v_lshlrev_b32_e32 v18, 24, v2
	v_xor_b32_e32 v6, s5, v6
	v_cmp_gt_i32_e64 s5, 0, v8
	v_not_b32_e32 v8, v9
	v_xor_b32_e32 v22, s6, v22
	v_cmp_gt_i32_e64 s6, 0, v9
	v_and_b32_e32 v6, exec_lo, v6
	v_not_b32_e32 v9, v19
	v_ashrrev_i32_e32 v8, 31, v8
	v_xor_b32_e32 v7, s5, v7
	v_cmp_gt_i32_e64 s5, 0, v19
	v_and_b32_e32 v6, v6, v22
	v_not_b32_e32 v19, v20
	v_ashrrev_i32_e32 v9, 31, v9
	v_xor_b32_e32 v8, s6, v8
	v_cmp_gt_i32_e64 s6, 0, v20
	v_and_b32_e32 v6, v6, v7
	;; [unrolled: 5-line block ×3, first 2 shown]
	v_not_b32_e32 v8, v18
	v_ashrrev_i32_e32 v7, 31, v7
	v_xor_b32_e32 v19, s6, v19
	v_lshl_add_u32 v2, v2, 5, v2
	v_and_b32_e32 v6, v6, v9
	v_cmp_gt_i32_e64 s6, 0, v18
	v_ashrrev_i32_e32 v8, 31, v8
	v_xor_b32_e32 v7, s5, v7
	v_add_lshl_u32 v21, v2, v1, 2
	v_and_b32_e32 v6, v6, v19
	s_delay_alu instid0(VALU_DEP_4) | instskip(SKIP_2) | instid1(VALU_DEP_1)
	v_xor_b32_e32 v2, s6, v8
	ds_load_b32 v18, v21 offset:128
	v_and_b32_e32 v6, v6, v7
	; wave barrier
	v_and_b32_e32 v2, v6, v2
	s_delay_alu instid0(VALU_DEP_1) | instskip(SKIP_1) | instid1(VALU_DEP_2)
	v_mbcnt_lo_u32_b32 v19, v2, 0
	v_cmp_ne_u32_e64 s6, 0, v2
	v_cmp_eq_u32_e64 s5, 0, v19
	s_delay_alu instid0(VALU_DEP_1) | instskip(NEXT) | instid1(SALU_CYCLE_1)
	s_and_b32 s6, s6, s5
	s_and_saveexec_b32 s5, s6
	s_cbranch_execz .LBB138_13
; %bb.12:
	s_waitcnt lgkmcnt(0)
	v_bcnt_u32_b32 v2, v2, v18
	ds_store_b32 v21, v2 offset:128
.LBB138_13:
	s_or_b32 exec_lo, exec_lo, s5
	v_cmp_lt_i32_e64 s5, -1, v3
	; wave barrier
	s_delay_alu instid0(VALU_DEP_1) | instskip(NEXT) | instid1(VALU_DEP_1)
	v_cndmask_b32_e64 v2, -1, 0x80000000, s5
	v_xor_b32_e32 v20, v2, v3
	s_delay_alu instid0(VALU_DEP_1) | instskip(NEXT) | instid1(VALU_DEP_1)
	v_cmp_ne_u32_e64 s5, 0x7fffffff, v20
	v_cndmask_b32_e64 v2, 0x80000000, v20, s5
	s_delay_alu instid0(VALU_DEP_1) | instskip(NEXT) | instid1(VALU_DEP_1)
	v_lshrrev_b32_e32 v2, s28, v2
	v_and_b32_e32 v2, s33, v2
	s_delay_alu instid0(VALU_DEP_1)
	v_and_b32_e32 v3, 1, v2
	v_lshlrev_b32_e32 v6, 30, v2
	v_lshlrev_b32_e32 v7, 29, v2
	;; [unrolled: 1-line block ×4, first 2 shown]
	v_add_co_u32 v3, s5, v3, -1
	s_delay_alu instid0(VALU_DEP_1)
	v_cndmask_b32_e64 v9, 0, 1, s5
	v_not_b32_e32 v25, v6
	v_cmp_gt_i32_e64 s6, 0, v6
	v_not_b32_e32 v6, v7
	v_lshlrev_b32_e32 v23, 26, v2
	v_cmp_ne_u32_e64 s5, 0, v9
	v_ashrrev_i32_e32 v25, 31, v25
	v_lshlrev_b32_e32 v24, 25, v2
	v_ashrrev_i32_e32 v6, 31, v6
	v_lshlrev_b32_e32 v9, 24, v2
	v_xor_b32_e32 v3, s5, v3
	v_cmp_gt_i32_e64 s5, 0, v7
	v_not_b32_e32 v7, v8
	v_xor_b32_e32 v25, s6, v25
	v_cmp_gt_i32_e64 s6, 0, v8
	v_and_b32_e32 v3, exec_lo, v3
	v_not_b32_e32 v8, v22
	v_ashrrev_i32_e32 v7, 31, v7
	v_xor_b32_e32 v6, s5, v6
	v_cmp_gt_i32_e64 s5, 0, v22
	v_and_b32_e32 v3, v3, v25
	v_not_b32_e32 v22, v23
	v_ashrrev_i32_e32 v8, 31, v8
	v_xor_b32_e32 v7, s6, v7
	v_cmp_gt_i32_e64 s6, 0, v23
	v_and_b32_e32 v3, v3, v6
	;; [unrolled: 5-line block ×3, first 2 shown]
	v_not_b32_e32 v7, v9
	v_ashrrev_i32_e32 v6, 31, v6
	v_xor_b32_e32 v22, s6, v22
	v_lshl_add_u32 v2, v2, 5, v2
	v_and_b32_e32 v3, v3, v8
	v_cmp_gt_i32_e64 s6, 0, v9
	v_ashrrev_i32_e32 v7, 31, v7
	v_xor_b32_e32 v6, s5, v6
	v_add_lshl_u32 v25, v2, v1, 2
	v_and_b32_e32 v3, v3, v22
	s_delay_alu instid0(VALU_DEP_4) | instskip(SKIP_2) | instid1(VALU_DEP_1)
	v_xor_b32_e32 v2, s6, v7
	ds_load_b32 v22, v25 offset:128
	v_and_b32_e32 v3, v3, v6
	; wave barrier
	v_and_b32_e32 v2, v3, v2
	s_delay_alu instid0(VALU_DEP_1) | instskip(SKIP_1) | instid1(VALU_DEP_2)
	v_mbcnt_lo_u32_b32 v23, v2, 0
	v_cmp_ne_u32_e64 s6, 0, v2
	v_cmp_eq_u32_e64 s5, 0, v23
	s_delay_alu instid0(VALU_DEP_1) | instskip(NEXT) | instid1(SALU_CYCLE_1)
	s_and_b32 s6, s6, s5
	s_and_saveexec_b32 s5, s6
	s_cbranch_execz .LBB138_15
; %bb.14:
	s_waitcnt lgkmcnt(0)
	v_bcnt_u32_b32 v2, v2, v22
	ds_store_b32 v25, v2 offset:128
.LBB138_15:
	s_or_b32 exec_lo, exec_lo, s5
	v_cmp_lt_i32_e64 s5, -1, v4
	; wave barrier
	v_add_nc_u32_e32 v29, 0x80, v14
	s_delay_alu instid0(VALU_DEP_2) | instskip(NEXT) | instid1(VALU_DEP_1)
	v_cndmask_b32_e64 v2, -1, 0x80000000, s5
	v_xor_b32_e32 v24, v2, v4
	s_delay_alu instid0(VALU_DEP_1) | instskip(NEXT) | instid1(VALU_DEP_1)
	v_cmp_ne_u32_e64 s5, 0x7fffffff, v24
	v_cndmask_b32_e64 v2, 0x80000000, v24, s5
	s_delay_alu instid0(VALU_DEP_1) | instskip(NEXT) | instid1(VALU_DEP_1)
	v_lshrrev_b32_e32 v2, s28, v2
	v_and_b32_e32 v2, s33, v2
	s_delay_alu instid0(VALU_DEP_1)
	v_and_b32_e32 v3, 1, v2
	v_lshlrev_b32_e32 v4, 30, v2
	v_lshlrev_b32_e32 v6, 29, v2
	;; [unrolled: 1-line block ×4, first 2 shown]
	v_add_co_u32 v3, s5, v3, -1
	s_delay_alu instid0(VALU_DEP_1)
	v_cndmask_b32_e64 v8, 0, 1, s5
	v_not_b32_e32 v28, v4
	v_cmp_gt_i32_e64 s6, 0, v4
	v_not_b32_e32 v4, v6
	v_lshlrev_b32_e32 v26, 26, v2
	v_cmp_ne_u32_e64 s5, 0, v8
	v_ashrrev_i32_e32 v28, 31, v28
	v_lshlrev_b32_e32 v27, 25, v2
	v_ashrrev_i32_e32 v4, 31, v4
	v_lshlrev_b32_e32 v8, 24, v2
	v_xor_b32_e32 v3, s5, v3
	v_cmp_gt_i32_e64 s5, 0, v6
	v_not_b32_e32 v6, v7
	v_xor_b32_e32 v28, s6, v28
	v_cmp_gt_i32_e64 s6, 0, v7
	v_and_b32_e32 v3, exec_lo, v3
	v_not_b32_e32 v7, v9
	v_ashrrev_i32_e32 v6, 31, v6
	v_xor_b32_e32 v4, s5, v4
	v_cmp_gt_i32_e64 s5, 0, v9
	v_and_b32_e32 v3, v3, v28
	v_not_b32_e32 v9, v26
	v_ashrrev_i32_e32 v7, 31, v7
	v_xor_b32_e32 v6, s6, v6
	v_cmp_gt_i32_e64 s6, 0, v26
	v_and_b32_e32 v3, v3, v4
	;; [unrolled: 5-line block ×3, first 2 shown]
	v_not_b32_e32 v6, v8
	v_ashrrev_i32_e32 v4, 31, v4
	v_xor_b32_e32 v9, s6, v9
	v_lshl_add_u32 v2, v2, 5, v2
	v_and_b32_e32 v3, v3, v7
	v_cmp_gt_i32_e64 s6, 0, v8
	v_ashrrev_i32_e32 v6, 31, v6
	v_xor_b32_e32 v4, s5, v4
	v_add_lshl_u32 v28, v2, v1, 2
	v_and_b32_e32 v3, v3, v9
	s_delay_alu instid0(VALU_DEP_4) | instskip(SKIP_2) | instid1(VALU_DEP_1)
	v_xor_b32_e32 v1, s6, v6
	ds_load_b32 v26, v28 offset:128
	v_and_b32_e32 v2, v3, v4
	; wave barrier
	v_and_b32_e32 v1, v2, v1
	s_delay_alu instid0(VALU_DEP_1) | instskip(SKIP_1) | instid1(VALU_DEP_2)
	v_mbcnt_lo_u32_b32 v27, v1, 0
	v_cmp_ne_u32_e64 s6, 0, v1
	v_cmp_eq_u32_e64 s5, 0, v27
	s_delay_alu instid0(VALU_DEP_1) | instskip(NEXT) | instid1(SALU_CYCLE_1)
	s_and_b32 s6, s6, s5
	s_and_saveexec_b32 s5, s6
	s_cbranch_execz .LBB138_17
; %bb.16:
	s_waitcnt lgkmcnt(0)
	v_bcnt_u32_b32 v1, v1, v26
	ds_store_b32 v28, v1 offset:128
.LBB138_17:
	s_or_b32 exec_lo, exec_lo, s5
	; wave barrier
	s_waitcnt lgkmcnt(0)
	s_barrier
	buffer_gl0_inv
	ds_load_2addr_b32 v[8:9], v14 offset0:32 offset1:33
	ds_load_2addr_b32 v[6:7], v29 offset0:2 offset1:3
	ds_load_2addr_b32 v[3:4], v29 offset0:4 offset1:5
	ds_load_2addr_b32 v[1:2], v29 offset0:6 offset1:7
	ds_load_b32 v30, v29 offset:32
	v_and_b32_e32 v33, 16, v12
	v_and_b32_e32 v34, 31, v5
	s_mov_b32 s11, exec_lo
	s_delay_alu instid0(VALU_DEP_2) | instskip(SKIP_3) | instid1(VALU_DEP_1)
	v_cmp_eq_u32_e64 s9, 0, v33
	s_waitcnt lgkmcnt(3)
	v_add3_u32 v31, v9, v8, v6
	s_waitcnt lgkmcnt(2)
	v_add3_u32 v31, v31, v7, v3
	s_waitcnt lgkmcnt(1)
	s_delay_alu instid0(VALU_DEP_1) | instskip(SKIP_1) | instid1(VALU_DEP_1)
	v_add3_u32 v31, v31, v4, v1
	s_waitcnt lgkmcnt(0)
	v_add3_u32 v30, v31, v2, v30
	v_and_b32_e32 v31, 15, v12
	s_delay_alu instid0(VALU_DEP_2) | instskip(NEXT) | instid1(VALU_DEP_2)
	v_mov_b32_dpp v32, v30 row_shr:1 row_mask:0xf bank_mask:0xf
	v_cmp_eq_u32_e64 s5, 0, v31
	v_cmp_lt_u32_e64 s6, 1, v31
	v_cmp_lt_u32_e64 s7, 3, v31
	;; [unrolled: 1-line block ×3, first 2 shown]
	s_delay_alu instid0(VALU_DEP_4) | instskip(NEXT) | instid1(VALU_DEP_1)
	v_cndmask_b32_e64 v32, v32, 0, s5
	v_add_nc_u32_e32 v30, v32, v30
	s_delay_alu instid0(VALU_DEP_1) | instskip(NEXT) | instid1(VALU_DEP_1)
	v_mov_b32_dpp v32, v30 row_shr:2 row_mask:0xf bank_mask:0xf
	v_cndmask_b32_e64 v32, 0, v32, s6
	s_delay_alu instid0(VALU_DEP_1) | instskip(NEXT) | instid1(VALU_DEP_1)
	v_add_nc_u32_e32 v30, v30, v32
	v_mov_b32_dpp v32, v30 row_shr:4 row_mask:0xf bank_mask:0xf
	s_delay_alu instid0(VALU_DEP_1) | instskip(NEXT) | instid1(VALU_DEP_1)
	v_cndmask_b32_e64 v32, 0, v32, s7
	v_add_nc_u32_e32 v30, v30, v32
	s_delay_alu instid0(VALU_DEP_1) | instskip(NEXT) | instid1(VALU_DEP_1)
	v_mov_b32_dpp v32, v30 row_shr:8 row_mask:0xf bank_mask:0xf
	v_cndmask_b32_e64 v31, 0, v32, s8
	v_bfe_i32 v32, v12, 4, 1
	s_delay_alu instid0(VALU_DEP_2) | instskip(SKIP_4) | instid1(VALU_DEP_2)
	v_add_nc_u32_e32 v30, v30, v31
	ds_swizzle_b32 v31, v30 offset:swizzle(BROADCAST,32,15)
	s_waitcnt lgkmcnt(0)
	v_and_b32_e32 v32, v32, v31
	v_lshrrev_b32_e32 v31, 5, v5
	v_add_nc_u32_e32 v30, v30, v32
	v_cmpx_eq_u32_e32 31, v34
	s_cbranch_execz .LBB138_19
; %bb.18:
	s_delay_alu instid0(VALU_DEP_3)
	v_lshlrev_b32_e32 v32, 2, v31
	ds_store_b32 v32, v30
.LBB138_19:
	s_or_b32 exec_lo, exec_lo, s11
	v_cmp_lt_u32_e64 s10, 31, v5
	s_mov_b32 s35, exec_lo
	s_waitcnt lgkmcnt(0)
	s_barrier
	buffer_gl0_inv
	v_cmpx_gt_u32_e32 32, v5
	s_cbranch_execz .LBB138_21
; %bb.20:
	ds_load_b32 v32, v13
	s_waitcnt lgkmcnt(0)
	v_mov_b32_dpp v33, v32 row_shr:1 row_mask:0xf bank_mask:0xf
	s_delay_alu instid0(VALU_DEP_1) | instskip(NEXT) | instid1(VALU_DEP_1)
	v_cndmask_b32_e64 v33, v33, 0, s5
	v_add_nc_u32_e32 v32, v33, v32
	s_delay_alu instid0(VALU_DEP_1) | instskip(NEXT) | instid1(VALU_DEP_1)
	v_mov_b32_dpp v33, v32 row_shr:2 row_mask:0xf bank_mask:0xf
	v_cndmask_b32_e64 v33, 0, v33, s6
	s_delay_alu instid0(VALU_DEP_1) | instskip(NEXT) | instid1(VALU_DEP_1)
	v_add_nc_u32_e32 v32, v32, v33
	v_mov_b32_dpp v33, v32 row_shr:4 row_mask:0xf bank_mask:0xf
	s_delay_alu instid0(VALU_DEP_1) | instskip(NEXT) | instid1(VALU_DEP_1)
	v_cndmask_b32_e64 v33, 0, v33, s7
	v_add_nc_u32_e32 v32, v32, v33
	s_delay_alu instid0(VALU_DEP_1) | instskip(NEXT) | instid1(VALU_DEP_1)
	v_mov_b32_dpp v33, v32 row_shr:8 row_mask:0xf bank_mask:0xf
	v_cndmask_b32_e64 v33, 0, v33, s8
	s_delay_alu instid0(VALU_DEP_1) | instskip(SKIP_3) | instid1(VALU_DEP_1)
	v_add_nc_u32_e32 v32, v32, v33
	ds_swizzle_b32 v33, v32 offset:swizzle(BROADCAST,32,15)
	s_waitcnt lgkmcnt(0)
	v_cndmask_b32_e64 v33, v33, 0, s9
	v_add_nc_u32_e32 v32, v32, v33
	ds_store_b32 v13, v32
.LBB138_21:
	s_or_b32 exec_lo, exec_lo, s35
	v_mov_b32_e32 v32, 0
	s_waitcnt lgkmcnt(0)
	s_barrier
	buffer_gl0_inv
	s_and_saveexec_b32 s5, s10
	s_cbranch_execz .LBB138_23
; %bb.22:
	v_lshl_add_u32 v31, v31, 2, -4
	ds_load_b32 v32, v31
.LBB138_23:
	s_or_b32 exec_lo, exec_lo, s5
	v_add_nc_u32_e32 v31, -1, v12
	s_waitcnt lgkmcnt(0)
	v_add_nc_u32_e32 v30, v32, v30
	s_delay_alu instid0(VALU_DEP_2) | instskip(NEXT) | instid1(VALU_DEP_1)
	v_cmp_gt_i32_e64 s5, 0, v31
	v_cndmask_b32_e64 v31, v31, v12, s5
	v_cmp_eq_u32_e64 s5, 0, v12
	s_delay_alu instid0(VALU_DEP_2) | instskip(SKIP_4) | instid1(VALU_DEP_1)
	v_lshlrev_b32_e32 v31, 2, v31
	ds_bpermute_b32 v30, v31, v30
	s_waitcnt lgkmcnt(0)
	v_cndmask_b32_e64 v30, v30, v32, s5
	v_cmp_ne_u32_e64 s5, 0, v5
	v_cndmask_b32_e64 v30, 0, v30, s5
	v_cmp_gt_u32_e64 s5, 0x100, v5
	s_delay_alu instid0(VALU_DEP_2) | instskip(NEXT) | instid1(VALU_DEP_1)
	v_add_nc_u32_e32 v8, v30, v8
	v_add_nc_u32_e32 v9, v8, v9
	s_delay_alu instid0(VALU_DEP_1) | instskip(NEXT) | instid1(VALU_DEP_1)
	v_add_nc_u32_e32 v6, v9, v6
	v_add_nc_u32_e32 v7, v6, v7
	s_delay_alu instid0(VALU_DEP_1) | instskip(NEXT) | instid1(VALU_DEP_1)
	;; [unrolled: 3-line block ×3, first 2 shown]
	v_add_nc_u32_e32 v1, v4, v1
	v_add_nc_u32_e32 v2, v1, v2
	ds_store_2addr_b32 v14, v30, v8 offset0:32 offset1:33
	ds_store_2addr_b32 v29, v9, v6 offset0:2 offset1:3
	;; [unrolled: 1-line block ×4, first 2 shown]
	ds_store_b32 v29, v2 offset:32
	s_waitcnt lgkmcnt(0)
	s_barrier
	buffer_gl0_inv
	ds_load_b32 v1, v16 offset:128
	ds_load_b32 v2, v21 offset:128
	;; [unrolled: 1-line block ×4, first 2 shown]
                                        ; implicit-def: $vgpr14
                                        ; implicit-def: $vgpr16
	s_and_saveexec_b32 s7, s5
	s_cbranch_execz .LBB138_27
; %bb.24:
	v_mul_u32_u24_e32 v6, 33, v5
	s_mov_b32 s8, exec_lo
	s_delay_alu instid0(VALU_DEP_1)
	v_dual_mov_b32 v6, 0x1000 :: v_dual_lshlrev_b32 v7, 2, v6
	ds_load_b32 v14, v7 offset:128
	v_cmpx_ne_u32_e32 0xff, v5
	s_cbranch_execz .LBB138_26
; %bb.25:
	ds_load_b32 v6, v7 offset:260
.LBB138_26:
	s_or_b32 exec_lo, exec_lo, s8
	s_waitcnt lgkmcnt(0)
	v_sub_nc_u32_e32 v16, v6, v14
.LBB138_27:
	s_or_b32 exec_lo, exec_lo, s7
	s_waitcnt lgkmcnt(3)
	v_add_nc_u32_e32 v21, v1, v15
	s_waitcnt lgkmcnt(2)
	v_add3_u32 v19, v19, v18, v2
	s_waitcnt lgkmcnt(1)
	v_add3_u32 v18, v23, v22, v3
	;; [unrolled: 2-line block ×3, first 2 shown]
	v_lshlrev_b32_e32 v1, 2, v21
	v_lshlrev_b32_e32 v2, 2, v19
	;; [unrolled: 1-line block ×3, first 2 shown]
	s_delay_alu instid0(VALU_DEP_4)
	v_lshlrev_b32_e32 v4, 2, v15
	s_barrier
	buffer_gl0_inv
	ds_store_b32 v1, v11 offset:2048
	ds_store_b32 v2, v17 offset:2048
	;; [unrolled: 1-line block ×4, first 2 shown]
	s_waitcnt lgkmcnt(0)
	s_barrier
	buffer_gl0_inv
	s_and_saveexec_b32 s7, s5
	s_cbranch_execz .LBB138_37
; %bb.28:
	v_lshl_or_b32 v3, s15, 8, v5
	v_mov_b32_e32 v4, 0
	v_mov_b32_e32 v8, 0
	s_mov_b32 s8, 0
	s_mov_b32 s9, s15
	s_delay_alu instid0(VALU_DEP_2) | instskip(SKIP_1) | instid1(VALU_DEP_2)
	v_lshlrev_b64 v[1:2], 2, v[3:4]
	v_or_b32_e32 v3, 2.0, v16
	v_add_co_u32 v1, s6, s12, v1
	s_delay_alu instid0(VALU_DEP_1)
	v_add_co_ci_u32_e64 v2, s6, s13, v2, s6
                                        ; implicit-def: $sgpr6
	global_store_b32 v[1:2], v3, off
	s_branch .LBB138_30
	.p2align	6
.LBB138_29:                             ;   in Loop: Header=BB138_30 Depth=1
	s_or_b32 exec_lo, exec_lo, s10
	v_and_b32_e32 v6, 0x3fffffff, v9
	v_cmp_eq_u32_e64 s6, 0x80000000, v3
	s_delay_alu instid0(VALU_DEP_2) | instskip(NEXT) | instid1(VALU_DEP_2)
	v_add_nc_u32_e32 v8, v6, v8
	s_and_b32 s10, exec_lo, s6
	s_delay_alu instid0(SALU_CYCLE_1) | instskip(NEXT) | instid1(SALU_CYCLE_1)
	s_or_b32 s8, s10, s8
	s_and_not1_b32 exec_lo, exec_lo, s8
	s_cbranch_execz .LBB138_36
.LBB138_30:                             ; =>This Loop Header: Depth=1
                                        ;     Child Loop BB138_33 Depth 2
	s_or_b32 s6, s6, exec_lo
	s_cmp_eq_u32 s9, 0
	s_cbranch_scc1 .LBB138_35
; %bb.31:                               ;   in Loop: Header=BB138_30 Depth=1
	s_add_i32 s9, s9, -1
	s_mov_b32 s10, exec_lo
	v_lshl_or_b32 v3, s9, 8, v5
	s_delay_alu instid0(VALU_DEP_1) | instskip(NEXT) | instid1(VALU_DEP_1)
	v_lshlrev_b64 v[6:7], 2, v[3:4]
	v_add_co_u32 v6, s6, s12, v6
	s_delay_alu instid0(VALU_DEP_1) | instskip(SKIP_3) | instid1(VALU_DEP_1)
	v_add_co_ci_u32_e64 v7, s6, s13, v7, s6
	global_load_b32 v9, v[6:7], off glc
	s_waitcnt vmcnt(0)
	v_and_b32_e32 v3, -2.0, v9
	v_cmpx_eq_u32_e32 0, v3
	s_cbranch_execz .LBB138_29
; %bb.32:                               ;   in Loop: Header=BB138_30 Depth=1
	s_mov_b32 s11, 0
.LBB138_33:                             ;   Parent Loop BB138_30 Depth=1
                                        ; =>  This Inner Loop Header: Depth=2
	global_load_b32 v9, v[6:7], off glc
	s_waitcnt vmcnt(0)
	v_and_b32_e32 v3, -2.0, v9
	s_delay_alu instid0(VALU_DEP_1) | instskip(NEXT) | instid1(VALU_DEP_1)
	v_cmp_ne_u32_e64 s6, 0, v3
	s_or_b32 s11, s6, s11
	s_delay_alu instid0(SALU_CYCLE_1)
	s_and_not1_b32 exec_lo, exec_lo, s11
	s_cbranch_execnz .LBB138_33
; %bb.34:                               ;   in Loop: Header=BB138_30 Depth=1
	s_or_b32 exec_lo, exec_lo, s11
	s_branch .LBB138_29
.LBB138_35:                             ;   in Loop: Header=BB138_30 Depth=1
                                        ; implicit-def: $sgpr9
	s_and_b32 s10, exec_lo, s6
	s_delay_alu instid0(SALU_CYCLE_1) | instskip(NEXT) | instid1(SALU_CYCLE_1)
	s_or_b32 s8, s10, s8
	s_and_not1_b32 exec_lo, exec_lo, s8
	s_cbranch_execnz .LBB138_30
.LBB138_36:
	s_or_b32 exec_lo, exec_lo, s8
	v_add_nc_u32_e32 v3, v8, v16
	v_lshlrev_b32_e32 v4, 3, v5
	s_delay_alu instid0(VALU_DEP_2) | instskip(SKIP_3) | instid1(VALU_DEP_1)
	v_or_b32_e32 v3, 0x80000000, v3
	global_store_b32 v[1:2], v3, off
	global_load_b64 v[1:2], v4, s[24:25]
	v_sub_co_u32 v3, s6, v8, v14
	v_sub_co_ci_u32_e64 v6, null, 0, 0, s6
	s_waitcnt vmcnt(0)
	s_delay_alu instid0(VALU_DEP_2) | instskip(NEXT) | instid1(VALU_DEP_1)
	v_add_co_u32 v1, s6, v3, v1
	v_add_co_ci_u32_e64 v2, s6, v6, v2, s6
	ds_store_b64 v4, v[1:2]
.LBB138_37:
	s_or_b32 exec_lo, exec_lo, s7
	v_cmp_gt_u32_e64 s6, s34, v5
	s_waitcnt lgkmcnt(0)
	s_waitcnt_vscnt null, 0x0
	s_barrier
	buffer_gl0_inv
	s_and_saveexec_b32 s8, s6
	s_cbranch_execz .LBB138_39
; %bb.38:
	ds_load_b32 v3, v13 offset:2048
	s_waitcnt lgkmcnt(0)
	v_cmp_ne_u32_e64 s7, 0x7fffffff, v3
	s_delay_alu instid0(VALU_DEP_1) | instskip(SKIP_1) | instid1(VALU_DEP_2)
	v_cndmask_b32_e64 v1, 0x80000000, v3, s7
	v_cmp_lt_i32_e64 s7, -1, v3
	v_lshrrev_b32_e32 v1, s28, v1
	s_delay_alu instid0(VALU_DEP_2) | instskip(NEXT) | instid1(VALU_DEP_2)
	v_cndmask_b32_e64 v4, 0x80000000, -1, s7
	v_and_b32_e32 v1, s33, v1
	s_delay_alu instid0(VALU_DEP_2) | instskip(NEXT) | instid1(VALU_DEP_2)
	v_xor_b32_e32 v3, v4, v3
	v_lshlrev_b32_e32 v1, 3, v1
	ds_load_b64 v[1:2], v1
	s_waitcnt lgkmcnt(0)
	v_lshlrev_b64 v[1:2], 2, v[1:2]
	s_delay_alu instid0(VALU_DEP_1) | instskip(NEXT) | instid1(VALU_DEP_1)
	v_add_co_u32 v1, s7, s18, v1
	v_add_co_ci_u32_e64 v2, s7, s19, v2, s7
	s_delay_alu instid0(VALU_DEP_2) | instskip(NEXT) | instid1(VALU_DEP_1)
	v_add_co_u32 v1, s7, v1, v13
	v_add_co_ci_u32_e64 v2, s7, 0, v2, s7
	global_store_b32 v[1:2], v3, off
.LBB138_39:
	s_or_b32 exec_lo, exec_lo, s8
	v_or_b32_e32 v17, 0x400, v5
	s_delay_alu instid0(VALU_DEP_1) | instskip(NEXT) | instid1(VALU_DEP_1)
	v_cmp_gt_u32_e64 s7, s34, v17
	s_and_saveexec_b32 s9, s7
	s_cbranch_execz .LBB138_41
; %bb.40:
	ds_load_b32 v3, v13 offset:6144
	v_lshlrev_b32_e32 v4, 2, v17
	s_waitcnt lgkmcnt(0)
	v_cmp_ne_u32_e64 s8, 0x7fffffff, v3
	s_delay_alu instid0(VALU_DEP_1) | instskip(SKIP_1) | instid1(VALU_DEP_2)
	v_cndmask_b32_e64 v1, 0x80000000, v3, s8
	v_cmp_lt_i32_e64 s8, -1, v3
	v_lshrrev_b32_e32 v1, s28, v1
	s_delay_alu instid0(VALU_DEP_2) | instskip(NEXT) | instid1(VALU_DEP_2)
	v_cndmask_b32_e64 v6, 0x80000000, -1, s8
	v_and_b32_e32 v1, s33, v1
	s_delay_alu instid0(VALU_DEP_2) | instskip(NEXT) | instid1(VALU_DEP_2)
	v_xor_b32_e32 v3, v6, v3
	v_lshlrev_b32_e32 v1, 3, v1
	ds_load_b64 v[1:2], v1
	s_waitcnt lgkmcnt(0)
	v_lshlrev_b64 v[1:2], 2, v[1:2]
	s_delay_alu instid0(VALU_DEP_1) | instskip(NEXT) | instid1(VALU_DEP_1)
	v_add_co_u32 v1, s8, s18, v1
	v_add_co_ci_u32_e64 v2, s8, s19, v2, s8
	s_delay_alu instid0(VALU_DEP_2) | instskip(NEXT) | instid1(VALU_DEP_1)
	v_add_co_u32 v1, s8, v1, v4
	v_add_co_ci_u32_e64 v2, s8, 0, v2, s8
	global_store_b32 v[1:2], v3, off
.LBB138_41:
	s_or_b32 exec_lo, exec_lo, s9
	v_or_b32_e32 v20, 0x800, v5
	s_delay_alu instid0(VALU_DEP_1) | instskip(NEXT) | instid1(VALU_DEP_1)
	v_cmp_gt_u32_e64 s8, s34, v20
	s_and_saveexec_b32 s10, s8
	s_cbranch_execz .LBB138_43
; %bb.42:
	ds_load_b32 v3, v13 offset:10240
	v_lshlrev_b32_e32 v4, 2, v20
	s_waitcnt lgkmcnt(0)
	v_cmp_ne_u32_e64 s9, 0x7fffffff, v3
	s_delay_alu instid0(VALU_DEP_1) | instskip(SKIP_1) | instid1(VALU_DEP_2)
	v_cndmask_b32_e64 v1, 0x80000000, v3, s9
	v_cmp_lt_i32_e64 s9, -1, v3
	v_lshrrev_b32_e32 v1, s28, v1
	s_delay_alu instid0(VALU_DEP_2) | instskip(NEXT) | instid1(VALU_DEP_2)
	v_cndmask_b32_e64 v6, 0x80000000, -1, s9
	v_and_b32_e32 v1, s33, v1
	s_delay_alu instid0(VALU_DEP_2) | instskip(NEXT) | instid1(VALU_DEP_2)
	v_xor_b32_e32 v3, v6, v3
	v_lshlrev_b32_e32 v1, 3, v1
	ds_load_b64 v[1:2], v1
	s_waitcnt lgkmcnt(0)
	v_lshlrev_b64 v[1:2], 2, v[1:2]
	s_delay_alu instid0(VALU_DEP_1) | instskip(NEXT) | instid1(VALU_DEP_1)
	v_add_co_u32 v1, s9, s18, v1
	v_add_co_ci_u32_e64 v2, s9, s19, v2, s9
	s_delay_alu instid0(VALU_DEP_2) | instskip(NEXT) | instid1(VALU_DEP_1)
	v_add_co_u32 v1, s9, v1, v4
	v_add_co_ci_u32_e64 v2, s9, 0, v2, s9
	global_store_b32 v[1:2], v3, off
.LBB138_43:
	s_or_b32 exec_lo, exec_lo, s10
	v_or_b32_e32 v22, 0xc00, v5
	s_delay_alu instid0(VALU_DEP_1) | instskip(NEXT) | instid1(VALU_DEP_1)
	v_cmp_gt_u32_e64 s9, s34, v22
	s_and_saveexec_b32 s11, s9
	s_cbranch_execz .LBB138_45
; %bb.44:
	ds_load_b32 v3, v13 offset:14336
	v_lshlrev_b32_e32 v4, 2, v22
	s_waitcnt lgkmcnt(0)
	v_cmp_ne_u32_e64 s10, 0x7fffffff, v3
	s_delay_alu instid0(VALU_DEP_1) | instskip(SKIP_1) | instid1(VALU_DEP_2)
	v_cndmask_b32_e64 v1, 0x80000000, v3, s10
	v_cmp_lt_i32_e64 s10, -1, v3
	v_lshrrev_b32_e32 v1, s28, v1
	s_delay_alu instid0(VALU_DEP_2) | instskip(NEXT) | instid1(VALU_DEP_2)
	v_cndmask_b32_e64 v6, 0x80000000, -1, s10
	v_and_b32_e32 v1, s33, v1
	s_delay_alu instid0(VALU_DEP_2) | instskip(NEXT) | instid1(VALU_DEP_2)
	v_xor_b32_e32 v3, v6, v3
	v_lshlrev_b32_e32 v1, 3, v1
	ds_load_b64 v[1:2], v1
	s_waitcnt lgkmcnt(0)
	v_lshlrev_b64 v[1:2], 2, v[1:2]
	s_delay_alu instid0(VALU_DEP_1) | instskip(NEXT) | instid1(VALU_DEP_1)
	v_add_co_u32 v1, s10, s18, v1
	v_add_co_ci_u32_e64 v2, s10, s19, v2, s10
	s_delay_alu instid0(VALU_DEP_2) | instskip(NEXT) | instid1(VALU_DEP_1)
	v_add_co_u32 v1, s10, v1, v4
	v_add_co_ci_u32_e64 v2, s10, 0, v2, s10
	global_store_b32 v[1:2], v3, off
.LBB138_45:
	s_or_b32 exec_lo, exec_lo, s11
	v_lshlrev_b32_e32 v1, 3, v12
	s_lshl_b64 s[10:11], s[30:31], 3
	v_lshlrev_b32_e32 v2, 3, v10
	s_add_u32 s10, s20, s10
	s_addc_u32 s11, s21, s11
	v_add_co_u32 v1, s10, s10, v1
	s_delay_alu instid0(VALU_DEP_1) | instskip(NEXT) | instid1(VALU_DEP_2)
	v_add_co_ci_u32_e64 v3, null, s11, 0, s10
	v_add_co_u32 v10, s10, v1, v2
	s_delay_alu instid0(VALU_DEP_1) | instskip(SKIP_1) | instid1(SALU_CYCLE_1)
	v_add_co_ci_u32_e64 v11, s10, 0, v3, s10
                                        ; implicit-def: $vgpr1_vgpr2
	s_and_saveexec_b32 s10, vcc_lo
	s_xor_b32 s10, exec_lo, s10
	s_cbranch_execnz .LBB138_103
; %bb.46:
	s_or_b32 exec_lo, exec_lo, s10
                                        ; implicit-def: $vgpr3_vgpr4
	s_and_saveexec_b32 s10, s2
	s_cbranch_execnz .LBB138_104
.LBB138_47:
	s_or_b32 exec_lo, exec_lo, s10
                                        ; implicit-def: $vgpr6_vgpr7
	s_and_saveexec_b32 s2, s3
	s_cbranch_execnz .LBB138_105
.LBB138_48:
	s_or_b32 exec_lo, exec_lo, s2
                                        ; implicit-def: $vgpr8_vgpr9
	s_and_saveexec_b32 s2, s4
	s_cbranch_execz .LBB138_50
.LBB138_49:
	global_load_b64 v[8:9], v[10:11], off offset:768
.LBB138_50:
	s_or_b32 exec_lo, exec_lo, s2
	v_dual_mov_b32 v11, 0 :: v_dual_mov_b32 v24, 0
	s_and_saveexec_b32 s2, s6
	s_cbranch_execz .LBB138_52
; %bb.51:
	ds_load_b32 v10, v13 offset:2048
	s_waitcnt lgkmcnt(0)
	v_cmp_ne_u32_e32 vcc_lo, 0x7fffffff, v10
	v_cndmask_b32_e32 v10, 0x80000000, v10, vcc_lo
	s_delay_alu instid0(VALU_DEP_1) | instskip(NEXT) | instid1(VALU_DEP_1)
	v_lshrrev_b32_e32 v10, s28, v10
	v_and_b32_e32 v24, s33, v10
.LBB138_52:
	s_or_b32 exec_lo, exec_lo, s2
	s_and_saveexec_b32 s2, s7
	s_cbranch_execz .LBB138_54
; %bb.53:
	ds_load_b32 v10, v13 offset:6144
	s_waitcnt lgkmcnt(0)
	v_cmp_ne_u32_e32 vcc_lo, 0x7fffffff, v10
	v_cndmask_b32_e32 v10, 0x80000000, v10, vcc_lo
	s_delay_alu instid0(VALU_DEP_1) | instskip(NEXT) | instid1(VALU_DEP_1)
	v_lshrrev_b32_e32 v10, s28, v10
	v_and_b32_e32 v11, s33, v10
.LBB138_54:
	s_or_b32 exec_lo, exec_lo, s2
	v_dual_mov_b32 v10, 0 :: v_dual_mov_b32 v23, 0
	s_and_saveexec_b32 s2, s8
	s_cbranch_execz .LBB138_56
; %bb.55:
	ds_load_b32 v23, v13 offset:10240
	s_waitcnt lgkmcnt(0)
	v_cmp_ne_u32_e32 vcc_lo, 0x7fffffff, v23
	v_cndmask_b32_e32 v23, 0x80000000, v23, vcc_lo
	s_delay_alu instid0(VALU_DEP_1) | instskip(NEXT) | instid1(VALU_DEP_1)
	v_lshrrev_b32_e32 v23, s28, v23
	v_and_b32_e32 v23, s33, v23
.LBB138_56:
	s_or_b32 exec_lo, exec_lo, s2
	s_and_saveexec_b32 s2, s9
	s_cbranch_execz .LBB138_58
; %bb.57:
	ds_load_b32 v10, v13 offset:14336
	s_waitcnt lgkmcnt(0)
	v_cmp_ne_u32_e32 vcc_lo, 0x7fffffff, v10
	v_cndmask_b32_e32 v10, 0x80000000, v10, vcc_lo
	s_delay_alu instid0(VALU_DEP_1) | instskip(NEXT) | instid1(VALU_DEP_1)
	v_lshrrev_b32_e32 v10, s28, v10
	v_and_b32_e32 v10, s33, v10
.LBB138_58:
	s_or_b32 exec_lo, exec_lo, s2
	v_lshlrev_b32_e32 v13, 3, v21
	v_lshlrev_b32_e32 v19, 3, v19
	;; [unrolled: 1-line block ×3, first 2 shown]
	s_waitcnt vmcnt(0)
	s_waitcnt_vscnt null, 0x0
	s_barrier
	buffer_gl0_inv
	v_lshlrev_b32_e32 v15, 3, v15
	ds_store_b64 v13, v[1:2] offset:2048
	ds_store_b64 v19, v[3:4] offset:2048
	;; [unrolled: 1-line block ×3, first 2 shown]
	v_lshlrev_b32_e32 v1, 3, v5
	ds_store_b64 v15, v[8:9] offset:2048
	s_waitcnt lgkmcnt(0)
	s_barrier
	buffer_gl0_inv
	s_and_saveexec_b32 s2, s6
	s_cbranch_execnz .LBB138_106
; %bb.59:
	s_or_b32 exec_lo, exec_lo, s2
	s_and_saveexec_b32 s2, s7
	s_cbranch_execnz .LBB138_107
.LBB138_60:
	s_or_b32 exec_lo, exec_lo, s2
	s_and_saveexec_b32 s2, s8
	s_cbranch_execnz .LBB138_108
.LBB138_61:
	s_or_b32 exec_lo, exec_lo, s2
	s_and_saveexec_b32 s2, s9
	s_cbranch_execz .LBB138_63
.LBB138_62:
	v_lshlrev_b32_e32 v2, 3, v10
	ds_load_b64 v[2:3], v2
	ds_load_b64 v[6:7], v1 offset:26624
	s_waitcnt lgkmcnt(1)
	v_lshlrev_b64 v[1:2], 3, v[2:3]
	v_lshlrev_b32_e32 v3, 3, v22
	s_delay_alu instid0(VALU_DEP_2) | instskip(NEXT) | instid1(VALU_DEP_3)
	v_add_co_u32 v1, vcc_lo, s22, v1
	v_add_co_ci_u32_e32 v2, vcc_lo, s23, v2, vcc_lo
	s_delay_alu instid0(VALU_DEP_2) | instskip(NEXT) | instid1(VALU_DEP_2)
	v_add_co_u32 v1, vcc_lo, v1, v3
	v_add_co_ci_u32_e32 v2, vcc_lo, 0, v2, vcc_lo
	s_waitcnt lgkmcnt(0)
	global_store_b64 v[1:2], v[6:7], off
.LBB138_63:
	s_or_b32 exec_lo, exec_lo, s2
	s_add_i32 s14, s14, -1
	s_mov_b32 s2, 0
	s_cmp_eq_u32 s15, s14
	s_mov_b32 s8, 0
	s_cselect_b32 s3, -1, 0
                                        ; implicit-def: $vgpr2_vgpr3
	s_delay_alu instid0(SALU_CYCLE_1) | instskip(NEXT) | instid1(SALU_CYCLE_1)
	s_and_b32 s3, s5, s3
	s_and_saveexec_b32 s4, s3
	s_delay_alu instid0(SALU_CYCLE_1)
	s_xor_b32 s3, exec_lo, s4
; %bb.64:
	v_add_co_u32 v2, s4, v14, v16
	v_mov_b32_e32 v6, 0
	v_add_co_ci_u32_e64 v3, null, 0, 0, s4
	s_mov_b32 s8, exec_lo
; %bb.65:
	s_or_b32 exec_lo, exec_lo, s3
	s_delay_alu instid0(SALU_CYCLE_1)
	s_and_b32 vcc_lo, exec_lo, s2
	s_cbranch_vccnz .LBB138_67
	s_branch .LBB138_100
.LBB138_66:
	s_mov_b32 s8, 0
                                        ; implicit-def: $vgpr2_vgpr3
	s_cbranch_execz .LBB138_100
.LBB138_67:
	v_dual_mov_b32 v9, 0 :: v_dual_lshlrev_b32 v4, 2, v5
	s_lshl_b32 s6, s15, 12
	s_mov_b32 s7, 0
	v_lshlrev_b32_e32 v1, 2, v12
	s_delay_alu instid0(VALU_DEP_2) | instskip(SKIP_1) | instid1(SALU_CYCLE_1)
	v_and_b32_e32 v10, 0xf80, v4
	s_lshl_b64 s[2:3], s[6:7], 2
	s_add_u32 s2, s16, s2
	s_addc_u32 s3, s17, s3
	s_delay_alu instid0(VALU_DEP_1) | instskip(SKIP_1) | instid1(VALU_DEP_1)
	v_lshlrev_b32_e32 v2, 2, v10
	v_add_co_u32 v1, s2, s2, v1
	v_add_co_ci_u32_e64 v3, null, s3, 0, s2
	s_delay_alu instid0(VALU_DEP_2) | instskip(NEXT) | instid1(VALU_DEP_2)
	v_add_co_u32 v6, vcc_lo, v1, v2
	v_add_co_ci_u32_e32 v7, vcc_lo, 0, v3, vcc_lo
	global_load_b32 v8, v[6:7], off
	s_clause 0x1
	s_load_b32 s2, s[0:1], 0x5c
	s_load_b32 s9, s[0:1], 0x50
	s_add_u32 s0, s0, 0x50
	s_addc_u32 s1, s1, 0
	s_waitcnt lgkmcnt(0)
	s_lshr_b32 s2, s2, 16
	s_cmp_lt_u32 s15, s9
	s_cselect_b32 s3, 12, 18
	s_delay_alu instid0(SALU_CYCLE_1)
	s_add_u32 s0, s0, s3
	s_addc_u32 s1, s1, 0
	global_load_u16 v13, v9, s[0:1]
	s_clause 0x2
	global_load_b32 v3, v[6:7], off offset:128
	global_load_b32 v2, v[6:7], off offset:256
	;; [unrolled: 1-line block ×3, first 2 shown]
	s_lshl_b32 s0, -1, s29
	s_delay_alu instid0(SALU_CYCLE_1) | instskip(SKIP_3) | instid1(VALU_DEP_1)
	s_not_b32 s10, s0
	s_waitcnt vmcnt(4)
	v_cmp_lt_i32_e32 vcc_lo, -1, v8
	v_cndmask_b32_e64 v6, -1, 0x80000000, vcc_lo
	v_xor_b32_e32 v11, v6, v8
	s_delay_alu instid0(VALU_DEP_1) | instskip(SKIP_1) | instid1(VALU_DEP_1)
	v_cmp_ne_u32_e32 vcc_lo, 0x7fffffff, v11
	v_cndmask_b32_e32 v6, 0x80000000, v11, vcc_lo
	v_lshrrev_b32_e32 v6, s28, v6
	s_delay_alu instid0(VALU_DEP_1) | instskip(SKIP_2) | instid1(VALU_DEP_3)
	v_and_b32_e32 v14, s10, v6
	v_bfe_u32 v6, v0, 10, 10
	v_bfe_u32 v0, v0, 20, 10
	v_and_b32_e32 v7, 1, v14
	v_lshlrev_b32_e32 v8, 30, v14
	v_lshlrev_b32_e32 v15, 29, v14
	;; [unrolled: 1-line block ×4, first 2 shown]
	v_add_co_u32 v7, s0, v7, -1
	s_delay_alu instid0(VALU_DEP_1)
	v_cndmask_b32_e64 v17, 0, 1, s0
	v_not_b32_e32 v21, v8
	v_cmp_gt_i32_e64 s0, 0, v8
	v_not_b32_e32 v8, v15
	v_lshlrev_b32_e32 v19, 26, v14
	v_cmp_ne_u32_e32 vcc_lo, 0, v17
	v_ashrrev_i32_e32 v21, 31, v21
	v_lshlrev_b32_e32 v20, 25, v14
	v_ashrrev_i32_e32 v8, 31, v8
	v_lshlrev_b32_e32 v17, 24, v14
	v_xor_b32_e32 v7, vcc_lo, v7
	v_cmp_gt_i32_e32 vcc_lo, 0, v15
	v_not_b32_e32 v15, v16
	v_xor_b32_e32 v21, s0, v21
	v_cmp_gt_i32_e64 s0, 0, v16
	v_and_b32_e32 v7, exec_lo, v7
	v_not_b32_e32 v16, v18
	v_ashrrev_i32_e32 v15, 31, v15
	v_xor_b32_e32 v8, vcc_lo, v8
	v_cmp_gt_i32_e32 vcc_lo, 0, v18
	v_and_b32_e32 v7, v7, v21
	v_not_b32_e32 v18, v19
	v_ashrrev_i32_e32 v16, 31, v16
	v_xor_b32_e32 v15, s0, v15
	v_cmp_gt_i32_e64 s0, 0, v19
	v_and_b32_e32 v7, v7, v8
	v_not_b32_e32 v8, v20
	v_ashrrev_i32_e32 v18, 31, v18
	v_xor_b32_e32 v16, vcc_lo, v16
	v_cmp_gt_i32_e32 vcc_lo, 0, v20
	v_and_b32_e32 v7, v7, v15
	v_not_b32_e32 v15, v17
	v_ashrrev_i32_e32 v8, 31, v8
	v_xor_b32_e32 v18, s0, v18
	v_cmp_gt_i32_e64 s0, 0, v17
	v_and_b32_e32 v7, v7, v16
	v_ashrrev_i32_e32 v15, 31, v15
	v_xor_b32_e32 v8, vcc_lo, v8
	v_mad_u32_u24 v0, v0, s2, v6
	v_mul_u32_u24_e32 v16, 9, v5
	v_and_b32_e32 v7, v7, v18
	v_xor_b32_e32 v6, s0, v15
	s_delay_alu instid0(VALU_DEP_3) | instskip(NEXT) | instid1(VALU_DEP_3)
	v_lshlrev_b32_e32 v15, 2, v16
	v_and_b32_e32 v17, v7, v8
	s_waitcnt vmcnt(3)
	s_delay_alu instid0(VALU_DEP_3)
	v_mad_u64_u32 v[7:8], null, v0, v13, v[5:6]
	ds_store_2addr_b32 v15, v9, v9 offset0:32 offset1:33
	ds_store_2addr_b32 v15, v9, v9 offset0:34 offset1:35
	;; [unrolled: 1-line block ×4, first 2 shown]
	v_and_b32_e32 v6, v17, v6
	ds_store_b32 v15, v9 offset:160
	s_waitcnt vmcnt(0) lgkmcnt(0)
	s_waitcnt_vscnt null, 0x0
	s_barrier
	v_lshrrev_b32_e32 v0, 5, v7
	v_mbcnt_lo_u32_b32 v13, v6, 0
	v_lshl_add_u32 v7, v14, 5, v14
	v_cmp_ne_u32_e64 s0, 0, v6
	buffer_gl0_inv
	v_cmp_eq_u32_e32 vcc_lo, 0, v13
	v_add_lshl_u32 v16, v0, v7, 2
	; wave barrier
	s_and_b32 s1, s0, vcc_lo
	s_delay_alu instid0(SALU_CYCLE_1)
	s_and_saveexec_b32 s0, s1
	s_cbranch_execz .LBB138_69
; %bb.68:
	v_bcnt_u32_b32 v6, v6, 0
	ds_store_b32 v16, v6 offset:128
.LBB138_69:
	s_or_b32 exec_lo, exec_lo, s0
	v_cmp_lt_i32_e32 vcc_lo, -1, v3
	; wave barrier
	v_cndmask_b32_e64 v6, -1, 0x80000000, vcc_lo
	s_delay_alu instid0(VALU_DEP_1) | instskip(NEXT) | instid1(VALU_DEP_1)
	v_xor_b32_e32 v14, v6, v3
	v_cmp_ne_u32_e32 vcc_lo, 0x7fffffff, v14
	v_cndmask_b32_e32 v3, 0x80000000, v14, vcc_lo
	s_delay_alu instid0(VALU_DEP_1) | instskip(NEXT) | instid1(VALU_DEP_1)
	v_lshrrev_b32_e32 v3, s28, v3
	v_and_b32_e32 v3, s10, v3
	s_delay_alu instid0(VALU_DEP_1)
	v_and_b32_e32 v6, 1, v3
	v_lshlrev_b32_e32 v7, 30, v3
	v_lshlrev_b32_e32 v8, 29, v3
	;; [unrolled: 1-line block ×4, first 2 shown]
	v_add_co_u32 v6, s0, v6, -1
	s_delay_alu instid0(VALU_DEP_1)
	v_cndmask_b32_e64 v17, 0, 1, s0
	v_not_b32_e32 v21, v7
	v_cmp_gt_i32_e64 s0, 0, v7
	v_not_b32_e32 v7, v8
	v_lshlrev_b32_e32 v19, 26, v3
	v_cmp_ne_u32_e32 vcc_lo, 0, v17
	v_ashrrev_i32_e32 v21, 31, v21
	v_lshlrev_b32_e32 v20, 25, v3
	v_ashrrev_i32_e32 v7, 31, v7
	v_lshlrev_b32_e32 v17, 24, v3
	v_xor_b32_e32 v6, vcc_lo, v6
	v_cmp_gt_i32_e32 vcc_lo, 0, v8
	v_not_b32_e32 v8, v9
	v_xor_b32_e32 v21, s0, v21
	v_cmp_gt_i32_e64 s0, 0, v9
	v_and_b32_e32 v6, exec_lo, v6
	v_not_b32_e32 v9, v18
	v_ashrrev_i32_e32 v8, 31, v8
	v_xor_b32_e32 v7, vcc_lo, v7
	v_cmp_gt_i32_e32 vcc_lo, 0, v18
	v_and_b32_e32 v6, v6, v21
	v_not_b32_e32 v18, v19
	v_ashrrev_i32_e32 v9, 31, v9
	v_xor_b32_e32 v8, s0, v8
	v_cmp_gt_i32_e64 s0, 0, v19
	v_and_b32_e32 v6, v6, v7
	v_not_b32_e32 v7, v20
	v_ashrrev_i32_e32 v18, 31, v18
	v_xor_b32_e32 v9, vcc_lo, v9
	v_cmp_gt_i32_e32 vcc_lo, 0, v20
	v_and_b32_e32 v6, v6, v8
	v_not_b32_e32 v8, v17
	v_ashrrev_i32_e32 v7, 31, v7
	v_xor_b32_e32 v18, s0, v18
	v_lshl_add_u32 v3, v3, 5, v3
	v_and_b32_e32 v6, v6, v9
	v_cmp_gt_i32_e64 s0, 0, v17
	v_ashrrev_i32_e32 v8, 31, v8
	v_xor_b32_e32 v7, vcc_lo, v7
	v_add_lshl_u32 v20, v0, v3, 2
	v_and_b32_e32 v6, v6, v18
	s_delay_alu instid0(VALU_DEP_4) | instskip(SKIP_2) | instid1(VALU_DEP_1)
	v_xor_b32_e32 v3, s0, v8
	ds_load_b32 v17, v20 offset:128
	v_and_b32_e32 v6, v6, v7
	; wave barrier
	v_and_b32_e32 v3, v6, v3
	s_delay_alu instid0(VALU_DEP_1) | instskip(SKIP_1) | instid1(VALU_DEP_2)
	v_mbcnt_lo_u32_b32 v18, v3, 0
	v_cmp_ne_u32_e64 s0, 0, v3
	v_cmp_eq_u32_e32 vcc_lo, 0, v18
	s_delay_alu instid0(VALU_DEP_2) | instskip(NEXT) | instid1(SALU_CYCLE_1)
	s_and_b32 s1, s0, vcc_lo
	s_and_saveexec_b32 s0, s1
	s_cbranch_execz .LBB138_71
; %bb.70:
	s_waitcnt lgkmcnt(0)
	v_bcnt_u32_b32 v3, v3, v17
	ds_store_b32 v20, v3 offset:128
.LBB138_71:
	s_or_b32 exec_lo, exec_lo, s0
	v_cmp_lt_i32_e32 vcc_lo, -1, v2
	; wave barrier
	v_cndmask_b32_e64 v3, -1, 0x80000000, vcc_lo
	s_delay_alu instid0(VALU_DEP_1) | instskip(NEXT) | instid1(VALU_DEP_1)
	v_xor_b32_e32 v19, v3, v2
	v_cmp_ne_u32_e32 vcc_lo, 0x7fffffff, v19
	v_cndmask_b32_e32 v2, 0x80000000, v19, vcc_lo
	s_delay_alu instid0(VALU_DEP_1) | instskip(NEXT) | instid1(VALU_DEP_1)
	v_lshrrev_b32_e32 v2, s28, v2
	v_and_b32_e32 v2, s10, v2
	s_delay_alu instid0(VALU_DEP_1)
	v_and_b32_e32 v3, 1, v2
	v_lshlrev_b32_e32 v6, 30, v2
	v_lshlrev_b32_e32 v7, 29, v2
	;; [unrolled: 1-line block ×4, first 2 shown]
	v_add_co_u32 v3, s0, v3, -1
	s_delay_alu instid0(VALU_DEP_1)
	v_cndmask_b32_e64 v9, 0, 1, s0
	v_not_b32_e32 v24, v6
	v_cmp_gt_i32_e64 s0, 0, v6
	v_not_b32_e32 v6, v7
	v_lshlrev_b32_e32 v22, 26, v2
	v_cmp_ne_u32_e32 vcc_lo, 0, v9
	v_ashrrev_i32_e32 v24, 31, v24
	v_lshlrev_b32_e32 v23, 25, v2
	v_ashrrev_i32_e32 v6, 31, v6
	v_lshlrev_b32_e32 v9, 24, v2
	v_xor_b32_e32 v3, vcc_lo, v3
	v_cmp_gt_i32_e32 vcc_lo, 0, v7
	v_not_b32_e32 v7, v8
	v_xor_b32_e32 v24, s0, v24
	v_cmp_gt_i32_e64 s0, 0, v8
	v_and_b32_e32 v3, exec_lo, v3
	v_not_b32_e32 v8, v21
	v_ashrrev_i32_e32 v7, 31, v7
	v_xor_b32_e32 v6, vcc_lo, v6
	v_cmp_gt_i32_e32 vcc_lo, 0, v21
	v_and_b32_e32 v3, v3, v24
	v_not_b32_e32 v21, v22
	v_ashrrev_i32_e32 v8, 31, v8
	v_xor_b32_e32 v7, s0, v7
	v_cmp_gt_i32_e64 s0, 0, v22
	v_and_b32_e32 v3, v3, v6
	v_not_b32_e32 v6, v23
	v_ashrrev_i32_e32 v21, 31, v21
	v_xor_b32_e32 v8, vcc_lo, v8
	v_cmp_gt_i32_e32 vcc_lo, 0, v23
	v_and_b32_e32 v3, v3, v7
	v_not_b32_e32 v7, v9
	v_ashrrev_i32_e32 v6, 31, v6
	v_xor_b32_e32 v21, s0, v21
	v_lshl_add_u32 v2, v2, 5, v2
	v_and_b32_e32 v3, v3, v8
	v_cmp_gt_i32_e64 s0, 0, v9
	v_ashrrev_i32_e32 v7, 31, v7
	v_xor_b32_e32 v6, vcc_lo, v6
	v_add_lshl_u32 v24, v0, v2, 2
	v_and_b32_e32 v3, v3, v21
	s_delay_alu instid0(VALU_DEP_4) | instskip(SKIP_2) | instid1(VALU_DEP_1)
	v_xor_b32_e32 v2, s0, v7
	ds_load_b32 v21, v24 offset:128
	v_and_b32_e32 v3, v3, v6
	; wave barrier
	v_and_b32_e32 v2, v3, v2
	s_delay_alu instid0(VALU_DEP_1) | instskip(SKIP_1) | instid1(VALU_DEP_2)
	v_mbcnt_lo_u32_b32 v22, v2, 0
	v_cmp_ne_u32_e64 s0, 0, v2
	v_cmp_eq_u32_e32 vcc_lo, 0, v22
	s_delay_alu instid0(VALU_DEP_2) | instskip(NEXT) | instid1(SALU_CYCLE_1)
	s_and_b32 s1, s0, vcc_lo
	s_and_saveexec_b32 s0, s1
	s_cbranch_execz .LBB138_73
; %bb.72:
	s_waitcnt lgkmcnt(0)
	v_bcnt_u32_b32 v2, v2, v21
	ds_store_b32 v24, v2 offset:128
.LBB138_73:
	s_or_b32 exec_lo, exec_lo, s0
	v_cmp_lt_i32_e32 vcc_lo, -1, v1
	; wave barrier
	v_add_nc_u32_e32 v28, 0x80, v15
	v_cndmask_b32_e64 v2, -1, 0x80000000, vcc_lo
	s_delay_alu instid0(VALU_DEP_1) | instskip(NEXT) | instid1(VALU_DEP_1)
	v_xor_b32_e32 v23, v2, v1
	v_cmp_ne_u32_e32 vcc_lo, 0x7fffffff, v23
	v_cndmask_b32_e32 v1, 0x80000000, v23, vcc_lo
	s_delay_alu instid0(VALU_DEP_1) | instskip(NEXT) | instid1(VALU_DEP_1)
	v_lshrrev_b32_e32 v1, s28, v1
	v_and_b32_e32 v1, s10, v1
	s_delay_alu instid0(VALU_DEP_1)
	v_and_b32_e32 v2, 1, v1
	v_lshlrev_b32_e32 v3, 30, v1
	v_lshlrev_b32_e32 v6, 29, v1
	;; [unrolled: 1-line block ×4, first 2 shown]
	v_add_co_u32 v2, s0, v2, -1
	s_delay_alu instid0(VALU_DEP_1)
	v_cndmask_b32_e64 v8, 0, 1, s0
	v_not_b32_e32 v27, v3
	v_cmp_gt_i32_e64 s0, 0, v3
	v_not_b32_e32 v3, v6
	v_lshlrev_b32_e32 v25, 26, v1
	v_cmp_ne_u32_e32 vcc_lo, 0, v8
	v_ashrrev_i32_e32 v27, 31, v27
	v_lshlrev_b32_e32 v26, 25, v1
	v_ashrrev_i32_e32 v3, 31, v3
	v_lshlrev_b32_e32 v8, 24, v1
	v_xor_b32_e32 v2, vcc_lo, v2
	v_cmp_gt_i32_e32 vcc_lo, 0, v6
	v_not_b32_e32 v6, v7
	v_xor_b32_e32 v27, s0, v27
	v_cmp_gt_i32_e64 s0, 0, v7
	v_and_b32_e32 v2, exec_lo, v2
	v_not_b32_e32 v7, v9
	v_ashrrev_i32_e32 v6, 31, v6
	v_xor_b32_e32 v3, vcc_lo, v3
	v_cmp_gt_i32_e32 vcc_lo, 0, v9
	v_and_b32_e32 v2, v2, v27
	v_not_b32_e32 v9, v25
	v_ashrrev_i32_e32 v7, 31, v7
	v_xor_b32_e32 v6, s0, v6
	v_cmp_gt_i32_e64 s0, 0, v25
	v_and_b32_e32 v2, v2, v3
	v_not_b32_e32 v3, v26
	v_ashrrev_i32_e32 v9, 31, v9
	v_xor_b32_e32 v7, vcc_lo, v7
	v_cmp_gt_i32_e32 vcc_lo, 0, v26
	v_and_b32_e32 v2, v2, v6
	v_not_b32_e32 v6, v8
	v_ashrrev_i32_e32 v3, 31, v3
	v_xor_b32_e32 v9, s0, v9
	v_lshl_add_u32 v1, v1, 5, v1
	v_and_b32_e32 v2, v2, v7
	v_cmp_gt_i32_e64 s0, 0, v8
	v_ashrrev_i32_e32 v6, 31, v6
	v_xor_b32_e32 v3, vcc_lo, v3
	v_add_lshl_u32 v27, v1, v0, 2
	v_and_b32_e32 v2, v2, v9
	s_delay_alu instid0(VALU_DEP_4) | instskip(SKIP_2) | instid1(VALU_DEP_1)
	v_xor_b32_e32 v0, s0, v6
	ds_load_b32 v25, v27 offset:128
	v_and_b32_e32 v1, v2, v3
	; wave barrier
	v_and_b32_e32 v0, v1, v0
	s_delay_alu instid0(VALU_DEP_1) | instskip(SKIP_1) | instid1(VALU_DEP_2)
	v_mbcnt_lo_u32_b32 v26, v0, 0
	v_cmp_ne_u32_e64 s0, 0, v0
	v_cmp_eq_u32_e32 vcc_lo, 0, v26
	s_delay_alu instid0(VALU_DEP_2) | instskip(NEXT) | instid1(SALU_CYCLE_1)
	s_and_b32 s1, s0, vcc_lo
	s_and_saveexec_b32 s0, s1
	s_cbranch_execz .LBB138_75
; %bb.74:
	s_waitcnt lgkmcnt(0)
	v_bcnt_u32_b32 v0, v0, v25
	ds_store_b32 v27, v0 offset:128
.LBB138_75:
	s_or_b32 exec_lo, exec_lo, s0
	; wave barrier
	s_waitcnt lgkmcnt(0)
	s_barrier
	buffer_gl0_inv
	ds_load_2addr_b32 v[8:9], v15 offset0:32 offset1:33
	ds_load_2addr_b32 v[6:7], v28 offset0:2 offset1:3
	;; [unrolled: 1-line block ×4, first 2 shown]
	ds_load_b32 v29, v28 offset:32
	v_and_b32_e32 v32, 16, v12
	v_and_b32_e32 v33, 31, v5
	s_mov_b32 s5, exec_lo
	s_delay_alu instid0(VALU_DEP_2) | instskip(SKIP_3) | instid1(VALU_DEP_1)
	v_cmp_eq_u32_e64 s3, 0, v32
	s_waitcnt lgkmcnt(3)
	v_add3_u32 v30, v9, v8, v6
	s_waitcnt lgkmcnt(2)
	v_add3_u32 v30, v30, v7, v2
	s_waitcnt lgkmcnt(1)
	s_delay_alu instid0(VALU_DEP_1) | instskip(SKIP_1) | instid1(VALU_DEP_1)
	v_add3_u32 v30, v30, v3, v0
	s_waitcnt lgkmcnt(0)
	v_add3_u32 v29, v30, v1, v29
	v_and_b32_e32 v30, 15, v12
	s_delay_alu instid0(VALU_DEP_2) | instskip(NEXT) | instid1(VALU_DEP_2)
	v_mov_b32_dpp v31, v29 row_shr:1 row_mask:0xf bank_mask:0xf
	v_cmp_eq_u32_e32 vcc_lo, 0, v30
	v_cmp_lt_u32_e64 s0, 1, v30
	v_cmp_lt_u32_e64 s1, 3, v30
	;; [unrolled: 1-line block ×3, first 2 shown]
	v_cndmask_b32_e64 v31, v31, 0, vcc_lo
	s_delay_alu instid0(VALU_DEP_1) | instskip(NEXT) | instid1(VALU_DEP_1)
	v_add_nc_u32_e32 v29, v31, v29
	v_mov_b32_dpp v31, v29 row_shr:2 row_mask:0xf bank_mask:0xf
	s_delay_alu instid0(VALU_DEP_1) | instskip(NEXT) | instid1(VALU_DEP_1)
	v_cndmask_b32_e64 v31, 0, v31, s0
	v_add_nc_u32_e32 v29, v29, v31
	s_delay_alu instid0(VALU_DEP_1) | instskip(NEXT) | instid1(VALU_DEP_1)
	v_mov_b32_dpp v31, v29 row_shr:4 row_mask:0xf bank_mask:0xf
	v_cndmask_b32_e64 v31, 0, v31, s1
	s_delay_alu instid0(VALU_DEP_1) | instskip(NEXT) | instid1(VALU_DEP_1)
	v_add_nc_u32_e32 v29, v29, v31
	v_mov_b32_dpp v31, v29 row_shr:8 row_mask:0xf bank_mask:0xf
	s_delay_alu instid0(VALU_DEP_1) | instskip(SKIP_1) | instid1(VALU_DEP_2)
	v_cndmask_b32_e64 v30, 0, v31, s2
	v_bfe_i32 v31, v12, 4, 1
	v_add_nc_u32_e32 v29, v29, v30
	ds_swizzle_b32 v30, v29 offset:swizzle(BROADCAST,32,15)
	s_waitcnt lgkmcnt(0)
	v_and_b32_e32 v31, v31, v30
	v_lshrrev_b32_e32 v30, 5, v5
	s_delay_alu instid0(VALU_DEP_2)
	v_add_nc_u32_e32 v29, v29, v31
	v_cmpx_eq_u32_e32 31, v33
	s_cbranch_execz .LBB138_77
; %bb.76:
	s_delay_alu instid0(VALU_DEP_3)
	v_lshlrev_b32_e32 v31, 2, v30
	ds_store_b32 v31, v29
.LBB138_77:
	s_or_b32 exec_lo, exec_lo, s5
	v_cmp_lt_u32_e64 s4, 31, v5
	s_mov_b32 s11, exec_lo
	s_waitcnt lgkmcnt(0)
	s_barrier
	buffer_gl0_inv
	v_cmpx_gt_u32_e32 32, v5
	s_cbranch_execz .LBB138_79
; %bb.78:
	ds_load_b32 v31, v4
	s_waitcnt lgkmcnt(0)
	v_mov_b32_dpp v32, v31 row_shr:1 row_mask:0xf bank_mask:0xf
	s_delay_alu instid0(VALU_DEP_1) | instskip(NEXT) | instid1(VALU_DEP_1)
	v_cndmask_b32_e64 v32, v32, 0, vcc_lo
	v_add_nc_u32_e32 v31, v32, v31
	s_delay_alu instid0(VALU_DEP_1) | instskip(NEXT) | instid1(VALU_DEP_1)
	v_mov_b32_dpp v32, v31 row_shr:2 row_mask:0xf bank_mask:0xf
	v_cndmask_b32_e64 v32, 0, v32, s0
	s_delay_alu instid0(VALU_DEP_1) | instskip(NEXT) | instid1(VALU_DEP_1)
	v_add_nc_u32_e32 v31, v31, v32
	v_mov_b32_dpp v32, v31 row_shr:4 row_mask:0xf bank_mask:0xf
	s_delay_alu instid0(VALU_DEP_1) | instskip(NEXT) | instid1(VALU_DEP_1)
	v_cndmask_b32_e64 v32, 0, v32, s1
	v_add_nc_u32_e32 v31, v31, v32
	s_delay_alu instid0(VALU_DEP_1) | instskip(NEXT) | instid1(VALU_DEP_1)
	v_mov_b32_dpp v32, v31 row_shr:8 row_mask:0xf bank_mask:0xf
	v_cndmask_b32_e64 v32, 0, v32, s2
	s_delay_alu instid0(VALU_DEP_1) | instskip(SKIP_3) | instid1(VALU_DEP_1)
	v_add_nc_u32_e32 v31, v31, v32
	ds_swizzle_b32 v32, v31 offset:swizzle(BROADCAST,32,15)
	s_waitcnt lgkmcnt(0)
	v_cndmask_b32_e64 v32, v32, 0, s3
	v_add_nc_u32_e32 v31, v31, v32
	ds_store_b32 v4, v31
.LBB138_79:
	s_or_b32 exec_lo, exec_lo, s11
	v_mov_b32_e32 v31, 0
	s_waitcnt lgkmcnt(0)
	s_barrier
	buffer_gl0_inv
	s_and_saveexec_b32 s0, s4
	s_cbranch_execz .LBB138_81
; %bb.80:
	v_lshl_add_u32 v30, v30, 2, -4
	ds_load_b32 v31, v30
.LBB138_81:
	s_or_b32 exec_lo, exec_lo, s0
	v_add_nc_u32_e32 v30, -1, v12
	v_cmp_lt_u32_e64 s0, 0xff, v5
	s_waitcnt lgkmcnt(0)
	v_add_nc_u32_e32 v29, v31, v29
	s_delay_alu instid0(VALU_DEP_3) | instskip(SKIP_2) | instid1(VALU_DEP_2)
	v_cmp_gt_i32_e32 vcc_lo, 0, v30
	v_cndmask_b32_e32 v30, v30, v12, vcc_lo
	v_cmp_eq_u32_e32 vcc_lo, 0, v12
	v_lshlrev_b32_e32 v30, 2, v30
	ds_bpermute_b32 v29, v30, v29
	s_waitcnt lgkmcnt(0)
	v_cndmask_b32_e32 v29, v29, v31, vcc_lo
	v_cmp_ne_u32_e32 vcc_lo, 0, v5
	s_delay_alu instid0(VALU_DEP_2) | instskip(SKIP_1) | instid1(VALU_DEP_2)
	v_cndmask_b32_e32 v29, 0, v29, vcc_lo
	v_cmp_gt_u32_e32 vcc_lo, 0x100, v5
	v_add_nc_u32_e32 v8, v29, v8
	s_delay_alu instid0(VALU_DEP_1) | instskip(NEXT) | instid1(VALU_DEP_1)
	v_add_nc_u32_e32 v9, v8, v9
	v_add_nc_u32_e32 v6, v9, v6
	s_delay_alu instid0(VALU_DEP_1) | instskip(NEXT) | instid1(VALU_DEP_1)
	v_add_nc_u32_e32 v7, v6, v7
	;; [unrolled: 3-line block ×3, first 2 shown]
	v_add_nc_u32_e32 v0, v3, v0
	s_delay_alu instid0(VALU_DEP_1)
	v_add_nc_u32_e32 v1, v0, v1
	ds_store_2addr_b32 v15, v29, v8 offset0:32 offset1:33
	ds_store_2addr_b32 v28, v9, v6 offset0:2 offset1:3
	ds_store_2addr_b32 v28, v7, v2 offset0:4 offset1:5
	ds_store_2addr_b32 v28, v3, v0 offset0:6 offset1:7
	ds_store_b32 v28, v1 offset:32
	v_mov_b32_e32 v0, 0
	s_waitcnt lgkmcnt(0)
	s_barrier
	buffer_gl0_inv
	ds_load_b32 v2, v16 offset:128
	ds_load_b32 v3, v20 offset:128
	;; [unrolled: 1-line block ×4, first 2 shown]
	v_mov_b32_e32 v1, 0
                                        ; implicit-def: $vgpr15
	s_and_saveexec_b32 s2, vcc_lo
	s_cbranch_execz .LBB138_85
; %bb.82:
	v_mul_u32_u24_e32 v0, 33, v5
	s_mov_b32 s3, exec_lo
	s_delay_alu instid0(VALU_DEP_1)
	v_dual_mov_b32 v1, 0x1000 :: v_dual_lshlrev_b32 v8, 2, v0
	ds_load_b32 v0, v8 offset:128
	v_cmpx_ne_u32_e32 0xff, v5
	s_cbranch_execz .LBB138_84
; %bb.83:
	ds_load_b32 v1, v8 offset:260
.LBB138_84:
	s_or_b32 exec_lo, exec_lo, s3
	s_waitcnt lgkmcnt(0)
	v_sub_nc_u32_e32 v15, v1, v0
	v_mov_b32_e32 v1, 0
.LBB138_85:
	s_or_b32 exec_lo, exec_lo, s2
	s_waitcnt lgkmcnt(3)
	v_add_nc_u32_e32 v20, v2, v13
	s_waitcnt lgkmcnt(1)
	v_add3_u32 v16, v22, v21, v6
	v_add3_u32 v17, v18, v17, v3
	s_waitcnt lgkmcnt(0)
	v_add3_u32 v13, v26, v25, v7
	v_lshlrev_b32_e32 v2, 2, v20
	v_lshlrev_b32_e32 v6, 2, v16
	;; [unrolled: 1-line block ×3, first 2 shown]
	s_delay_alu instid0(VALU_DEP_4)
	v_lshlrev_b32_e32 v7, 2, v13
	s_barrier
	buffer_gl0_inv
	ds_store_b32 v2, v11 offset:2048
	ds_store_b32 v3, v14 offset:2048
	;; [unrolled: 1-line block ×4, first 2 shown]
	s_waitcnt lgkmcnt(0)
	s_barrier
	buffer_gl0_inv
	s_and_saveexec_b32 s1, s0
	s_delay_alu instid0(SALU_CYCLE_1)
	s_xor_b32 s0, exec_lo, s1
; %bb.86:
	v_mov_b32_e32 v6, 0
; %bb.87:
	s_and_not1_saveexec_b32 s1, s0
	s_cbranch_execz .LBB138_97
; %bb.88:
	v_lshl_or_b32 v6, s15, 8, v5
	v_mov_b32_e32 v7, 0
	v_mov_b32_e32 v11, 0
	s_mov_b32 s2, 0
	s_mov_b32 s3, s15
	s_delay_alu instid0(VALU_DEP_2) | instskip(SKIP_1) | instid1(VALU_DEP_2)
	v_lshlrev_b64 v[2:3], 2, v[6:7]
	v_or_b32_e32 v6, 2.0, v15
	v_add_co_u32 v2, s0, s12, v2
	s_delay_alu instid0(VALU_DEP_1)
	v_add_co_ci_u32_e64 v3, s0, s13, v3, s0
                                        ; implicit-def: $sgpr0
	global_store_b32 v[2:3], v6, off
	s_branch .LBB138_91
	.p2align	6
.LBB138_89:                             ;   in Loop: Header=BB138_91 Depth=1
	s_or_b32 exec_lo, exec_lo, s5
.LBB138_90:                             ;   in Loop: Header=BB138_91 Depth=1
	s_delay_alu instid0(SALU_CYCLE_1) | instskip(SKIP_2) | instid1(VALU_DEP_2)
	s_or_b32 exec_lo, exec_lo, s4
	v_and_b32_e32 v8, 0x3fffffff, v14
	v_cmp_eq_u32_e64 s0, 0x80000000, v6
	v_add_nc_u32_e32 v11, v8, v11
	s_delay_alu instid0(VALU_DEP_2) | instskip(NEXT) | instid1(SALU_CYCLE_1)
	s_and_b32 s4, exec_lo, s0
	s_or_b32 s2, s4, s2
	s_delay_alu instid0(SALU_CYCLE_1)
	s_and_not1_b32 exec_lo, exec_lo, s2
	s_cbranch_execz .LBB138_96
.LBB138_91:                             ; =>This Loop Header: Depth=1
                                        ;     Child Loop BB138_94 Depth 2
	s_or_b32 s0, s0, exec_lo
	s_cmp_eq_u32 s3, 0
	s_cbranch_scc1 .LBB138_95
; %bb.92:                               ;   in Loop: Header=BB138_91 Depth=1
	s_add_i32 s3, s3, -1
	s_mov_b32 s4, exec_lo
	v_lshl_or_b32 v6, s3, 8, v5
	s_delay_alu instid0(VALU_DEP_1) | instskip(NEXT) | instid1(VALU_DEP_1)
	v_lshlrev_b64 v[8:9], 2, v[6:7]
	v_add_co_u32 v8, s0, s12, v8
	s_delay_alu instid0(VALU_DEP_1) | instskip(SKIP_3) | instid1(VALU_DEP_1)
	v_add_co_ci_u32_e64 v9, s0, s13, v9, s0
	global_load_b32 v14, v[8:9], off glc
	s_waitcnt vmcnt(0)
	v_and_b32_e32 v6, -2.0, v14
	v_cmpx_eq_u32_e32 0, v6
	s_cbranch_execz .LBB138_90
; %bb.93:                               ;   in Loop: Header=BB138_91 Depth=1
	s_mov_b32 s5, 0
.LBB138_94:                             ;   Parent Loop BB138_91 Depth=1
                                        ; =>  This Inner Loop Header: Depth=2
	global_load_b32 v14, v[8:9], off glc
	s_waitcnt vmcnt(0)
	v_and_b32_e32 v6, -2.0, v14
	s_delay_alu instid0(VALU_DEP_1) | instskip(NEXT) | instid1(VALU_DEP_1)
	v_cmp_ne_u32_e64 s0, 0, v6
	s_or_b32 s5, s0, s5
	s_delay_alu instid0(SALU_CYCLE_1)
	s_and_not1_b32 exec_lo, exec_lo, s5
	s_cbranch_execnz .LBB138_94
	s_branch .LBB138_89
.LBB138_95:                             ;   in Loop: Header=BB138_91 Depth=1
                                        ; implicit-def: $sgpr3
	s_and_b32 s4, exec_lo, s0
	s_delay_alu instid0(SALU_CYCLE_1) | instskip(NEXT) | instid1(SALU_CYCLE_1)
	s_or_b32 s2, s4, s2
	s_and_not1_b32 exec_lo, exec_lo, s2
	s_cbranch_execnz .LBB138_91
.LBB138_96:
	s_or_b32 exec_lo, exec_lo, s2
	v_add_nc_u32_e32 v6, v11, v15
	v_lshlrev_b32_e32 v7, 3, v5
	s_delay_alu instid0(VALU_DEP_2) | instskip(SKIP_3) | instid1(VALU_DEP_1)
	v_or_b32_e32 v6, 0x80000000, v6
	global_store_b32 v[2:3], v6, off
	global_load_b64 v[2:3], v7, s[24:25]
	v_sub_co_u32 v6, s0, v11, v0
	v_sub_co_ci_u32_e64 v8, s0, 0, v1, s0
	s_waitcnt vmcnt(0)
	s_delay_alu instid0(VALU_DEP_2) | instskip(SKIP_1) | instid1(VALU_DEP_3)
	v_add_co_u32 v2, s0, v6, v2
	v_mov_b32_e32 v6, 0
	v_add_co_ci_u32_e64 v3, s0, v8, v3, s0
	ds_store_b64 v7, v[2:3]
.LBB138_97:
	s_or_b32 exec_lo, exec_lo, s1
	v_lshlrev_b32_e32 v2, 3, v12
	s_lshl_b64 s[0:1], s[6:7], 3
	v_lshlrev_b32_e32 v3, 3, v10
	s_add_u32 s0, s20, s0
	s_addc_u32 s1, s21, s1
	v_add_co_u32 v2, s0, s0, v2
	s_delay_alu instid0(VALU_DEP_1) | instskip(SKIP_2) | instid1(VALU_DEP_2)
	v_add_co_ci_u32_e64 v7, null, s1, 0, s0
	s_waitcnt lgkmcnt(0)
	s_waitcnt_vscnt null, 0x0
	v_add_co_u32 v2, s0, v2, v3
	s_delay_alu instid0(VALU_DEP_1)
	v_add_co_ci_u32_e64 v3, s0, 0, v7, s0
	s_barrier
	buffer_gl0_inv
	v_lshlrev_b32_e32 v27, 2, v5
	s_clause 0x3
	global_load_b64 v[7:8], v[2:3], off
	global_load_b64 v[9:10], v[2:3], off offset:256
	global_load_b64 v[11:12], v[2:3], off offset:512
	global_load_b64 v[2:3], v[2:3], off offset:768
	ds_load_2addr_stride64_b32 v[18:19], v4 offset0:24 offset1:40
	v_lshlrev_b32_e32 v34, 3, v17
	v_lshlrev_b32_e32 v33, 3, v20
	ds_load_b32 v28, v27 offset:2048
	v_lshlrev_b32_e32 v35, 3, v16
	v_or_b32_e32 v30, 0x400, v5
	v_lshlrev_b64 v[23:24], 2, v[5:6]
	v_or_b32_e32 v31, 0x800, v5
	v_or_b32_e32 v32, 0xc00, v5
	v_lshlrev_b32_e32 v13, 3, v13
	v_lshlrev_b32_e32 v36, 2, v30
	s_add_i32 s9, s9, -1
	v_lshlrev_b32_e32 v37, 2, v31
	v_lshlrev_b32_e32 v38, 2, v32
	s_cmp_eq_u32 s15, s9
	s_cselect_b32 s1, -1, 0
	s_delay_alu instid0(SALU_CYCLE_1) | instskip(SKIP_2) | instid1(VALU_DEP_1)
	s_and_b32 s1, vcc_lo, s1
	s_waitcnt lgkmcnt(1)
	v_cmp_ne_u32_e64 s0, 0x7fffffff, v18
	v_cndmask_b32_e64 v14, 0x80000000, v18, s0
	s_waitcnt lgkmcnt(0)
	v_cmp_ne_u32_e64 s0, 0x7fffffff, v28
	s_delay_alu instid0(VALU_DEP_2) | instskip(NEXT) | instid1(VALU_DEP_2)
	v_lshrrev_b32_e32 v14, s28, v14
	v_cndmask_b32_e64 v25, 0x80000000, v28, s0
	v_cmp_ne_u32_e64 s0, 0x7fffffff, v19
	s_delay_alu instid0(VALU_DEP_3) | instskip(NEXT) | instid1(VALU_DEP_3)
	v_and_b32_e32 v14, s10, v14
	v_lshrrev_b32_e32 v20, s28, v25
	s_delay_alu instid0(VALU_DEP_3) | instskip(NEXT) | instid1(VALU_DEP_3)
	v_cndmask_b32_e64 v17, 0x80000000, v19, s0
	v_lshlrev_b32_e32 v14, 3, v14
	ds_load_b64 v[21:22], v14
	ds_load_b32 v29, v4 offset:14336
	v_lshrrev_b32_e32 v16, s28, v17
	v_and_b32_e32 v17, s10, v20
	v_add3_u32 v4, 0x800, v4, v4
	s_delay_alu instid0(VALU_DEP_3) | instskip(NEXT) | instid1(VALU_DEP_3)
	v_and_b32_e32 v16, s10, v16
	v_lshlrev_b32_e32 v39, 3, v17
	s_delay_alu instid0(VALU_DEP_2) | instskip(SKIP_3) | instid1(VALU_DEP_1)
	v_lshlrev_b32_e32 v40, 3, v16
	ds_load_b64 v[16:17], v39
	s_waitcnt lgkmcnt(1)
	v_cmp_ne_u32_e64 s0, 0x7fffffff, v29
	v_cndmask_b32_e64 v20, 0x80000000, v29, s0
	v_cmp_lt_i32_e64 s0, -1, v18
	s_delay_alu instid0(VALU_DEP_2) | instskip(NEXT) | instid1(VALU_DEP_2)
	v_lshrrev_b32_e32 v20, s28, v20
	v_cndmask_b32_e64 v25, 0x80000000, -1, s0
	v_cmp_lt_i32_e64 s0, -1, v19
	s_delay_alu instid0(VALU_DEP_3) | instskip(NEXT) | instid1(VALU_DEP_3)
	v_and_b32_e32 v20, s10, v20
	v_xor_b32_e32 v42, v25, v18
	ds_load_b64 v[25:26], v40
	v_cndmask_b32_e64 v41, 0x80000000, -1, s0
	v_cmp_lt_i32_e64 s0, -1, v28
	v_lshlrev_b32_e32 v43, 3, v20
	v_lshlrev_b64 v[20:21], 2, v[21:22]
	s_delay_alu instid0(VALU_DEP_4) | instskip(NEXT) | instid1(VALU_DEP_4)
	v_xor_b32_e32 v41, v41, v19
	v_cndmask_b32_e64 v18, 0x80000000, -1, s0
	v_cmp_lt_i32_e64 s0, -1, v29
	s_delay_alu instid0(VALU_DEP_2) | instskip(SKIP_3) | instid1(VALU_DEP_1)
	v_xor_b32_e32 v28, v18, v28
	ds_load_b64 v[18:19], v43
	v_cndmask_b32_e64 v44, 0x80000000, -1, s0
	v_add_co_u32 v20, s0, s18, v20
	v_add_co_ci_u32_e64 v21, s0, s19, v21, s0
	s_waitcnt lgkmcnt(2)
	v_lshlrev_b64 v[16:17], 2, v[16:17]
	s_delay_alu instid0(VALU_DEP_3) | instskip(SKIP_3) | instid1(VALU_DEP_4)
	v_add_co_u32 v20, s0, v20, v36
	s_waitcnt lgkmcnt(1)
	v_lshlrev_b64 v[25:26], 2, v[25:26]
	v_add_co_ci_u32_e64 v21, s0, 0, v21, s0
	v_add_co_u32 v22, s0, s18, v16
	s_delay_alu instid0(VALU_DEP_1) | instskip(NEXT) | instid1(VALU_DEP_4)
	v_add_co_ci_u32_e64 v36, s0, s19, v17, s0
	v_add_co_u32 v25, s0, s18, v25
	s_delay_alu instid0(VALU_DEP_1) | instskip(SKIP_3) | instid1(VALU_DEP_1)
	v_add_co_ci_u32_e64 v26, s0, s19, v26, s0
	s_waitcnt lgkmcnt(0)
	v_lshlrev_b64 v[16:17], 2, v[18:19]
	v_add_co_u32 v18, s0, v22, v23
	v_add_co_ci_u32_e64 v19, s0, v36, v24, s0
	v_xor_b32_e32 v29, v44, v29
	s_delay_alu instid0(VALU_DEP_4) | instskip(NEXT) | instid1(VALU_DEP_1)
	v_add_co_u32 v22, s0, s18, v16
	v_add_co_ci_u32_e64 v23, s0, s19, v17, s0
	v_add_co_u32 v16, s0, v25, v37
	s_delay_alu instid0(VALU_DEP_1) | instskip(NEXT) | instid1(VALU_DEP_4)
	v_add_co_ci_u32_e64 v17, s0, 0, v26, s0
	v_add_co_u32 v22, s0, v22, v38
	s_delay_alu instid0(VALU_DEP_1)
	v_add_co_ci_u32_e64 v23, s0, 0, v23, s0
	s_clause 0x3
	global_store_b32 v[18:19], v28, off
	global_store_b32 v[20:21], v42, off
	;; [unrolled: 1-line block ×4, first 2 shown]
	s_waitcnt vmcnt(0)
	s_waitcnt_vscnt null, 0x0
	s_barrier
	buffer_gl0_inv
	v_add_nc_u32_e32 v20, v27, v27
	v_lshlrev_b64 v[18:19], 3, v[5:6]
	v_lshlrev_b32_e32 v24, 3, v30
	v_lshlrev_b32_e32 v25, 3, v31
	;; [unrolled: 1-line block ×3, first 2 shown]
	ds_store_b64 v33, v[7:8] offset:2048
	ds_store_b64 v34, v[9:10] offset:2048
	;; [unrolled: 1-line block ×4, first 2 shown]
	s_waitcnt lgkmcnt(0)
	s_barrier
	buffer_gl0_inv
	ds_load_b64 v[2:3], v39
	ds_load_b64 v[11:12], v14
	;; [unrolled: 1-line block ×4, first 2 shown]
	ds_load_2addr_stride64_b64 v[7:10], v4 offset0:16 offset1:32
	ds_load_b64 v[20:21], v20 offset:2048
	ds_load_b64 v[22:23], v4 offset:24576
	s_waitcnt lgkmcnt(6)
	v_lshlrev_b64 v[2:3], 3, v[2:3]
	s_waitcnt lgkmcnt(5)
	v_lshlrev_b64 v[11:12], 3, v[11:12]
	;; [unrolled: 2-line block ×4, first 2 shown]
	v_add_co_u32 v2, s0, s22, v2
	s_delay_alu instid0(VALU_DEP_1) | instskip(SKIP_1) | instid1(VALU_DEP_1)
	v_add_co_ci_u32_e64 v3, s0, s23, v3, s0
	v_add_co_u32 v4, s0, s22, v11
	v_add_co_ci_u32_e64 v12, s0, s23, v12, s0
	v_add_co_u32 v13, s0, s22, v13
	s_delay_alu instid0(VALU_DEP_1) | instskip(SKIP_1) | instid1(VALU_DEP_1)
	v_add_co_ci_u32_e64 v14, s0, s23, v14, s0
	v_add_co_u32 v16, s0, s22, v16
	v_add_co_ci_u32_e64 v17, s0, s23, v17, s0
	;; [unrolled: 5-line block ×4, first 2 shown]
	s_waitcnt lgkmcnt(1)
	s_clause 0x2
	global_store_b64 v[2:3], v[20:21], off
	global_store_b64 v[11:12], v[7:8], off
	;; [unrolled: 1-line block ×3, first 2 shown]
	s_waitcnt lgkmcnt(0)
	global_store_b64 v[16:17], v[22:23], off
                                        ; implicit-def: $vgpr2_vgpr3
	s_and_saveexec_b32 s0, s1
; %bb.98:
	v_add_co_u32 v2, vcc_lo, v0, v15
	v_add_co_ci_u32_e32 v3, vcc_lo, 0, v1, vcc_lo
	s_or_b32 s8, s8, exec_lo
; %bb.99:
	s_or_b32 exec_lo, exec_lo, s0
.LBB138_100:
	s_and_saveexec_b32 s0, s8
	s_cbranch_execnz .LBB138_102
; %bb.101:
	s_nop 0
	s_sendmsg sendmsg(MSG_DEALLOC_VGPRS)
	s_endpgm
.LBB138_102:
	v_lshlrev_b32_e32 v0, 3, v5
	v_lshlrev_b64 v[4:5], 3, v[5:6]
	ds_load_b64 v[0:1], v0
	v_add_co_u32 v4, vcc_lo, s26, v4
	v_add_co_ci_u32_e32 v5, vcc_lo, s27, v5, vcc_lo
	s_waitcnt lgkmcnt(0)
	v_add_co_u32 v0, vcc_lo, v0, v2
	v_add_co_ci_u32_e32 v1, vcc_lo, v1, v3, vcc_lo
	global_store_b64 v[4:5], v[0:1], off
	s_nop 0
	s_sendmsg sendmsg(MSG_DEALLOC_VGPRS)
	s_endpgm
.LBB138_103:
	global_load_b64 v[1:2], v[10:11], off
	s_or_b32 exec_lo, exec_lo, s10
                                        ; implicit-def: $vgpr3_vgpr4
	s_and_saveexec_b32 s10, s2
	s_cbranch_execz .LBB138_47
.LBB138_104:
	global_load_b64 v[3:4], v[10:11], off offset:256
	s_or_b32 exec_lo, exec_lo, s10
                                        ; implicit-def: $vgpr6_vgpr7
	s_and_saveexec_b32 s2, s3
	s_cbranch_execz .LBB138_48
.LBB138_105:
	global_load_b64 v[6:7], v[10:11], off offset:512
	s_or_b32 exec_lo, exec_lo, s2
                                        ; implicit-def: $vgpr8_vgpr9
	s_and_saveexec_b32 s2, s4
	s_cbranch_execnz .LBB138_49
	s_branch .LBB138_50
.LBB138_106:
	v_lshlrev_b32_e32 v2, 3, v24
	ds_load_b64 v[2:3], v2
	ds_load_b64 v[6:7], v1 offset:2048
	s_waitcnt lgkmcnt(1)
	v_lshlrev_b64 v[2:3], 3, v[2:3]
	s_delay_alu instid0(VALU_DEP_1) | instskip(NEXT) | instid1(VALU_DEP_2)
	v_add_co_u32 v2, vcc_lo, s22, v2
	v_add_co_ci_u32_e32 v3, vcc_lo, s23, v3, vcc_lo
	s_delay_alu instid0(VALU_DEP_2) | instskip(NEXT) | instid1(VALU_DEP_2)
	v_add_co_u32 v2, vcc_lo, v2, v1
	v_add_co_ci_u32_e32 v3, vcc_lo, 0, v3, vcc_lo
	s_waitcnt lgkmcnt(0)
	global_store_b64 v[2:3], v[6:7], off
	s_or_b32 exec_lo, exec_lo, s2
	s_and_saveexec_b32 s2, s7
	s_cbranch_execz .LBB138_60
.LBB138_107:
	v_lshlrev_b32_e32 v2, 3, v11
	v_lshlrev_b32_e32 v4, 3, v17
	ds_load_b64 v[2:3], v2
	ds_load_b64 v[6:7], v1 offset:10240
	s_waitcnt lgkmcnt(1)
	v_lshlrev_b64 v[2:3], 3, v[2:3]
	s_delay_alu instid0(VALU_DEP_1) | instskip(NEXT) | instid1(VALU_DEP_2)
	v_add_co_u32 v2, vcc_lo, s22, v2
	v_add_co_ci_u32_e32 v3, vcc_lo, s23, v3, vcc_lo
	s_delay_alu instid0(VALU_DEP_2) | instskip(NEXT) | instid1(VALU_DEP_2)
	v_add_co_u32 v2, vcc_lo, v2, v4
	v_add_co_ci_u32_e32 v3, vcc_lo, 0, v3, vcc_lo
	s_waitcnt lgkmcnt(0)
	global_store_b64 v[2:3], v[6:7], off
	s_or_b32 exec_lo, exec_lo, s2
	s_and_saveexec_b32 s2, s8
	s_cbranch_execz .LBB138_61
.LBB138_108:
	v_lshlrev_b32_e32 v2, 3, v23
	v_lshlrev_b32_e32 v4, 3, v20
	ds_load_b64 v[2:3], v2
	ds_load_b64 v[6:7], v1 offset:18432
	s_waitcnt lgkmcnt(1)
	v_lshlrev_b64 v[2:3], 3, v[2:3]
	s_delay_alu instid0(VALU_DEP_1) | instskip(NEXT) | instid1(VALU_DEP_2)
	v_add_co_u32 v2, vcc_lo, s22, v2
	v_add_co_ci_u32_e32 v3, vcc_lo, s23, v3, vcc_lo
	s_delay_alu instid0(VALU_DEP_2) | instskip(NEXT) | instid1(VALU_DEP_2)
	v_add_co_u32 v2, vcc_lo, v2, v4
	v_add_co_ci_u32_e32 v3, vcc_lo, 0, v3, vcc_lo
	s_waitcnt lgkmcnt(0)
	global_store_b64 v[2:3], v[6:7], off
	s_or_b32 exec_lo, exec_lo, s2
	s_and_saveexec_b32 s2, s9
	s_cbranch_execnz .LBB138_62
	s_branch .LBB138_63
	.section	.rodata,"a",@progbits
	.p2align	6, 0x0
	.amdhsa_kernel _ZN7rocprim17ROCPRIM_304000_NS6detail25onesweep_iteration_kernelINS1_34wrapped_radix_sort_onesweep_configINS0_14default_configEfN2at4cuda3cub6detail10OpaqueTypeILi8EEEEELb0EPKfPfPKSA_PSA_mNS0_19identity_decomposerEEEvT1_T2_T3_T4_jPT5_SO_PNS1_23onesweep_lookback_stateET6_jjj
		.amdhsa_group_segment_fixed_size 36992
		.amdhsa_private_segment_fixed_size 0
		.amdhsa_kernarg_size 336
		.amdhsa_user_sgpr_count 15
		.amdhsa_user_sgpr_dispatch_ptr 0
		.amdhsa_user_sgpr_queue_ptr 0
		.amdhsa_user_sgpr_kernarg_segment_ptr 1
		.amdhsa_user_sgpr_dispatch_id 0
		.amdhsa_user_sgpr_private_segment_size 0
		.amdhsa_wavefront_size32 1
		.amdhsa_uses_dynamic_stack 0
		.amdhsa_enable_private_segment 0
		.amdhsa_system_sgpr_workgroup_id_x 1
		.amdhsa_system_sgpr_workgroup_id_y 0
		.amdhsa_system_sgpr_workgroup_id_z 0
		.amdhsa_system_sgpr_workgroup_info 0
		.amdhsa_system_vgpr_workitem_id 2
		.amdhsa_next_free_vgpr 45
		.amdhsa_next_free_sgpr 36
		.amdhsa_reserve_vcc 1
		.amdhsa_float_round_mode_32 0
		.amdhsa_float_round_mode_16_64 0
		.amdhsa_float_denorm_mode_32 3
		.amdhsa_float_denorm_mode_16_64 3
		.amdhsa_dx10_clamp 1
		.amdhsa_ieee_mode 1
		.amdhsa_fp16_overflow 0
		.amdhsa_workgroup_processor_mode 1
		.amdhsa_memory_ordered 1
		.amdhsa_forward_progress 0
		.amdhsa_shared_vgpr_count 0
		.amdhsa_exception_fp_ieee_invalid_op 0
		.amdhsa_exception_fp_denorm_src 0
		.amdhsa_exception_fp_ieee_div_zero 0
		.amdhsa_exception_fp_ieee_overflow 0
		.amdhsa_exception_fp_ieee_underflow 0
		.amdhsa_exception_fp_ieee_inexact 0
		.amdhsa_exception_int_div_zero 0
	.end_amdhsa_kernel
	.section	.text._ZN7rocprim17ROCPRIM_304000_NS6detail25onesweep_iteration_kernelINS1_34wrapped_radix_sort_onesweep_configINS0_14default_configEfN2at4cuda3cub6detail10OpaqueTypeILi8EEEEELb0EPKfPfPKSA_PSA_mNS0_19identity_decomposerEEEvT1_T2_T3_T4_jPT5_SO_PNS1_23onesweep_lookback_stateET6_jjj,"axG",@progbits,_ZN7rocprim17ROCPRIM_304000_NS6detail25onesweep_iteration_kernelINS1_34wrapped_radix_sort_onesweep_configINS0_14default_configEfN2at4cuda3cub6detail10OpaqueTypeILi8EEEEELb0EPKfPfPKSA_PSA_mNS0_19identity_decomposerEEEvT1_T2_T3_T4_jPT5_SO_PNS1_23onesweep_lookback_stateET6_jjj,comdat
.Lfunc_end138:
	.size	_ZN7rocprim17ROCPRIM_304000_NS6detail25onesweep_iteration_kernelINS1_34wrapped_radix_sort_onesweep_configINS0_14default_configEfN2at4cuda3cub6detail10OpaqueTypeILi8EEEEELb0EPKfPfPKSA_PSA_mNS0_19identity_decomposerEEEvT1_T2_T3_T4_jPT5_SO_PNS1_23onesweep_lookback_stateET6_jjj, .Lfunc_end138-_ZN7rocprim17ROCPRIM_304000_NS6detail25onesweep_iteration_kernelINS1_34wrapped_radix_sort_onesweep_configINS0_14default_configEfN2at4cuda3cub6detail10OpaqueTypeILi8EEEEELb0EPKfPfPKSA_PSA_mNS0_19identity_decomposerEEEvT1_T2_T3_T4_jPT5_SO_PNS1_23onesweep_lookback_stateET6_jjj
                                        ; -- End function
	.section	.AMDGPU.csdata,"",@progbits
; Kernel info:
; codeLenInByte = 9752
; NumSgprs: 38
; NumVgprs: 45
; ScratchSize: 0
; MemoryBound: 0
; FloatMode: 240
; IeeeMode: 1
; LDSByteSize: 36992 bytes/workgroup (compile time only)
; SGPRBlocks: 4
; VGPRBlocks: 5
; NumSGPRsForWavesPerEU: 38
; NumVGPRsForWavesPerEU: 45
; Occupancy: 16
; WaveLimiterHint : 1
; COMPUTE_PGM_RSRC2:SCRATCH_EN: 0
; COMPUTE_PGM_RSRC2:USER_SGPR: 15
; COMPUTE_PGM_RSRC2:TRAP_HANDLER: 0
; COMPUTE_PGM_RSRC2:TGID_X_EN: 1
; COMPUTE_PGM_RSRC2:TGID_Y_EN: 0
; COMPUTE_PGM_RSRC2:TGID_Z_EN: 0
; COMPUTE_PGM_RSRC2:TIDIG_COMP_CNT: 2
	.section	.text._ZN7rocprim17ROCPRIM_304000_NS6detail25onesweep_iteration_kernelINS1_34wrapped_radix_sort_onesweep_configINS0_14default_configEfN2at4cuda3cub6detail10OpaqueTypeILi8EEEEELb0EPfSC_PSA_SD_mNS0_19identity_decomposerEEEvT1_T2_T3_T4_jPT5_SK_PNS1_23onesweep_lookback_stateET6_jjj,"axG",@progbits,_ZN7rocprim17ROCPRIM_304000_NS6detail25onesweep_iteration_kernelINS1_34wrapped_radix_sort_onesweep_configINS0_14default_configEfN2at4cuda3cub6detail10OpaqueTypeILi8EEEEELb0EPfSC_PSA_SD_mNS0_19identity_decomposerEEEvT1_T2_T3_T4_jPT5_SK_PNS1_23onesweep_lookback_stateET6_jjj,comdat
	.protected	_ZN7rocprim17ROCPRIM_304000_NS6detail25onesweep_iteration_kernelINS1_34wrapped_radix_sort_onesweep_configINS0_14default_configEfN2at4cuda3cub6detail10OpaqueTypeILi8EEEEELb0EPfSC_PSA_SD_mNS0_19identity_decomposerEEEvT1_T2_T3_T4_jPT5_SK_PNS1_23onesweep_lookback_stateET6_jjj ; -- Begin function _ZN7rocprim17ROCPRIM_304000_NS6detail25onesweep_iteration_kernelINS1_34wrapped_radix_sort_onesweep_configINS0_14default_configEfN2at4cuda3cub6detail10OpaqueTypeILi8EEEEELb0EPfSC_PSA_SD_mNS0_19identity_decomposerEEEvT1_T2_T3_T4_jPT5_SK_PNS1_23onesweep_lookback_stateET6_jjj
	.globl	_ZN7rocprim17ROCPRIM_304000_NS6detail25onesweep_iteration_kernelINS1_34wrapped_radix_sort_onesweep_configINS0_14default_configEfN2at4cuda3cub6detail10OpaqueTypeILi8EEEEELb0EPfSC_PSA_SD_mNS0_19identity_decomposerEEEvT1_T2_T3_T4_jPT5_SK_PNS1_23onesweep_lookback_stateET6_jjj
	.p2align	8
	.type	_ZN7rocprim17ROCPRIM_304000_NS6detail25onesweep_iteration_kernelINS1_34wrapped_radix_sort_onesweep_configINS0_14default_configEfN2at4cuda3cub6detail10OpaqueTypeILi8EEEEELb0EPfSC_PSA_SD_mNS0_19identity_decomposerEEEvT1_T2_T3_T4_jPT5_SK_PNS1_23onesweep_lookback_stateET6_jjj,@function
_ZN7rocprim17ROCPRIM_304000_NS6detail25onesweep_iteration_kernelINS1_34wrapped_radix_sort_onesweep_configINS0_14default_configEfN2at4cuda3cub6detail10OpaqueTypeILi8EEEEELb0EPfSC_PSA_SD_mNS0_19identity_decomposerEEEvT1_T2_T3_T4_jPT5_SK_PNS1_23onesweep_lookback_stateET6_jjj: ; @_ZN7rocprim17ROCPRIM_304000_NS6detail25onesweep_iteration_kernelINS1_34wrapped_radix_sort_onesweep_configINS0_14default_configEfN2at4cuda3cub6detail10OpaqueTypeILi8EEEEELb0EPfSC_PSA_SD_mNS0_19identity_decomposerEEEvT1_T2_T3_T4_jPT5_SK_PNS1_23onesweep_lookback_stateET6_jjj
; %bb.0:
	s_clause 0x3
	s_load_b128 s[28:31], s[0:1], 0x44
	s_load_b256 s[16:23], s[0:1], 0x0
	s_load_b128 s[24:27], s[0:1], 0x28
	s_load_b64 s[12:13], s[0:1], 0x38
	v_and_b32_e32 v5, 0x3ff, v0
	v_mbcnt_lo_u32_b32 v12, -1, 0
	s_waitcnt lgkmcnt(0)
	s_cmp_ge_u32 s15, s30
	s_cbranch_scc0 .LBB139_66
; %bb.1:
	s_load_b32 s8, s[0:1], 0x20
	s_brev_b32 s4, -2
	s_lshl_b32 s9, s30, 12
	s_mov_b32 s5, s4
	s_mov_b32 s6, s4
	;; [unrolled: 1-line block ×3, first 2 shown]
	v_lshlrev_b32_e32 v13, 2, v5
	s_lshl_b32 s30, s15, 12
	s_mov_b32 s31, 0
	v_lshlrev_b32_e32 v1, 2, v12
	s_lshl_b64 s[2:3], s[30:31], 2
	v_and_b32_e32 v10, 0xf80, v13
	s_delay_alu instid0(VALU_DEP_1)
	v_lshlrev_b32_e32 v2, 2, v10
	s_waitcnt lgkmcnt(0)
	s_sub_i32 s34, s8, s9
	s_add_u32 s2, s16, s2
	s_addc_u32 s3, s17, s3
	v_add_co_u32 v1, s2, s2, v1
	s_delay_alu instid0(VALU_DEP_1) | instskip(NEXT) | instid1(VALU_DEP_2)
	v_add_co_ci_u32_e64 v3, null, s3, 0, s2
	v_add_co_u32 v6, s2, v1, v2
	s_delay_alu instid0(VALU_DEP_1)
	v_add_co_ci_u32_e64 v7, s2, 0, v3, s2
	v_mov_b32_e32 v1, s4
	v_mov_b32_e32 v3, s6
	v_or_b32_e32 v8, v12, v10
	v_mov_b32_e32 v2, s5
	v_mov_b32_e32 v4, s7
	s_delay_alu instid0(VALU_DEP_3)
	v_cmp_gt_u32_e32 vcc_lo, s34, v8
	s_and_saveexec_b32 s2, vcc_lo
	s_cbranch_execz .LBB139_3
; %bb.2:
	global_load_b32 v1, v[6:7], off
	v_bfrev_b32_e32 v2, -2
	s_delay_alu instid0(VALU_DEP_1)
	v_mov_b32_e32 v3, v2
	v_mov_b32_e32 v4, v2
.LBB139_3:
	s_or_b32 exec_lo, exec_lo, s2
	v_add_nc_u32_e32 v9, 32, v8
	s_delay_alu instid0(VALU_DEP_1) | instskip(NEXT) | instid1(VALU_DEP_1)
	v_cmp_gt_u32_e64 s2, s34, v9
	s_and_saveexec_b32 s3, s2
	s_cbranch_execz .LBB139_5
; %bb.4:
	global_load_b32 v2, v[6:7], off offset:128
.LBB139_5:
	s_or_b32 exec_lo, exec_lo, s3
	v_add_nc_u32_e32 v9, 64, v8
	s_delay_alu instid0(VALU_DEP_1) | instskip(NEXT) | instid1(VALU_DEP_1)
	v_cmp_gt_u32_e64 s3, s34, v9
	s_and_saveexec_b32 s4, s3
	s_cbranch_execz .LBB139_7
; %bb.6:
	global_load_b32 v3, v[6:7], off offset:256
.LBB139_7:
	;; [unrolled: 9-line block ×3, first 2 shown]
	s_or_b32 exec_lo, exec_lo, s5
	s_clause 0x1
	s_load_b32 s5, s[0:1], 0x5c
	s_load_b32 s14, s[0:1], 0x50
	s_add_u32 s6, s0, 0x50
	s_addc_u32 s7, s1, 0
	s_waitcnt lgkmcnt(0)
	s_lshr_b32 s8, s5, 16
	s_cmp_lt_u32 s15, s14
	s_cselect_b32 s5, 12, 18
	s_delay_alu instid0(SALU_CYCLE_1) | instskip(SKIP_3) | instid1(VALU_DEP_1)
	s_add_u32 s6, s6, s5
	s_waitcnt vmcnt(0)
	v_cmp_lt_i32_e64 s5, -1, v1
	s_addc_u32 s7, s7, 0
	v_cndmask_b32_e64 v7, -1, 0x80000000, s5
	s_delay_alu instid0(VALU_DEP_1) | instskip(NEXT) | instid1(VALU_DEP_1)
	v_xor_b32_e32 v11, v7, v1
	v_cmp_ne_u32_e64 s5, 0x7fffffff, v11
	s_delay_alu instid0(VALU_DEP_1) | instskip(SKIP_1) | instid1(SALU_CYCLE_1)
	v_cndmask_b32_e64 v1, 0x80000000, v11, s5
	s_lshl_b32 s5, -1, s29
	s_not_b32 s33, s5
	s_delay_alu instid0(VALU_DEP_1) | instskip(NEXT) | instid1(VALU_DEP_1)
	v_lshrrev_b32_e32 v1, s28, v1
	v_dual_mov_b32 v9, 0 :: v_dual_and_b32 v16, s33, v1
	global_load_u16 v6, v9, s[6:7]
	v_bfe_u32 v1, v0, 10, 10
	v_and_b32_e32 v7, 1, v16
	v_lshlrev_b32_e32 v8, 30, v16
	v_lshlrev_b32_e32 v14, 29, v16
	;; [unrolled: 1-line block ×4, first 2 shown]
	v_add_co_u32 v7, s5, v7, -1
	s_delay_alu instid0(VALU_DEP_1)
	v_cndmask_b32_e64 v17, 0, 1, s5
	v_not_b32_e32 v21, v8
	v_cmp_gt_i32_e64 s6, 0, v8
	v_not_b32_e32 v8, v14
	v_lshlrev_b32_e32 v19, 26, v16
	v_cmp_ne_u32_e64 s5, 0, v17
	v_ashrrev_i32_e32 v21, 31, v21
	v_lshlrev_b32_e32 v20, 25, v16
	v_ashrrev_i32_e32 v8, 31, v8
	v_lshlrev_b32_e32 v17, 24, v16
	v_xor_b32_e32 v7, s5, v7
	v_cmp_gt_i32_e64 s5, 0, v14
	v_not_b32_e32 v14, v15
	v_xor_b32_e32 v21, s6, v21
	v_cmp_gt_i32_e64 s6, 0, v15
	v_and_b32_e32 v7, exec_lo, v7
	v_not_b32_e32 v15, v18
	v_ashrrev_i32_e32 v14, 31, v14
	v_xor_b32_e32 v8, s5, v8
	v_cmp_gt_i32_e64 s5, 0, v18
	v_and_b32_e32 v7, v7, v21
	v_not_b32_e32 v18, v19
	v_ashrrev_i32_e32 v15, 31, v15
	v_xor_b32_e32 v14, s6, v14
	v_cmp_gt_i32_e64 s6, 0, v19
	v_and_b32_e32 v7, v7, v8
	;; [unrolled: 5-line block ×4, first 2 shown]
	v_bfe_u32 v15, v0, 20, 10
	v_ashrrev_i32_e32 v14, 31, v14
	v_xor_b32_e32 v8, s5, v8
	v_mul_u32_u24_e32 v17, 9, v5
	v_and_b32_e32 v7, v7, v18
	v_mad_u32_u24 v1, v15, s8, v1
	v_xor_b32_e32 v15, s6, v14
	s_delay_alu instid0(VALU_DEP_4) | instskip(NEXT) | instid1(VALU_DEP_4)
	v_lshlrev_b32_e32 v14, 2, v17
	v_and_b32_e32 v18, v7, v8
	ds_store_2addr_b32 v14, v9, v9 offset0:32 offset1:33
	ds_store_2addr_b32 v14, v9, v9 offset0:34 offset1:35
	;; [unrolled: 1-line block ×4, first 2 shown]
	ds_store_b32 v14, v9 offset:160
	s_waitcnt vmcnt(0) lgkmcnt(0)
	s_barrier
	buffer_gl0_inv
	; wave barrier
	v_mad_u64_u32 v[7:8], null, v1, v6, v[5:6]
	v_and_b32_e32 v6, v18, v15
	s_delay_alu instid0(VALU_DEP_1) | instskip(NEXT) | instid1(VALU_DEP_3)
	v_mbcnt_lo_u32_b32 v15, v6, 0
	v_lshrrev_b32_e32 v1, 5, v7
	v_lshl_add_u32 v7, v16, 5, v16
	v_cmp_ne_u32_e64 s6, 0, v6
	s_delay_alu instid0(VALU_DEP_4) | instskip(NEXT) | instid1(VALU_DEP_3)
	v_cmp_eq_u32_e64 s5, 0, v15
	v_add_lshl_u32 v16, v7, v1, 2
	s_delay_alu instid0(VALU_DEP_2) | instskip(NEXT) | instid1(SALU_CYCLE_1)
	s_and_b32 s6, s6, s5
	s_and_saveexec_b32 s5, s6
	s_cbranch_execz .LBB139_11
; %bb.10:
	v_bcnt_u32_b32 v6, v6, 0
	ds_store_b32 v16, v6 offset:128
.LBB139_11:
	s_or_b32 exec_lo, exec_lo, s5
	v_cmp_lt_i32_e64 s5, -1, v2
	; wave barrier
	s_delay_alu instid0(VALU_DEP_1) | instskip(NEXT) | instid1(VALU_DEP_1)
	v_cndmask_b32_e64 v6, -1, 0x80000000, s5
	v_xor_b32_e32 v17, v6, v2
	s_delay_alu instid0(VALU_DEP_1) | instskip(NEXT) | instid1(VALU_DEP_1)
	v_cmp_ne_u32_e64 s5, 0x7fffffff, v17
	v_cndmask_b32_e64 v2, 0x80000000, v17, s5
	s_delay_alu instid0(VALU_DEP_1) | instskip(NEXT) | instid1(VALU_DEP_1)
	v_lshrrev_b32_e32 v2, s28, v2
	v_and_b32_e32 v2, s33, v2
	s_delay_alu instid0(VALU_DEP_1)
	v_and_b32_e32 v6, 1, v2
	v_lshlrev_b32_e32 v7, 30, v2
	v_lshlrev_b32_e32 v8, 29, v2
	;; [unrolled: 1-line block ×4, first 2 shown]
	v_add_co_u32 v6, s5, v6, -1
	s_delay_alu instid0(VALU_DEP_1)
	v_cndmask_b32_e64 v18, 0, 1, s5
	v_not_b32_e32 v22, v7
	v_cmp_gt_i32_e64 s6, 0, v7
	v_not_b32_e32 v7, v8
	v_lshlrev_b32_e32 v20, 26, v2
	v_cmp_ne_u32_e64 s5, 0, v18
	v_ashrrev_i32_e32 v22, 31, v22
	v_lshlrev_b32_e32 v21, 25, v2
	v_ashrrev_i32_e32 v7, 31, v7
	v_lshlrev_b32_e32 v18, 24, v2
	v_xor_b32_e32 v6, s5, v6
	v_cmp_gt_i32_e64 s5, 0, v8
	v_not_b32_e32 v8, v9
	v_xor_b32_e32 v22, s6, v22
	v_cmp_gt_i32_e64 s6, 0, v9
	v_and_b32_e32 v6, exec_lo, v6
	v_not_b32_e32 v9, v19
	v_ashrrev_i32_e32 v8, 31, v8
	v_xor_b32_e32 v7, s5, v7
	v_cmp_gt_i32_e64 s5, 0, v19
	v_and_b32_e32 v6, v6, v22
	v_not_b32_e32 v19, v20
	v_ashrrev_i32_e32 v9, 31, v9
	v_xor_b32_e32 v8, s6, v8
	v_cmp_gt_i32_e64 s6, 0, v20
	v_and_b32_e32 v6, v6, v7
	;; [unrolled: 5-line block ×3, first 2 shown]
	v_not_b32_e32 v8, v18
	v_ashrrev_i32_e32 v7, 31, v7
	v_xor_b32_e32 v19, s6, v19
	v_lshl_add_u32 v2, v2, 5, v2
	v_and_b32_e32 v6, v6, v9
	v_cmp_gt_i32_e64 s6, 0, v18
	v_ashrrev_i32_e32 v8, 31, v8
	v_xor_b32_e32 v7, s5, v7
	v_add_lshl_u32 v21, v2, v1, 2
	v_and_b32_e32 v6, v6, v19
	s_delay_alu instid0(VALU_DEP_4) | instskip(SKIP_2) | instid1(VALU_DEP_1)
	v_xor_b32_e32 v2, s6, v8
	ds_load_b32 v18, v21 offset:128
	v_and_b32_e32 v6, v6, v7
	; wave barrier
	v_and_b32_e32 v2, v6, v2
	s_delay_alu instid0(VALU_DEP_1) | instskip(SKIP_1) | instid1(VALU_DEP_2)
	v_mbcnt_lo_u32_b32 v19, v2, 0
	v_cmp_ne_u32_e64 s6, 0, v2
	v_cmp_eq_u32_e64 s5, 0, v19
	s_delay_alu instid0(VALU_DEP_1) | instskip(NEXT) | instid1(SALU_CYCLE_1)
	s_and_b32 s6, s6, s5
	s_and_saveexec_b32 s5, s6
	s_cbranch_execz .LBB139_13
; %bb.12:
	s_waitcnt lgkmcnt(0)
	v_bcnt_u32_b32 v2, v2, v18
	ds_store_b32 v21, v2 offset:128
.LBB139_13:
	s_or_b32 exec_lo, exec_lo, s5
	v_cmp_lt_i32_e64 s5, -1, v3
	; wave barrier
	s_delay_alu instid0(VALU_DEP_1) | instskip(NEXT) | instid1(VALU_DEP_1)
	v_cndmask_b32_e64 v2, -1, 0x80000000, s5
	v_xor_b32_e32 v20, v2, v3
	s_delay_alu instid0(VALU_DEP_1) | instskip(NEXT) | instid1(VALU_DEP_1)
	v_cmp_ne_u32_e64 s5, 0x7fffffff, v20
	v_cndmask_b32_e64 v2, 0x80000000, v20, s5
	s_delay_alu instid0(VALU_DEP_1) | instskip(NEXT) | instid1(VALU_DEP_1)
	v_lshrrev_b32_e32 v2, s28, v2
	v_and_b32_e32 v2, s33, v2
	s_delay_alu instid0(VALU_DEP_1)
	v_and_b32_e32 v3, 1, v2
	v_lshlrev_b32_e32 v6, 30, v2
	v_lshlrev_b32_e32 v7, 29, v2
	;; [unrolled: 1-line block ×4, first 2 shown]
	v_add_co_u32 v3, s5, v3, -1
	s_delay_alu instid0(VALU_DEP_1)
	v_cndmask_b32_e64 v9, 0, 1, s5
	v_not_b32_e32 v25, v6
	v_cmp_gt_i32_e64 s6, 0, v6
	v_not_b32_e32 v6, v7
	v_lshlrev_b32_e32 v23, 26, v2
	v_cmp_ne_u32_e64 s5, 0, v9
	v_ashrrev_i32_e32 v25, 31, v25
	v_lshlrev_b32_e32 v24, 25, v2
	v_ashrrev_i32_e32 v6, 31, v6
	v_lshlrev_b32_e32 v9, 24, v2
	v_xor_b32_e32 v3, s5, v3
	v_cmp_gt_i32_e64 s5, 0, v7
	v_not_b32_e32 v7, v8
	v_xor_b32_e32 v25, s6, v25
	v_cmp_gt_i32_e64 s6, 0, v8
	v_and_b32_e32 v3, exec_lo, v3
	v_not_b32_e32 v8, v22
	v_ashrrev_i32_e32 v7, 31, v7
	v_xor_b32_e32 v6, s5, v6
	v_cmp_gt_i32_e64 s5, 0, v22
	v_and_b32_e32 v3, v3, v25
	v_not_b32_e32 v22, v23
	v_ashrrev_i32_e32 v8, 31, v8
	v_xor_b32_e32 v7, s6, v7
	v_cmp_gt_i32_e64 s6, 0, v23
	v_and_b32_e32 v3, v3, v6
	;; [unrolled: 5-line block ×3, first 2 shown]
	v_not_b32_e32 v7, v9
	v_ashrrev_i32_e32 v6, 31, v6
	v_xor_b32_e32 v22, s6, v22
	v_lshl_add_u32 v2, v2, 5, v2
	v_and_b32_e32 v3, v3, v8
	v_cmp_gt_i32_e64 s6, 0, v9
	v_ashrrev_i32_e32 v7, 31, v7
	v_xor_b32_e32 v6, s5, v6
	v_add_lshl_u32 v25, v2, v1, 2
	v_and_b32_e32 v3, v3, v22
	s_delay_alu instid0(VALU_DEP_4) | instskip(SKIP_2) | instid1(VALU_DEP_1)
	v_xor_b32_e32 v2, s6, v7
	ds_load_b32 v22, v25 offset:128
	v_and_b32_e32 v3, v3, v6
	; wave barrier
	v_and_b32_e32 v2, v3, v2
	s_delay_alu instid0(VALU_DEP_1) | instskip(SKIP_1) | instid1(VALU_DEP_2)
	v_mbcnt_lo_u32_b32 v23, v2, 0
	v_cmp_ne_u32_e64 s6, 0, v2
	v_cmp_eq_u32_e64 s5, 0, v23
	s_delay_alu instid0(VALU_DEP_1) | instskip(NEXT) | instid1(SALU_CYCLE_1)
	s_and_b32 s6, s6, s5
	s_and_saveexec_b32 s5, s6
	s_cbranch_execz .LBB139_15
; %bb.14:
	s_waitcnt lgkmcnt(0)
	v_bcnt_u32_b32 v2, v2, v22
	ds_store_b32 v25, v2 offset:128
.LBB139_15:
	s_or_b32 exec_lo, exec_lo, s5
	v_cmp_lt_i32_e64 s5, -1, v4
	; wave barrier
	v_add_nc_u32_e32 v29, 0x80, v14
	s_delay_alu instid0(VALU_DEP_2) | instskip(NEXT) | instid1(VALU_DEP_1)
	v_cndmask_b32_e64 v2, -1, 0x80000000, s5
	v_xor_b32_e32 v24, v2, v4
	s_delay_alu instid0(VALU_DEP_1) | instskip(NEXT) | instid1(VALU_DEP_1)
	v_cmp_ne_u32_e64 s5, 0x7fffffff, v24
	v_cndmask_b32_e64 v2, 0x80000000, v24, s5
	s_delay_alu instid0(VALU_DEP_1) | instskip(NEXT) | instid1(VALU_DEP_1)
	v_lshrrev_b32_e32 v2, s28, v2
	v_and_b32_e32 v2, s33, v2
	s_delay_alu instid0(VALU_DEP_1)
	v_and_b32_e32 v3, 1, v2
	v_lshlrev_b32_e32 v4, 30, v2
	v_lshlrev_b32_e32 v6, 29, v2
	;; [unrolled: 1-line block ×4, first 2 shown]
	v_add_co_u32 v3, s5, v3, -1
	s_delay_alu instid0(VALU_DEP_1)
	v_cndmask_b32_e64 v8, 0, 1, s5
	v_not_b32_e32 v28, v4
	v_cmp_gt_i32_e64 s6, 0, v4
	v_not_b32_e32 v4, v6
	v_lshlrev_b32_e32 v26, 26, v2
	v_cmp_ne_u32_e64 s5, 0, v8
	v_ashrrev_i32_e32 v28, 31, v28
	v_lshlrev_b32_e32 v27, 25, v2
	v_ashrrev_i32_e32 v4, 31, v4
	v_lshlrev_b32_e32 v8, 24, v2
	v_xor_b32_e32 v3, s5, v3
	v_cmp_gt_i32_e64 s5, 0, v6
	v_not_b32_e32 v6, v7
	v_xor_b32_e32 v28, s6, v28
	v_cmp_gt_i32_e64 s6, 0, v7
	v_and_b32_e32 v3, exec_lo, v3
	v_not_b32_e32 v7, v9
	v_ashrrev_i32_e32 v6, 31, v6
	v_xor_b32_e32 v4, s5, v4
	v_cmp_gt_i32_e64 s5, 0, v9
	v_and_b32_e32 v3, v3, v28
	v_not_b32_e32 v9, v26
	v_ashrrev_i32_e32 v7, 31, v7
	v_xor_b32_e32 v6, s6, v6
	v_cmp_gt_i32_e64 s6, 0, v26
	v_and_b32_e32 v3, v3, v4
	;; [unrolled: 5-line block ×3, first 2 shown]
	v_not_b32_e32 v6, v8
	v_ashrrev_i32_e32 v4, 31, v4
	v_xor_b32_e32 v9, s6, v9
	v_lshl_add_u32 v2, v2, 5, v2
	v_and_b32_e32 v3, v3, v7
	v_cmp_gt_i32_e64 s6, 0, v8
	v_ashrrev_i32_e32 v6, 31, v6
	v_xor_b32_e32 v4, s5, v4
	v_add_lshl_u32 v28, v2, v1, 2
	v_and_b32_e32 v3, v3, v9
	s_delay_alu instid0(VALU_DEP_4) | instskip(SKIP_2) | instid1(VALU_DEP_1)
	v_xor_b32_e32 v1, s6, v6
	ds_load_b32 v26, v28 offset:128
	v_and_b32_e32 v2, v3, v4
	; wave barrier
	v_and_b32_e32 v1, v2, v1
	s_delay_alu instid0(VALU_DEP_1) | instskip(SKIP_1) | instid1(VALU_DEP_2)
	v_mbcnt_lo_u32_b32 v27, v1, 0
	v_cmp_ne_u32_e64 s6, 0, v1
	v_cmp_eq_u32_e64 s5, 0, v27
	s_delay_alu instid0(VALU_DEP_1) | instskip(NEXT) | instid1(SALU_CYCLE_1)
	s_and_b32 s6, s6, s5
	s_and_saveexec_b32 s5, s6
	s_cbranch_execz .LBB139_17
; %bb.16:
	s_waitcnt lgkmcnt(0)
	v_bcnt_u32_b32 v1, v1, v26
	ds_store_b32 v28, v1 offset:128
.LBB139_17:
	s_or_b32 exec_lo, exec_lo, s5
	; wave barrier
	s_waitcnt lgkmcnt(0)
	s_barrier
	buffer_gl0_inv
	ds_load_2addr_b32 v[8:9], v14 offset0:32 offset1:33
	ds_load_2addr_b32 v[6:7], v29 offset0:2 offset1:3
	;; [unrolled: 1-line block ×4, first 2 shown]
	ds_load_b32 v30, v29 offset:32
	v_and_b32_e32 v33, 16, v12
	v_and_b32_e32 v34, 31, v5
	s_mov_b32 s11, exec_lo
	s_delay_alu instid0(VALU_DEP_2) | instskip(SKIP_3) | instid1(VALU_DEP_1)
	v_cmp_eq_u32_e64 s9, 0, v33
	s_waitcnt lgkmcnt(3)
	v_add3_u32 v31, v9, v8, v6
	s_waitcnt lgkmcnt(2)
	v_add3_u32 v31, v31, v7, v3
	s_waitcnt lgkmcnt(1)
	s_delay_alu instid0(VALU_DEP_1) | instskip(SKIP_1) | instid1(VALU_DEP_1)
	v_add3_u32 v31, v31, v4, v1
	s_waitcnt lgkmcnt(0)
	v_add3_u32 v30, v31, v2, v30
	v_and_b32_e32 v31, 15, v12
	s_delay_alu instid0(VALU_DEP_2) | instskip(NEXT) | instid1(VALU_DEP_2)
	v_mov_b32_dpp v32, v30 row_shr:1 row_mask:0xf bank_mask:0xf
	v_cmp_eq_u32_e64 s5, 0, v31
	v_cmp_lt_u32_e64 s6, 1, v31
	v_cmp_lt_u32_e64 s7, 3, v31
	v_cmp_lt_u32_e64 s8, 7, v31
	s_delay_alu instid0(VALU_DEP_4) | instskip(NEXT) | instid1(VALU_DEP_1)
	v_cndmask_b32_e64 v32, v32, 0, s5
	v_add_nc_u32_e32 v30, v32, v30
	s_delay_alu instid0(VALU_DEP_1) | instskip(NEXT) | instid1(VALU_DEP_1)
	v_mov_b32_dpp v32, v30 row_shr:2 row_mask:0xf bank_mask:0xf
	v_cndmask_b32_e64 v32, 0, v32, s6
	s_delay_alu instid0(VALU_DEP_1) | instskip(NEXT) | instid1(VALU_DEP_1)
	v_add_nc_u32_e32 v30, v30, v32
	v_mov_b32_dpp v32, v30 row_shr:4 row_mask:0xf bank_mask:0xf
	s_delay_alu instid0(VALU_DEP_1) | instskip(NEXT) | instid1(VALU_DEP_1)
	v_cndmask_b32_e64 v32, 0, v32, s7
	v_add_nc_u32_e32 v30, v30, v32
	s_delay_alu instid0(VALU_DEP_1) | instskip(NEXT) | instid1(VALU_DEP_1)
	v_mov_b32_dpp v32, v30 row_shr:8 row_mask:0xf bank_mask:0xf
	v_cndmask_b32_e64 v31, 0, v32, s8
	v_bfe_i32 v32, v12, 4, 1
	s_delay_alu instid0(VALU_DEP_2) | instskip(SKIP_4) | instid1(VALU_DEP_2)
	v_add_nc_u32_e32 v30, v30, v31
	ds_swizzle_b32 v31, v30 offset:swizzle(BROADCAST,32,15)
	s_waitcnt lgkmcnt(0)
	v_and_b32_e32 v32, v32, v31
	v_lshrrev_b32_e32 v31, 5, v5
	v_add_nc_u32_e32 v30, v30, v32
	v_cmpx_eq_u32_e32 31, v34
	s_cbranch_execz .LBB139_19
; %bb.18:
	s_delay_alu instid0(VALU_DEP_3)
	v_lshlrev_b32_e32 v32, 2, v31
	ds_store_b32 v32, v30
.LBB139_19:
	s_or_b32 exec_lo, exec_lo, s11
	v_cmp_lt_u32_e64 s10, 31, v5
	s_mov_b32 s35, exec_lo
	s_waitcnt lgkmcnt(0)
	s_barrier
	buffer_gl0_inv
	v_cmpx_gt_u32_e32 32, v5
	s_cbranch_execz .LBB139_21
; %bb.20:
	ds_load_b32 v32, v13
	s_waitcnt lgkmcnt(0)
	v_mov_b32_dpp v33, v32 row_shr:1 row_mask:0xf bank_mask:0xf
	s_delay_alu instid0(VALU_DEP_1) | instskip(NEXT) | instid1(VALU_DEP_1)
	v_cndmask_b32_e64 v33, v33, 0, s5
	v_add_nc_u32_e32 v32, v33, v32
	s_delay_alu instid0(VALU_DEP_1) | instskip(NEXT) | instid1(VALU_DEP_1)
	v_mov_b32_dpp v33, v32 row_shr:2 row_mask:0xf bank_mask:0xf
	v_cndmask_b32_e64 v33, 0, v33, s6
	s_delay_alu instid0(VALU_DEP_1) | instskip(NEXT) | instid1(VALU_DEP_1)
	v_add_nc_u32_e32 v32, v32, v33
	v_mov_b32_dpp v33, v32 row_shr:4 row_mask:0xf bank_mask:0xf
	s_delay_alu instid0(VALU_DEP_1) | instskip(NEXT) | instid1(VALU_DEP_1)
	v_cndmask_b32_e64 v33, 0, v33, s7
	v_add_nc_u32_e32 v32, v32, v33
	s_delay_alu instid0(VALU_DEP_1) | instskip(NEXT) | instid1(VALU_DEP_1)
	v_mov_b32_dpp v33, v32 row_shr:8 row_mask:0xf bank_mask:0xf
	v_cndmask_b32_e64 v33, 0, v33, s8
	s_delay_alu instid0(VALU_DEP_1) | instskip(SKIP_3) | instid1(VALU_DEP_1)
	v_add_nc_u32_e32 v32, v32, v33
	ds_swizzle_b32 v33, v32 offset:swizzle(BROADCAST,32,15)
	s_waitcnt lgkmcnt(0)
	v_cndmask_b32_e64 v33, v33, 0, s9
	v_add_nc_u32_e32 v32, v32, v33
	ds_store_b32 v13, v32
.LBB139_21:
	s_or_b32 exec_lo, exec_lo, s35
	v_mov_b32_e32 v32, 0
	s_waitcnt lgkmcnt(0)
	s_barrier
	buffer_gl0_inv
	s_and_saveexec_b32 s5, s10
	s_cbranch_execz .LBB139_23
; %bb.22:
	v_lshl_add_u32 v31, v31, 2, -4
	ds_load_b32 v32, v31
.LBB139_23:
	s_or_b32 exec_lo, exec_lo, s5
	v_add_nc_u32_e32 v31, -1, v12
	s_waitcnt lgkmcnt(0)
	v_add_nc_u32_e32 v30, v32, v30
	s_delay_alu instid0(VALU_DEP_2) | instskip(NEXT) | instid1(VALU_DEP_1)
	v_cmp_gt_i32_e64 s5, 0, v31
	v_cndmask_b32_e64 v31, v31, v12, s5
	v_cmp_eq_u32_e64 s5, 0, v12
	s_delay_alu instid0(VALU_DEP_2) | instskip(SKIP_4) | instid1(VALU_DEP_1)
	v_lshlrev_b32_e32 v31, 2, v31
	ds_bpermute_b32 v30, v31, v30
	s_waitcnt lgkmcnt(0)
	v_cndmask_b32_e64 v30, v30, v32, s5
	v_cmp_ne_u32_e64 s5, 0, v5
	v_cndmask_b32_e64 v30, 0, v30, s5
	v_cmp_gt_u32_e64 s5, 0x100, v5
	s_delay_alu instid0(VALU_DEP_2) | instskip(NEXT) | instid1(VALU_DEP_1)
	v_add_nc_u32_e32 v8, v30, v8
	v_add_nc_u32_e32 v9, v8, v9
	s_delay_alu instid0(VALU_DEP_1) | instskip(NEXT) | instid1(VALU_DEP_1)
	v_add_nc_u32_e32 v6, v9, v6
	v_add_nc_u32_e32 v7, v6, v7
	s_delay_alu instid0(VALU_DEP_1) | instskip(NEXT) | instid1(VALU_DEP_1)
	;; [unrolled: 3-line block ×3, first 2 shown]
	v_add_nc_u32_e32 v1, v4, v1
	v_add_nc_u32_e32 v2, v1, v2
	ds_store_2addr_b32 v14, v30, v8 offset0:32 offset1:33
	ds_store_2addr_b32 v29, v9, v6 offset0:2 offset1:3
	;; [unrolled: 1-line block ×4, first 2 shown]
	ds_store_b32 v29, v2 offset:32
	s_waitcnt lgkmcnt(0)
	s_barrier
	buffer_gl0_inv
	ds_load_b32 v1, v16 offset:128
	ds_load_b32 v2, v21 offset:128
	ds_load_b32 v3, v25 offset:128
	ds_load_b32 v4, v28 offset:128
                                        ; implicit-def: $vgpr14
                                        ; implicit-def: $vgpr16
	s_and_saveexec_b32 s7, s5
	s_cbranch_execz .LBB139_27
; %bb.24:
	v_mul_u32_u24_e32 v6, 33, v5
	s_mov_b32 s8, exec_lo
	s_delay_alu instid0(VALU_DEP_1)
	v_dual_mov_b32 v6, 0x1000 :: v_dual_lshlrev_b32 v7, 2, v6
	ds_load_b32 v14, v7 offset:128
	v_cmpx_ne_u32_e32 0xff, v5
	s_cbranch_execz .LBB139_26
; %bb.25:
	ds_load_b32 v6, v7 offset:260
.LBB139_26:
	s_or_b32 exec_lo, exec_lo, s8
	s_waitcnt lgkmcnt(0)
	v_sub_nc_u32_e32 v16, v6, v14
.LBB139_27:
	s_or_b32 exec_lo, exec_lo, s7
	s_waitcnt lgkmcnt(3)
	v_add_nc_u32_e32 v21, v1, v15
	s_waitcnt lgkmcnt(2)
	v_add3_u32 v19, v19, v18, v2
	s_waitcnt lgkmcnt(1)
	v_add3_u32 v18, v23, v22, v3
	;; [unrolled: 2-line block ×3, first 2 shown]
	v_lshlrev_b32_e32 v1, 2, v21
	v_lshlrev_b32_e32 v2, 2, v19
	;; [unrolled: 1-line block ×3, first 2 shown]
	s_delay_alu instid0(VALU_DEP_4)
	v_lshlrev_b32_e32 v4, 2, v15
	s_barrier
	buffer_gl0_inv
	ds_store_b32 v1, v11 offset:2048
	ds_store_b32 v2, v17 offset:2048
	;; [unrolled: 1-line block ×4, first 2 shown]
	s_waitcnt lgkmcnt(0)
	s_barrier
	buffer_gl0_inv
	s_and_saveexec_b32 s7, s5
	s_cbranch_execz .LBB139_37
; %bb.28:
	v_lshl_or_b32 v3, s15, 8, v5
	v_mov_b32_e32 v4, 0
	v_mov_b32_e32 v8, 0
	s_mov_b32 s8, 0
	s_mov_b32 s9, s15
	s_delay_alu instid0(VALU_DEP_2) | instskip(SKIP_1) | instid1(VALU_DEP_2)
	v_lshlrev_b64 v[1:2], 2, v[3:4]
	v_or_b32_e32 v3, 2.0, v16
	v_add_co_u32 v1, s6, s12, v1
	s_delay_alu instid0(VALU_DEP_1)
	v_add_co_ci_u32_e64 v2, s6, s13, v2, s6
                                        ; implicit-def: $sgpr6
	global_store_b32 v[1:2], v3, off
	s_branch .LBB139_30
	.p2align	6
.LBB139_29:                             ;   in Loop: Header=BB139_30 Depth=1
	s_or_b32 exec_lo, exec_lo, s10
	v_and_b32_e32 v6, 0x3fffffff, v9
	v_cmp_eq_u32_e64 s6, 0x80000000, v3
	s_delay_alu instid0(VALU_DEP_2) | instskip(NEXT) | instid1(VALU_DEP_2)
	v_add_nc_u32_e32 v8, v6, v8
	s_and_b32 s10, exec_lo, s6
	s_delay_alu instid0(SALU_CYCLE_1) | instskip(NEXT) | instid1(SALU_CYCLE_1)
	s_or_b32 s8, s10, s8
	s_and_not1_b32 exec_lo, exec_lo, s8
	s_cbranch_execz .LBB139_36
.LBB139_30:                             ; =>This Loop Header: Depth=1
                                        ;     Child Loop BB139_33 Depth 2
	s_or_b32 s6, s6, exec_lo
	s_cmp_eq_u32 s9, 0
	s_cbranch_scc1 .LBB139_35
; %bb.31:                               ;   in Loop: Header=BB139_30 Depth=1
	s_add_i32 s9, s9, -1
	s_mov_b32 s10, exec_lo
	v_lshl_or_b32 v3, s9, 8, v5
	s_delay_alu instid0(VALU_DEP_1) | instskip(NEXT) | instid1(VALU_DEP_1)
	v_lshlrev_b64 v[6:7], 2, v[3:4]
	v_add_co_u32 v6, s6, s12, v6
	s_delay_alu instid0(VALU_DEP_1) | instskip(SKIP_3) | instid1(VALU_DEP_1)
	v_add_co_ci_u32_e64 v7, s6, s13, v7, s6
	global_load_b32 v9, v[6:7], off glc
	s_waitcnt vmcnt(0)
	v_and_b32_e32 v3, -2.0, v9
	v_cmpx_eq_u32_e32 0, v3
	s_cbranch_execz .LBB139_29
; %bb.32:                               ;   in Loop: Header=BB139_30 Depth=1
	s_mov_b32 s11, 0
.LBB139_33:                             ;   Parent Loop BB139_30 Depth=1
                                        ; =>  This Inner Loop Header: Depth=2
	global_load_b32 v9, v[6:7], off glc
	s_waitcnt vmcnt(0)
	v_and_b32_e32 v3, -2.0, v9
	s_delay_alu instid0(VALU_DEP_1) | instskip(NEXT) | instid1(VALU_DEP_1)
	v_cmp_ne_u32_e64 s6, 0, v3
	s_or_b32 s11, s6, s11
	s_delay_alu instid0(SALU_CYCLE_1)
	s_and_not1_b32 exec_lo, exec_lo, s11
	s_cbranch_execnz .LBB139_33
; %bb.34:                               ;   in Loop: Header=BB139_30 Depth=1
	s_or_b32 exec_lo, exec_lo, s11
	s_branch .LBB139_29
.LBB139_35:                             ;   in Loop: Header=BB139_30 Depth=1
                                        ; implicit-def: $sgpr9
	s_and_b32 s10, exec_lo, s6
	s_delay_alu instid0(SALU_CYCLE_1) | instskip(NEXT) | instid1(SALU_CYCLE_1)
	s_or_b32 s8, s10, s8
	s_and_not1_b32 exec_lo, exec_lo, s8
	s_cbranch_execnz .LBB139_30
.LBB139_36:
	s_or_b32 exec_lo, exec_lo, s8
	v_add_nc_u32_e32 v3, v8, v16
	v_lshlrev_b32_e32 v4, 3, v5
	s_delay_alu instid0(VALU_DEP_2) | instskip(SKIP_3) | instid1(VALU_DEP_1)
	v_or_b32_e32 v3, 0x80000000, v3
	global_store_b32 v[1:2], v3, off
	global_load_b64 v[1:2], v4, s[24:25]
	v_sub_co_u32 v3, s6, v8, v14
	v_sub_co_ci_u32_e64 v6, null, 0, 0, s6
	s_waitcnt vmcnt(0)
	s_delay_alu instid0(VALU_DEP_2) | instskip(NEXT) | instid1(VALU_DEP_1)
	v_add_co_u32 v1, s6, v3, v1
	v_add_co_ci_u32_e64 v2, s6, v6, v2, s6
	ds_store_b64 v4, v[1:2]
.LBB139_37:
	s_or_b32 exec_lo, exec_lo, s7
	v_cmp_gt_u32_e64 s6, s34, v5
	s_waitcnt lgkmcnt(0)
	s_waitcnt_vscnt null, 0x0
	s_barrier
	buffer_gl0_inv
	s_and_saveexec_b32 s8, s6
	s_cbranch_execz .LBB139_39
; %bb.38:
	ds_load_b32 v3, v13 offset:2048
	s_waitcnt lgkmcnt(0)
	v_cmp_ne_u32_e64 s7, 0x7fffffff, v3
	s_delay_alu instid0(VALU_DEP_1) | instskip(SKIP_1) | instid1(VALU_DEP_2)
	v_cndmask_b32_e64 v1, 0x80000000, v3, s7
	v_cmp_lt_i32_e64 s7, -1, v3
	v_lshrrev_b32_e32 v1, s28, v1
	s_delay_alu instid0(VALU_DEP_2) | instskip(NEXT) | instid1(VALU_DEP_2)
	v_cndmask_b32_e64 v4, 0x80000000, -1, s7
	v_and_b32_e32 v1, s33, v1
	s_delay_alu instid0(VALU_DEP_2) | instskip(NEXT) | instid1(VALU_DEP_2)
	v_xor_b32_e32 v3, v4, v3
	v_lshlrev_b32_e32 v1, 3, v1
	ds_load_b64 v[1:2], v1
	s_waitcnt lgkmcnt(0)
	v_lshlrev_b64 v[1:2], 2, v[1:2]
	s_delay_alu instid0(VALU_DEP_1) | instskip(NEXT) | instid1(VALU_DEP_1)
	v_add_co_u32 v1, s7, s18, v1
	v_add_co_ci_u32_e64 v2, s7, s19, v2, s7
	s_delay_alu instid0(VALU_DEP_2) | instskip(NEXT) | instid1(VALU_DEP_1)
	v_add_co_u32 v1, s7, v1, v13
	v_add_co_ci_u32_e64 v2, s7, 0, v2, s7
	global_store_b32 v[1:2], v3, off
.LBB139_39:
	s_or_b32 exec_lo, exec_lo, s8
	v_or_b32_e32 v17, 0x400, v5
	s_delay_alu instid0(VALU_DEP_1) | instskip(NEXT) | instid1(VALU_DEP_1)
	v_cmp_gt_u32_e64 s7, s34, v17
	s_and_saveexec_b32 s9, s7
	s_cbranch_execz .LBB139_41
; %bb.40:
	ds_load_b32 v3, v13 offset:6144
	v_lshlrev_b32_e32 v4, 2, v17
	s_waitcnt lgkmcnt(0)
	v_cmp_ne_u32_e64 s8, 0x7fffffff, v3
	s_delay_alu instid0(VALU_DEP_1) | instskip(SKIP_1) | instid1(VALU_DEP_2)
	v_cndmask_b32_e64 v1, 0x80000000, v3, s8
	v_cmp_lt_i32_e64 s8, -1, v3
	v_lshrrev_b32_e32 v1, s28, v1
	s_delay_alu instid0(VALU_DEP_2) | instskip(NEXT) | instid1(VALU_DEP_2)
	v_cndmask_b32_e64 v6, 0x80000000, -1, s8
	v_and_b32_e32 v1, s33, v1
	s_delay_alu instid0(VALU_DEP_2) | instskip(NEXT) | instid1(VALU_DEP_2)
	v_xor_b32_e32 v3, v6, v3
	v_lshlrev_b32_e32 v1, 3, v1
	ds_load_b64 v[1:2], v1
	s_waitcnt lgkmcnt(0)
	v_lshlrev_b64 v[1:2], 2, v[1:2]
	s_delay_alu instid0(VALU_DEP_1) | instskip(NEXT) | instid1(VALU_DEP_1)
	v_add_co_u32 v1, s8, s18, v1
	v_add_co_ci_u32_e64 v2, s8, s19, v2, s8
	s_delay_alu instid0(VALU_DEP_2) | instskip(NEXT) | instid1(VALU_DEP_1)
	v_add_co_u32 v1, s8, v1, v4
	v_add_co_ci_u32_e64 v2, s8, 0, v2, s8
	global_store_b32 v[1:2], v3, off
.LBB139_41:
	s_or_b32 exec_lo, exec_lo, s9
	v_or_b32_e32 v20, 0x800, v5
	s_delay_alu instid0(VALU_DEP_1) | instskip(NEXT) | instid1(VALU_DEP_1)
	v_cmp_gt_u32_e64 s8, s34, v20
	s_and_saveexec_b32 s10, s8
	s_cbranch_execz .LBB139_43
; %bb.42:
	ds_load_b32 v3, v13 offset:10240
	v_lshlrev_b32_e32 v4, 2, v20
	s_waitcnt lgkmcnt(0)
	v_cmp_ne_u32_e64 s9, 0x7fffffff, v3
	s_delay_alu instid0(VALU_DEP_1) | instskip(SKIP_1) | instid1(VALU_DEP_2)
	v_cndmask_b32_e64 v1, 0x80000000, v3, s9
	v_cmp_lt_i32_e64 s9, -1, v3
	v_lshrrev_b32_e32 v1, s28, v1
	s_delay_alu instid0(VALU_DEP_2) | instskip(NEXT) | instid1(VALU_DEP_2)
	v_cndmask_b32_e64 v6, 0x80000000, -1, s9
	v_and_b32_e32 v1, s33, v1
	s_delay_alu instid0(VALU_DEP_2) | instskip(NEXT) | instid1(VALU_DEP_2)
	v_xor_b32_e32 v3, v6, v3
	v_lshlrev_b32_e32 v1, 3, v1
	ds_load_b64 v[1:2], v1
	s_waitcnt lgkmcnt(0)
	v_lshlrev_b64 v[1:2], 2, v[1:2]
	s_delay_alu instid0(VALU_DEP_1) | instskip(NEXT) | instid1(VALU_DEP_1)
	v_add_co_u32 v1, s9, s18, v1
	v_add_co_ci_u32_e64 v2, s9, s19, v2, s9
	s_delay_alu instid0(VALU_DEP_2) | instskip(NEXT) | instid1(VALU_DEP_1)
	v_add_co_u32 v1, s9, v1, v4
	v_add_co_ci_u32_e64 v2, s9, 0, v2, s9
	global_store_b32 v[1:2], v3, off
.LBB139_43:
	s_or_b32 exec_lo, exec_lo, s10
	v_or_b32_e32 v22, 0xc00, v5
	s_delay_alu instid0(VALU_DEP_1) | instskip(NEXT) | instid1(VALU_DEP_1)
	v_cmp_gt_u32_e64 s9, s34, v22
	s_and_saveexec_b32 s11, s9
	s_cbranch_execz .LBB139_45
; %bb.44:
	ds_load_b32 v3, v13 offset:14336
	v_lshlrev_b32_e32 v4, 2, v22
	s_waitcnt lgkmcnt(0)
	v_cmp_ne_u32_e64 s10, 0x7fffffff, v3
	s_delay_alu instid0(VALU_DEP_1) | instskip(SKIP_1) | instid1(VALU_DEP_2)
	v_cndmask_b32_e64 v1, 0x80000000, v3, s10
	v_cmp_lt_i32_e64 s10, -1, v3
	v_lshrrev_b32_e32 v1, s28, v1
	s_delay_alu instid0(VALU_DEP_2) | instskip(NEXT) | instid1(VALU_DEP_2)
	v_cndmask_b32_e64 v6, 0x80000000, -1, s10
	v_and_b32_e32 v1, s33, v1
	s_delay_alu instid0(VALU_DEP_2) | instskip(NEXT) | instid1(VALU_DEP_2)
	v_xor_b32_e32 v3, v6, v3
	v_lshlrev_b32_e32 v1, 3, v1
	ds_load_b64 v[1:2], v1
	s_waitcnt lgkmcnt(0)
	v_lshlrev_b64 v[1:2], 2, v[1:2]
	s_delay_alu instid0(VALU_DEP_1) | instskip(NEXT) | instid1(VALU_DEP_1)
	v_add_co_u32 v1, s10, s18, v1
	v_add_co_ci_u32_e64 v2, s10, s19, v2, s10
	s_delay_alu instid0(VALU_DEP_2) | instskip(NEXT) | instid1(VALU_DEP_1)
	v_add_co_u32 v1, s10, v1, v4
	v_add_co_ci_u32_e64 v2, s10, 0, v2, s10
	global_store_b32 v[1:2], v3, off
.LBB139_45:
	s_or_b32 exec_lo, exec_lo, s11
	v_lshlrev_b32_e32 v1, 3, v12
	s_lshl_b64 s[10:11], s[30:31], 3
	v_lshlrev_b32_e32 v2, 3, v10
	s_add_u32 s10, s20, s10
	s_addc_u32 s11, s21, s11
	v_add_co_u32 v1, s10, s10, v1
	s_delay_alu instid0(VALU_DEP_1) | instskip(NEXT) | instid1(VALU_DEP_2)
	v_add_co_ci_u32_e64 v3, null, s11, 0, s10
	v_add_co_u32 v10, s10, v1, v2
	s_delay_alu instid0(VALU_DEP_1) | instskip(SKIP_1) | instid1(SALU_CYCLE_1)
	v_add_co_ci_u32_e64 v11, s10, 0, v3, s10
                                        ; implicit-def: $vgpr1_vgpr2
	s_and_saveexec_b32 s10, vcc_lo
	s_xor_b32 s10, exec_lo, s10
	s_cbranch_execnz .LBB139_103
; %bb.46:
	s_or_b32 exec_lo, exec_lo, s10
                                        ; implicit-def: $vgpr3_vgpr4
	s_and_saveexec_b32 s10, s2
	s_cbranch_execnz .LBB139_104
.LBB139_47:
	s_or_b32 exec_lo, exec_lo, s10
                                        ; implicit-def: $vgpr6_vgpr7
	s_and_saveexec_b32 s2, s3
	s_cbranch_execnz .LBB139_105
.LBB139_48:
	s_or_b32 exec_lo, exec_lo, s2
                                        ; implicit-def: $vgpr8_vgpr9
	s_and_saveexec_b32 s2, s4
	s_cbranch_execz .LBB139_50
.LBB139_49:
	global_load_b64 v[8:9], v[10:11], off offset:768
.LBB139_50:
	s_or_b32 exec_lo, exec_lo, s2
	v_dual_mov_b32 v11, 0 :: v_dual_mov_b32 v24, 0
	s_and_saveexec_b32 s2, s6
	s_cbranch_execz .LBB139_52
; %bb.51:
	ds_load_b32 v10, v13 offset:2048
	s_waitcnt lgkmcnt(0)
	v_cmp_ne_u32_e32 vcc_lo, 0x7fffffff, v10
	v_cndmask_b32_e32 v10, 0x80000000, v10, vcc_lo
	s_delay_alu instid0(VALU_DEP_1) | instskip(NEXT) | instid1(VALU_DEP_1)
	v_lshrrev_b32_e32 v10, s28, v10
	v_and_b32_e32 v24, s33, v10
.LBB139_52:
	s_or_b32 exec_lo, exec_lo, s2
	s_and_saveexec_b32 s2, s7
	s_cbranch_execz .LBB139_54
; %bb.53:
	ds_load_b32 v10, v13 offset:6144
	s_waitcnt lgkmcnt(0)
	v_cmp_ne_u32_e32 vcc_lo, 0x7fffffff, v10
	v_cndmask_b32_e32 v10, 0x80000000, v10, vcc_lo
	s_delay_alu instid0(VALU_DEP_1) | instskip(NEXT) | instid1(VALU_DEP_1)
	v_lshrrev_b32_e32 v10, s28, v10
	v_and_b32_e32 v11, s33, v10
.LBB139_54:
	s_or_b32 exec_lo, exec_lo, s2
	v_dual_mov_b32 v10, 0 :: v_dual_mov_b32 v23, 0
	s_and_saveexec_b32 s2, s8
	s_cbranch_execz .LBB139_56
; %bb.55:
	ds_load_b32 v23, v13 offset:10240
	s_waitcnt lgkmcnt(0)
	v_cmp_ne_u32_e32 vcc_lo, 0x7fffffff, v23
	v_cndmask_b32_e32 v23, 0x80000000, v23, vcc_lo
	s_delay_alu instid0(VALU_DEP_1) | instskip(NEXT) | instid1(VALU_DEP_1)
	v_lshrrev_b32_e32 v23, s28, v23
	v_and_b32_e32 v23, s33, v23
.LBB139_56:
	s_or_b32 exec_lo, exec_lo, s2
	s_and_saveexec_b32 s2, s9
	s_cbranch_execz .LBB139_58
; %bb.57:
	ds_load_b32 v10, v13 offset:14336
	s_waitcnt lgkmcnt(0)
	v_cmp_ne_u32_e32 vcc_lo, 0x7fffffff, v10
	v_cndmask_b32_e32 v10, 0x80000000, v10, vcc_lo
	s_delay_alu instid0(VALU_DEP_1) | instskip(NEXT) | instid1(VALU_DEP_1)
	v_lshrrev_b32_e32 v10, s28, v10
	v_and_b32_e32 v10, s33, v10
.LBB139_58:
	s_or_b32 exec_lo, exec_lo, s2
	v_lshlrev_b32_e32 v13, 3, v21
	v_lshlrev_b32_e32 v19, 3, v19
	;; [unrolled: 1-line block ×3, first 2 shown]
	s_waitcnt vmcnt(0)
	s_waitcnt_vscnt null, 0x0
	s_barrier
	buffer_gl0_inv
	v_lshlrev_b32_e32 v15, 3, v15
	ds_store_b64 v13, v[1:2] offset:2048
	ds_store_b64 v19, v[3:4] offset:2048
	;; [unrolled: 1-line block ×3, first 2 shown]
	v_lshlrev_b32_e32 v1, 3, v5
	ds_store_b64 v15, v[8:9] offset:2048
	s_waitcnt lgkmcnt(0)
	s_barrier
	buffer_gl0_inv
	s_and_saveexec_b32 s2, s6
	s_cbranch_execnz .LBB139_106
; %bb.59:
	s_or_b32 exec_lo, exec_lo, s2
	s_and_saveexec_b32 s2, s7
	s_cbranch_execnz .LBB139_107
.LBB139_60:
	s_or_b32 exec_lo, exec_lo, s2
	s_and_saveexec_b32 s2, s8
	s_cbranch_execnz .LBB139_108
.LBB139_61:
	s_or_b32 exec_lo, exec_lo, s2
	s_and_saveexec_b32 s2, s9
	s_cbranch_execz .LBB139_63
.LBB139_62:
	v_lshlrev_b32_e32 v2, 3, v10
	ds_load_b64 v[2:3], v2
	ds_load_b64 v[6:7], v1 offset:26624
	s_waitcnt lgkmcnt(1)
	v_lshlrev_b64 v[1:2], 3, v[2:3]
	v_lshlrev_b32_e32 v3, 3, v22
	s_delay_alu instid0(VALU_DEP_2) | instskip(NEXT) | instid1(VALU_DEP_3)
	v_add_co_u32 v1, vcc_lo, s22, v1
	v_add_co_ci_u32_e32 v2, vcc_lo, s23, v2, vcc_lo
	s_delay_alu instid0(VALU_DEP_2) | instskip(NEXT) | instid1(VALU_DEP_2)
	v_add_co_u32 v1, vcc_lo, v1, v3
	v_add_co_ci_u32_e32 v2, vcc_lo, 0, v2, vcc_lo
	s_waitcnt lgkmcnt(0)
	global_store_b64 v[1:2], v[6:7], off
.LBB139_63:
	s_or_b32 exec_lo, exec_lo, s2
	s_add_i32 s14, s14, -1
	s_mov_b32 s2, 0
	s_cmp_eq_u32 s15, s14
	s_mov_b32 s8, 0
	s_cselect_b32 s3, -1, 0
                                        ; implicit-def: $vgpr2_vgpr3
	s_delay_alu instid0(SALU_CYCLE_1) | instskip(NEXT) | instid1(SALU_CYCLE_1)
	s_and_b32 s3, s5, s3
	s_and_saveexec_b32 s4, s3
	s_delay_alu instid0(SALU_CYCLE_1)
	s_xor_b32 s3, exec_lo, s4
; %bb.64:
	v_add_co_u32 v2, s4, v14, v16
	v_mov_b32_e32 v6, 0
	v_add_co_ci_u32_e64 v3, null, 0, 0, s4
	s_mov_b32 s8, exec_lo
; %bb.65:
	s_or_b32 exec_lo, exec_lo, s3
	s_delay_alu instid0(SALU_CYCLE_1)
	s_and_b32 vcc_lo, exec_lo, s2
	s_cbranch_vccnz .LBB139_67
	s_branch .LBB139_100
.LBB139_66:
	s_mov_b32 s8, 0
                                        ; implicit-def: $vgpr2_vgpr3
	s_cbranch_execz .LBB139_100
.LBB139_67:
	v_dual_mov_b32 v9, 0 :: v_dual_lshlrev_b32 v4, 2, v5
	s_lshl_b32 s6, s15, 12
	s_mov_b32 s7, 0
	v_lshlrev_b32_e32 v1, 2, v12
	s_delay_alu instid0(VALU_DEP_2) | instskip(SKIP_1) | instid1(SALU_CYCLE_1)
	v_and_b32_e32 v10, 0xf80, v4
	s_lshl_b64 s[2:3], s[6:7], 2
	s_add_u32 s2, s16, s2
	s_addc_u32 s3, s17, s3
	s_delay_alu instid0(VALU_DEP_1) | instskip(SKIP_1) | instid1(VALU_DEP_1)
	v_lshlrev_b32_e32 v2, 2, v10
	v_add_co_u32 v1, s2, s2, v1
	v_add_co_ci_u32_e64 v3, null, s3, 0, s2
	s_delay_alu instid0(VALU_DEP_2) | instskip(NEXT) | instid1(VALU_DEP_2)
	v_add_co_u32 v6, vcc_lo, v1, v2
	v_add_co_ci_u32_e32 v7, vcc_lo, 0, v3, vcc_lo
	global_load_b32 v8, v[6:7], off
	s_clause 0x1
	s_load_b32 s2, s[0:1], 0x5c
	s_load_b32 s9, s[0:1], 0x50
	s_add_u32 s0, s0, 0x50
	s_addc_u32 s1, s1, 0
	s_waitcnt lgkmcnt(0)
	s_lshr_b32 s2, s2, 16
	s_cmp_lt_u32 s15, s9
	s_cselect_b32 s3, 12, 18
	s_delay_alu instid0(SALU_CYCLE_1)
	s_add_u32 s0, s0, s3
	s_addc_u32 s1, s1, 0
	global_load_u16 v13, v9, s[0:1]
	s_clause 0x2
	global_load_b32 v3, v[6:7], off offset:128
	global_load_b32 v2, v[6:7], off offset:256
	;; [unrolled: 1-line block ×3, first 2 shown]
	s_lshl_b32 s0, -1, s29
	s_delay_alu instid0(SALU_CYCLE_1) | instskip(SKIP_3) | instid1(VALU_DEP_1)
	s_not_b32 s10, s0
	s_waitcnt vmcnt(4)
	v_cmp_lt_i32_e32 vcc_lo, -1, v8
	v_cndmask_b32_e64 v6, -1, 0x80000000, vcc_lo
	v_xor_b32_e32 v11, v6, v8
	s_delay_alu instid0(VALU_DEP_1) | instskip(SKIP_1) | instid1(VALU_DEP_1)
	v_cmp_ne_u32_e32 vcc_lo, 0x7fffffff, v11
	v_cndmask_b32_e32 v6, 0x80000000, v11, vcc_lo
	v_lshrrev_b32_e32 v6, s28, v6
	s_delay_alu instid0(VALU_DEP_1) | instskip(SKIP_2) | instid1(VALU_DEP_3)
	v_and_b32_e32 v14, s10, v6
	v_bfe_u32 v6, v0, 10, 10
	v_bfe_u32 v0, v0, 20, 10
	v_and_b32_e32 v7, 1, v14
	v_lshlrev_b32_e32 v8, 30, v14
	v_lshlrev_b32_e32 v15, 29, v14
	;; [unrolled: 1-line block ×4, first 2 shown]
	v_add_co_u32 v7, s0, v7, -1
	s_delay_alu instid0(VALU_DEP_1)
	v_cndmask_b32_e64 v17, 0, 1, s0
	v_not_b32_e32 v21, v8
	v_cmp_gt_i32_e64 s0, 0, v8
	v_not_b32_e32 v8, v15
	v_lshlrev_b32_e32 v19, 26, v14
	v_cmp_ne_u32_e32 vcc_lo, 0, v17
	v_ashrrev_i32_e32 v21, 31, v21
	v_lshlrev_b32_e32 v20, 25, v14
	v_ashrrev_i32_e32 v8, 31, v8
	v_lshlrev_b32_e32 v17, 24, v14
	v_xor_b32_e32 v7, vcc_lo, v7
	v_cmp_gt_i32_e32 vcc_lo, 0, v15
	v_not_b32_e32 v15, v16
	v_xor_b32_e32 v21, s0, v21
	v_cmp_gt_i32_e64 s0, 0, v16
	v_and_b32_e32 v7, exec_lo, v7
	v_not_b32_e32 v16, v18
	v_ashrrev_i32_e32 v15, 31, v15
	v_xor_b32_e32 v8, vcc_lo, v8
	v_cmp_gt_i32_e32 vcc_lo, 0, v18
	v_and_b32_e32 v7, v7, v21
	v_not_b32_e32 v18, v19
	v_ashrrev_i32_e32 v16, 31, v16
	v_xor_b32_e32 v15, s0, v15
	v_cmp_gt_i32_e64 s0, 0, v19
	v_and_b32_e32 v7, v7, v8
	v_not_b32_e32 v8, v20
	v_ashrrev_i32_e32 v18, 31, v18
	v_xor_b32_e32 v16, vcc_lo, v16
	v_cmp_gt_i32_e32 vcc_lo, 0, v20
	v_and_b32_e32 v7, v7, v15
	v_not_b32_e32 v15, v17
	v_ashrrev_i32_e32 v8, 31, v8
	v_xor_b32_e32 v18, s0, v18
	v_cmp_gt_i32_e64 s0, 0, v17
	v_and_b32_e32 v7, v7, v16
	v_ashrrev_i32_e32 v15, 31, v15
	v_xor_b32_e32 v8, vcc_lo, v8
	v_mad_u32_u24 v0, v0, s2, v6
	v_mul_u32_u24_e32 v16, 9, v5
	v_and_b32_e32 v7, v7, v18
	v_xor_b32_e32 v6, s0, v15
	s_delay_alu instid0(VALU_DEP_3) | instskip(NEXT) | instid1(VALU_DEP_3)
	v_lshlrev_b32_e32 v15, 2, v16
	v_and_b32_e32 v17, v7, v8
	s_waitcnt vmcnt(3)
	s_delay_alu instid0(VALU_DEP_3)
	v_mad_u64_u32 v[7:8], null, v0, v13, v[5:6]
	ds_store_2addr_b32 v15, v9, v9 offset0:32 offset1:33
	ds_store_2addr_b32 v15, v9, v9 offset0:34 offset1:35
	;; [unrolled: 1-line block ×4, first 2 shown]
	v_and_b32_e32 v6, v17, v6
	ds_store_b32 v15, v9 offset:160
	s_waitcnt vmcnt(0) lgkmcnt(0)
	s_waitcnt_vscnt null, 0x0
	s_barrier
	v_lshrrev_b32_e32 v0, 5, v7
	v_mbcnt_lo_u32_b32 v13, v6, 0
	v_lshl_add_u32 v7, v14, 5, v14
	v_cmp_ne_u32_e64 s0, 0, v6
	buffer_gl0_inv
	v_cmp_eq_u32_e32 vcc_lo, 0, v13
	v_add_lshl_u32 v16, v0, v7, 2
	; wave barrier
	s_and_b32 s1, s0, vcc_lo
	s_delay_alu instid0(SALU_CYCLE_1)
	s_and_saveexec_b32 s0, s1
	s_cbranch_execz .LBB139_69
; %bb.68:
	v_bcnt_u32_b32 v6, v6, 0
	ds_store_b32 v16, v6 offset:128
.LBB139_69:
	s_or_b32 exec_lo, exec_lo, s0
	v_cmp_lt_i32_e32 vcc_lo, -1, v3
	; wave barrier
	v_cndmask_b32_e64 v6, -1, 0x80000000, vcc_lo
	s_delay_alu instid0(VALU_DEP_1) | instskip(NEXT) | instid1(VALU_DEP_1)
	v_xor_b32_e32 v14, v6, v3
	v_cmp_ne_u32_e32 vcc_lo, 0x7fffffff, v14
	v_cndmask_b32_e32 v3, 0x80000000, v14, vcc_lo
	s_delay_alu instid0(VALU_DEP_1) | instskip(NEXT) | instid1(VALU_DEP_1)
	v_lshrrev_b32_e32 v3, s28, v3
	v_and_b32_e32 v3, s10, v3
	s_delay_alu instid0(VALU_DEP_1)
	v_and_b32_e32 v6, 1, v3
	v_lshlrev_b32_e32 v7, 30, v3
	v_lshlrev_b32_e32 v8, 29, v3
	;; [unrolled: 1-line block ×4, first 2 shown]
	v_add_co_u32 v6, s0, v6, -1
	s_delay_alu instid0(VALU_DEP_1)
	v_cndmask_b32_e64 v17, 0, 1, s0
	v_not_b32_e32 v21, v7
	v_cmp_gt_i32_e64 s0, 0, v7
	v_not_b32_e32 v7, v8
	v_lshlrev_b32_e32 v19, 26, v3
	v_cmp_ne_u32_e32 vcc_lo, 0, v17
	v_ashrrev_i32_e32 v21, 31, v21
	v_lshlrev_b32_e32 v20, 25, v3
	v_ashrrev_i32_e32 v7, 31, v7
	v_lshlrev_b32_e32 v17, 24, v3
	v_xor_b32_e32 v6, vcc_lo, v6
	v_cmp_gt_i32_e32 vcc_lo, 0, v8
	v_not_b32_e32 v8, v9
	v_xor_b32_e32 v21, s0, v21
	v_cmp_gt_i32_e64 s0, 0, v9
	v_and_b32_e32 v6, exec_lo, v6
	v_not_b32_e32 v9, v18
	v_ashrrev_i32_e32 v8, 31, v8
	v_xor_b32_e32 v7, vcc_lo, v7
	v_cmp_gt_i32_e32 vcc_lo, 0, v18
	v_and_b32_e32 v6, v6, v21
	v_not_b32_e32 v18, v19
	v_ashrrev_i32_e32 v9, 31, v9
	v_xor_b32_e32 v8, s0, v8
	v_cmp_gt_i32_e64 s0, 0, v19
	v_and_b32_e32 v6, v6, v7
	v_not_b32_e32 v7, v20
	v_ashrrev_i32_e32 v18, 31, v18
	v_xor_b32_e32 v9, vcc_lo, v9
	v_cmp_gt_i32_e32 vcc_lo, 0, v20
	v_and_b32_e32 v6, v6, v8
	v_not_b32_e32 v8, v17
	v_ashrrev_i32_e32 v7, 31, v7
	v_xor_b32_e32 v18, s0, v18
	v_lshl_add_u32 v3, v3, 5, v3
	v_and_b32_e32 v6, v6, v9
	v_cmp_gt_i32_e64 s0, 0, v17
	v_ashrrev_i32_e32 v8, 31, v8
	v_xor_b32_e32 v7, vcc_lo, v7
	v_add_lshl_u32 v20, v0, v3, 2
	v_and_b32_e32 v6, v6, v18
	s_delay_alu instid0(VALU_DEP_4) | instskip(SKIP_2) | instid1(VALU_DEP_1)
	v_xor_b32_e32 v3, s0, v8
	ds_load_b32 v17, v20 offset:128
	v_and_b32_e32 v6, v6, v7
	; wave barrier
	v_and_b32_e32 v3, v6, v3
	s_delay_alu instid0(VALU_DEP_1) | instskip(SKIP_1) | instid1(VALU_DEP_2)
	v_mbcnt_lo_u32_b32 v18, v3, 0
	v_cmp_ne_u32_e64 s0, 0, v3
	v_cmp_eq_u32_e32 vcc_lo, 0, v18
	s_delay_alu instid0(VALU_DEP_2) | instskip(NEXT) | instid1(SALU_CYCLE_1)
	s_and_b32 s1, s0, vcc_lo
	s_and_saveexec_b32 s0, s1
	s_cbranch_execz .LBB139_71
; %bb.70:
	s_waitcnt lgkmcnt(0)
	v_bcnt_u32_b32 v3, v3, v17
	ds_store_b32 v20, v3 offset:128
.LBB139_71:
	s_or_b32 exec_lo, exec_lo, s0
	v_cmp_lt_i32_e32 vcc_lo, -1, v2
	; wave barrier
	v_cndmask_b32_e64 v3, -1, 0x80000000, vcc_lo
	s_delay_alu instid0(VALU_DEP_1) | instskip(NEXT) | instid1(VALU_DEP_1)
	v_xor_b32_e32 v19, v3, v2
	v_cmp_ne_u32_e32 vcc_lo, 0x7fffffff, v19
	v_cndmask_b32_e32 v2, 0x80000000, v19, vcc_lo
	s_delay_alu instid0(VALU_DEP_1) | instskip(NEXT) | instid1(VALU_DEP_1)
	v_lshrrev_b32_e32 v2, s28, v2
	v_and_b32_e32 v2, s10, v2
	s_delay_alu instid0(VALU_DEP_1)
	v_and_b32_e32 v3, 1, v2
	v_lshlrev_b32_e32 v6, 30, v2
	v_lshlrev_b32_e32 v7, 29, v2
	v_lshlrev_b32_e32 v8, 28, v2
	v_lshlrev_b32_e32 v21, 27, v2
	v_add_co_u32 v3, s0, v3, -1
	s_delay_alu instid0(VALU_DEP_1)
	v_cndmask_b32_e64 v9, 0, 1, s0
	v_not_b32_e32 v24, v6
	v_cmp_gt_i32_e64 s0, 0, v6
	v_not_b32_e32 v6, v7
	v_lshlrev_b32_e32 v22, 26, v2
	v_cmp_ne_u32_e32 vcc_lo, 0, v9
	v_ashrrev_i32_e32 v24, 31, v24
	v_lshlrev_b32_e32 v23, 25, v2
	v_ashrrev_i32_e32 v6, 31, v6
	v_lshlrev_b32_e32 v9, 24, v2
	v_xor_b32_e32 v3, vcc_lo, v3
	v_cmp_gt_i32_e32 vcc_lo, 0, v7
	v_not_b32_e32 v7, v8
	v_xor_b32_e32 v24, s0, v24
	v_cmp_gt_i32_e64 s0, 0, v8
	v_and_b32_e32 v3, exec_lo, v3
	v_not_b32_e32 v8, v21
	v_ashrrev_i32_e32 v7, 31, v7
	v_xor_b32_e32 v6, vcc_lo, v6
	v_cmp_gt_i32_e32 vcc_lo, 0, v21
	v_and_b32_e32 v3, v3, v24
	v_not_b32_e32 v21, v22
	v_ashrrev_i32_e32 v8, 31, v8
	v_xor_b32_e32 v7, s0, v7
	v_cmp_gt_i32_e64 s0, 0, v22
	v_and_b32_e32 v3, v3, v6
	v_not_b32_e32 v6, v23
	v_ashrrev_i32_e32 v21, 31, v21
	v_xor_b32_e32 v8, vcc_lo, v8
	v_cmp_gt_i32_e32 vcc_lo, 0, v23
	v_and_b32_e32 v3, v3, v7
	v_not_b32_e32 v7, v9
	v_ashrrev_i32_e32 v6, 31, v6
	v_xor_b32_e32 v21, s0, v21
	v_lshl_add_u32 v2, v2, 5, v2
	v_and_b32_e32 v3, v3, v8
	v_cmp_gt_i32_e64 s0, 0, v9
	v_ashrrev_i32_e32 v7, 31, v7
	v_xor_b32_e32 v6, vcc_lo, v6
	v_add_lshl_u32 v24, v0, v2, 2
	v_and_b32_e32 v3, v3, v21
	s_delay_alu instid0(VALU_DEP_4) | instskip(SKIP_2) | instid1(VALU_DEP_1)
	v_xor_b32_e32 v2, s0, v7
	ds_load_b32 v21, v24 offset:128
	v_and_b32_e32 v3, v3, v6
	; wave barrier
	v_and_b32_e32 v2, v3, v2
	s_delay_alu instid0(VALU_DEP_1) | instskip(SKIP_1) | instid1(VALU_DEP_2)
	v_mbcnt_lo_u32_b32 v22, v2, 0
	v_cmp_ne_u32_e64 s0, 0, v2
	v_cmp_eq_u32_e32 vcc_lo, 0, v22
	s_delay_alu instid0(VALU_DEP_2) | instskip(NEXT) | instid1(SALU_CYCLE_1)
	s_and_b32 s1, s0, vcc_lo
	s_and_saveexec_b32 s0, s1
	s_cbranch_execz .LBB139_73
; %bb.72:
	s_waitcnt lgkmcnt(0)
	v_bcnt_u32_b32 v2, v2, v21
	ds_store_b32 v24, v2 offset:128
.LBB139_73:
	s_or_b32 exec_lo, exec_lo, s0
	v_cmp_lt_i32_e32 vcc_lo, -1, v1
	; wave barrier
	v_add_nc_u32_e32 v28, 0x80, v15
	v_cndmask_b32_e64 v2, -1, 0x80000000, vcc_lo
	s_delay_alu instid0(VALU_DEP_1) | instskip(NEXT) | instid1(VALU_DEP_1)
	v_xor_b32_e32 v23, v2, v1
	v_cmp_ne_u32_e32 vcc_lo, 0x7fffffff, v23
	v_cndmask_b32_e32 v1, 0x80000000, v23, vcc_lo
	s_delay_alu instid0(VALU_DEP_1) | instskip(NEXT) | instid1(VALU_DEP_1)
	v_lshrrev_b32_e32 v1, s28, v1
	v_and_b32_e32 v1, s10, v1
	s_delay_alu instid0(VALU_DEP_1)
	v_and_b32_e32 v2, 1, v1
	v_lshlrev_b32_e32 v3, 30, v1
	v_lshlrev_b32_e32 v6, 29, v1
	;; [unrolled: 1-line block ×4, first 2 shown]
	v_add_co_u32 v2, s0, v2, -1
	s_delay_alu instid0(VALU_DEP_1)
	v_cndmask_b32_e64 v8, 0, 1, s0
	v_not_b32_e32 v27, v3
	v_cmp_gt_i32_e64 s0, 0, v3
	v_not_b32_e32 v3, v6
	v_lshlrev_b32_e32 v25, 26, v1
	v_cmp_ne_u32_e32 vcc_lo, 0, v8
	v_ashrrev_i32_e32 v27, 31, v27
	v_lshlrev_b32_e32 v26, 25, v1
	v_ashrrev_i32_e32 v3, 31, v3
	v_lshlrev_b32_e32 v8, 24, v1
	v_xor_b32_e32 v2, vcc_lo, v2
	v_cmp_gt_i32_e32 vcc_lo, 0, v6
	v_not_b32_e32 v6, v7
	v_xor_b32_e32 v27, s0, v27
	v_cmp_gt_i32_e64 s0, 0, v7
	v_and_b32_e32 v2, exec_lo, v2
	v_not_b32_e32 v7, v9
	v_ashrrev_i32_e32 v6, 31, v6
	v_xor_b32_e32 v3, vcc_lo, v3
	v_cmp_gt_i32_e32 vcc_lo, 0, v9
	v_and_b32_e32 v2, v2, v27
	v_not_b32_e32 v9, v25
	v_ashrrev_i32_e32 v7, 31, v7
	v_xor_b32_e32 v6, s0, v6
	v_cmp_gt_i32_e64 s0, 0, v25
	v_and_b32_e32 v2, v2, v3
	v_not_b32_e32 v3, v26
	v_ashrrev_i32_e32 v9, 31, v9
	v_xor_b32_e32 v7, vcc_lo, v7
	v_cmp_gt_i32_e32 vcc_lo, 0, v26
	v_and_b32_e32 v2, v2, v6
	v_not_b32_e32 v6, v8
	v_ashrrev_i32_e32 v3, 31, v3
	v_xor_b32_e32 v9, s0, v9
	v_lshl_add_u32 v1, v1, 5, v1
	v_and_b32_e32 v2, v2, v7
	v_cmp_gt_i32_e64 s0, 0, v8
	v_ashrrev_i32_e32 v6, 31, v6
	v_xor_b32_e32 v3, vcc_lo, v3
	v_add_lshl_u32 v27, v1, v0, 2
	v_and_b32_e32 v2, v2, v9
	s_delay_alu instid0(VALU_DEP_4) | instskip(SKIP_2) | instid1(VALU_DEP_1)
	v_xor_b32_e32 v0, s0, v6
	ds_load_b32 v25, v27 offset:128
	v_and_b32_e32 v1, v2, v3
	; wave barrier
	v_and_b32_e32 v0, v1, v0
	s_delay_alu instid0(VALU_DEP_1) | instskip(SKIP_1) | instid1(VALU_DEP_2)
	v_mbcnt_lo_u32_b32 v26, v0, 0
	v_cmp_ne_u32_e64 s0, 0, v0
	v_cmp_eq_u32_e32 vcc_lo, 0, v26
	s_delay_alu instid0(VALU_DEP_2) | instskip(NEXT) | instid1(SALU_CYCLE_1)
	s_and_b32 s1, s0, vcc_lo
	s_and_saveexec_b32 s0, s1
	s_cbranch_execz .LBB139_75
; %bb.74:
	s_waitcnt lgkmcnt(0)
	v_bcnt_u32_b32 v0, v0, v25
	ds_store_b32 v27, v0 offset:128
.LBB139_75:
	s_or_b32 exec_lo, exec_lo, s0
	; wave barrier
	s_waitcnt lgkmcnt(0)
	s_barrier
	buffer_gl0_inv
	ds_load_2addr_b32 v[8:9], v15 offset0:32 offset1:33
	ds_load_2addr_b32 v[6:7], v28 offset0:2 offset1:3
	;; [unrolled: 1-line block ×4, first 2 shown]
	ds_load_b32 v29, v28 offset:32
	v_and_b32_e32 v32, 16, v12
	v_and_b32_e32 v33, 31, v5
	s_mov_b32 s5, exec_lo
	s_delay_alu instid0(VALU_DEP_2) | instskip(SKIP_3) | instid1(VALU_DEP_1)
	v_cmp_eq_u32_e64 s3, 0, v32
	s_waitcnt lgkmcnt(3)
	v_add3_u32 v30, v9, v8, v6
	s_waitcnt lgkmcnt(2)
	v_add3_u32 v30, v30, v7, v2
	s_waitcnt lgkmcnt(1)
	s_delay_alu instid0(VALU_DEP_1) | instskip(SKIP_1) | instid1(VALU_DEP_1)
	v_add3_u32 v30, v30, v3, v0
	s_waitcnt lgkmcnt(0)
	v_add3_u32 v29, v30, v1, v29
	v_and_b32_e32 v30, 15, v12
	s_delay_alu instid0(VALU_DEP_2) | instskip(NEXT) | instid1(VALU_DEP_2)
	v_mov_b32_dpp v31, v29 row_shr:1 row_mask:0xf bank_mask:0xf
	v_cmp_eq_u32_e32 vcc_lo, 0, v30
	v_cmp_lt_u32_e64 s0, 1, v30
	v_cmp_lt_u32_e64 s1, 3, v30
	v_cmp_lt_u32_e64 s2, 7, v30
	v_cndmask_b32_e64 v31, v31, 0, vcc_lo
	s_delay_alu instid0(VALU_DEP_1) | instskip(NEXT) | instid1(VALU_DEP_1)
	v_add_nc_u32_e32 v29, v31, v29
	v_mov_b32_dpp v31, v29 row_shr:2 row_mask:0xf bank_mask:0xf
	s_delay_alu instid0(VALU_DEP_1) | instskip(NEXT) | instid1(VALU_DEP_1)
	v_cndmask_b32_e64 v31, 0, v31, s0
	v_add_nc_u32_e32 v29, v29, v31
	s_delay_alu instid0(VALU_DEP_1) | instskip(NEXT) | instid1(VALU_DEP_1)
	v_mov_b32_dpp v31, v29 row_shr:4 row_mask:0xf bank_mask:0xf
	v_cndmask_b32_e64 v31, 0, v31, s1
	s_delay_alu instid0(VALU_DEP_1) | instskip(NEXT) | instid1(VALU_DEP_1)
	v_add_nc_u32_e32 v29, v29, v31
	v_mov_b32_dpp v31, v29 row_shr:8 row_mask:0xf bank_mask:0xf
	s_delay_alu instid0(VALU_DEP_1) | instskip(SKIP_1) | instid1(VALU_DEP_2)
	v_cndmask_b32_e64 v30, 0, v31, s2
	v_bfe_i32 v31, v12, 4, 1
	v_add_nc_u32_e32 v29, v29, v30
	ds_swizzle_b32 v30, v29 offset:swizzle(BROADCAST,32,15)
	s_waitcnt lgkmcnt(0)
	v_and_b32_e32 v31, v31, v30
	v_lshrrev_b32_e32 v30, 5, v5
	s_delay_alu instid0(VALU_DEP_2)
	v_add_nc_u32_e32 v29, v29, v31
	v_cmpx_eq_u32_e32 31, v33
	s_cbranch_execz .LBB139_77
; %bb.76:
	s_delay_alu instid0(VALU_DEP_3)
	v_lshlrev_b32_e32 v31, 2, v30
	ds_store_b32 v31, v29
.LBB139_77:
	s_or_b32 exec_lo, exec_lo, s5
	v_cmp_lt_u32_e64 s4, 31, v5
	s_mov_b32 s11, exec_lo
	s_waitcnt lgkmcnt(0)
	s_barrier
	buffer_gl0_inv
	v_cmpx_gt_u32_e32 32, v5
	s_cbranch_execz .LBB139_79
; %bb.78:
	ds_load_b32 v31, v4
	s_waitcnt lgkmcnt(0)
	v_mov_b32_dpp v32, v31 row_shr:1 row_mask:0xf bank_mask:0xf
	s_delay_alu instid0(VALU_DEP_1) | instskip(NEXT) | instid1(VALU_DEP_1)
	v_cndmask_b32_e64 v32, v32, 0, vcc_lo
	v_add_nc_u32_e32 v31, v32, v31
	s_delay_alu instid0(VALU_DEP_1) | instskip(NEXT) | instid1(VALU_DEP_1)
	v_mov_b32_dpp v32, v31 row_shr:2 row_mask:0xf bank_mask:0xf
	v_cndmask_b32_e64 v32, 0, v32, s0
	s_delay_alu instid0(VALU_DEP_1) | instskip(NEXT) | instid1(VALU_DEP_1)
	v_add_nc_u32_e32 v31, v31, v32
	v_mov_b32_dpp v32, v31 row_shr:4 row_mask:0xf bank_mask:0xf
	s_delay_alu instid0(VALU_DEP_1) | instskip(NEXT) | instid1(VALU_DEP_1)
	v_cndmask_b32_e64 v32, 0, v32, s1
	v_add_nc_u32_e32 v31, v31, v32
	s_delay_alu instid0(VALU_DEP_1) | instskip(NEXT) | instid1(VALU_DEP_1)
	v_mov_b32_dpp v32, v31 row_shr:8 row_mask:0xf bank_mask:0xf
	v_cndmask_b32_e64 v32, 0, v32, s2
	s_delay_alu instid0(VALU_DEP_1) | instskip(SKIP_3) | instid1(VALU_DEP_1)
	v_add_nc_u32_e32 v31, v31, v32
	ds_swizzle_b32 v32, v31 offset:swizzle(BROADCAST,32,15)
	s_waitcnt lgkmcnt(0)
	v_cndmask_b32_e64 v32, v32, 0, s3
	v_add_nc_u32_e32 v31, v31, v32
	ds_store_b32 v4, v31
.LBB139_79:
	s_or_b32 exec_lo, exec_lo, s11
	v_mov_b32_e32 v31, 0
	s_waitcnt lgkmcnt(0)
	s_barrier
	buffer_gl0_inv
	s_and_saveexec_b32 s0, s4
	s_cbranch_execz .LBB139_81
; %bb.80:
	v_lshl_add_u32 v30, v30, 2, -4
	ds_load_b32 v31, v30
.LBB139_81:
	s_or_b32 exec_lo, exec_lo, s0
	v_add_nc_u32_e32 v30, -1, v12
	v_cmp_lt_u32_e64 s0, 0xff, v5
	s_waitcnt lgkmcnt(0)
	v_add_nc_u32_e32 v29, v31, v29
	s_delay_alu instid0(VALU_DEP_3) | instskip(SKIP_2) | instid1(VALU_DEP_2)
	v_cmp_gt_i32_e32 vcc_lo, 0, v30
	v_cndmask_b32_e32 v30, v30, v12, vcc_lo
	v_cmp_eq_u32_e32 vcc_lo, 0, v12
	v_lshlrev_b32_e32 v30, 2, v30
	ds_bpermute_b32 v29, v30, v29
	s_waitcnt lgkmcnt(0)
	v_cndmask_b32_e32 v29, v29, v31, vcc_lo
	v_cmp_ne_u32_e32 vcc_lo, 0, v5
	s_delay_alu instid0(VALU_DEP_2) | instskip(SKIP_1) | instid1(VALU_DEP_2)
	v_cndmask_b32_e32 v29, 0, v29, vcc_lo
	v_cmp_gt_u32_e32 vcc_lo, 0x100, v5
	v_add_nc_u32_e32 v8, v29, v8
	s_delay_alu instid0(VALU_DEP_1) | instskip(NEXT) | instid1(VALU_DEP_1)
	v_add_nc_u32_e32 v9, v8, v9
	v_add_nc_u32_e32 v6, v9, v6
	s_delay_alu instid0(VALU_DEP_1) | instskip(NEXT) | instid1(VALU_DEP_1)
	v_add_nc_u32_e32 v7, v6, v7
	;; [unrolled: 3-line block ×3, first 2 shown]
	v_add_nc_u32_e32 v0, v3, v0
	s_delay_alu instid0(VALU_DEP_1)
	v_add_nc_u32_e32 v1, v0, v1
	ds_store_2addr_b32 v15, v29, v8 offset0:32 offset1:33
	ds_store_2addr_b32 v28, v9, v6 offset0:2 offset1:3
	;; [unrolled: 1-line block ×4, first 2 shown]
	ds_store_b32 v28, v1 offset:32
	v_mov_b32_e32 v0, 0
	s_waitcnt lgkmcnt(0)
	s_barrier
	buffer_gl0_inv
	ds_load_b32 v2, v16 offset:128
	ds_load_b32 v3, v20 offset:128
	;; [unrolled: 1-line block ×4, first 2 shown]
	v_mov_b32_e32 v1, 0
                                        ; implicit-def: $vgpr15
	s_and_saveexec_b32 s2, vcc_lo
	s_cbranch_execz .LBB139_85
; %bb.82:
	v_mul_u32_u24_e32 v0, 33, v5
	s_mov_b32 s3, exec_lo
	s_delay_alu instid0(VALU_DEP_1)
	v_dual_mov_b32 v1, 0x1000 :: v_dual_lshlrev_b32 v8, 2, v0
	ds_load_b32 v0, v8 offset:128
	v_cmpx_ne_u32_e32 0xff, v5
	s_cbranch_execz .LBB139_84
; %bb.83:
	ds_load_b32 v1, v8 offset:260
.LBB139_84:
	s_or_b32 exec_lo, exec_lo, s3
	s_waitcnt lgkmcnt(0)
	v_sub_nc_u32_e32 v15, v1, v0
	v_mov_b32_e32 v1, 0
.LBB139_85:
	s_or_b32 exec_lo, exec_lo, s2
	s_waitcnt lgkmcnt(3)
	v_add_nc_u32_e32 v20, v2, v13
	s_waitcnt lgkmcnt(1)
	v_add3_u32 v16, v22, v21, v6
	v_add3_u32 v17, v18, v17, v3
	s_waitcnt lgkmcnt(0)
	v_add3_u32 v13, v26, v25, v7
	v_lshlrev_b32_e32 v2, 2, v20
	v_lshlrev_b32_e32 v6, 2, v16
	;; [unrolled: 1-line block ×3, first 2 shown]
	s_delay_alu instid0(VALU_DEP_4)
	v_lshlrev_b32_e32 v7, 2, v13
	s_barrier
	buffer_gl0_inv
	ds_store_b32 v2, v11 offset:2048
	ds_store_b32 v3, v14 offset:2048
	ds_store_b32 v6, v19 offset:2048
	ds_store_b32 v7, v23 offset:2048
	s_waitcnt lgkmcnt(0)
	s_barrier
	buffer_gl0_inv
	s_and_saveexec_b32 s1, s0
	s_delay_alu instid0(SALU_CYCLE_1)
	s_xor_b32 s0, exec_lo, s1
; %bb.86:
	v_mov_b32_e32 v6, 0
; %bb.87:
	s_and_not1_saveexec_b32 s1, s0
	s_cbranch_execz .LBB139_97
; %bb.88:
	v_lshl_or_b32 v6, s15, 8, v5
	v_mov_b32_e32 v7, 0
	v_mov_b32_e32 v11, 0
	s_mov_b32 s2, 0
	s_mov_b32 s3, s15
	s_delay_alu instid0(VALU_DEP_2) | instskip(SKIP_1) | instid1(VALU_DEP_2)
	v_lshlrev_b64 v[2:3], 2, v[6:7]
	v_or_b32_e32 v6, 2.0, v15
	v_add_co_u32 v2, s0, s12, v2
	s_delay_alu instid0(VALU_DEP_1)
	v_add_co_ci_u32_e64 v3, s0, s13, v3, s0
                                        ; implicit-def: $sgpr0
	global_store_b32 v[2:3], v6, off
	s_branch .LBB139_91
	.p2align	6
.LBB139_89:                             ;   in Loop: Header=BB139_91 Depth=1
	s_or_b32 exec_lo, exec_lo, s5
.LBB139_90:                             ;   in Loop: Header=BB139_91 Depth=1
	s_delay_alu instid0(SALU_CYCLE_1) | instskip(SKIP_2) | instid1(VALU_DEP_2)
	s_or_b32 exec_lo, exec_lo, s4
	v_and_b32_e32 v8, 0x3fffffff, v14
	v_cmp_eq_u32_e64 s0, 0x80000000, v6
	v_add_nc_u32_e32 v11, v8, v11
	s_delay_alu instid0(VALU_DEP_2) | instskip(NEXT) | instid1(SALU_CYCLE_1)
	s_and_b32 s4, exec_lo, s0
	s_or_b32 s2, s4, s2
	s_delay_alu instid0(SALU_CYCLE_1)
	s_and_not1_b32 exec_lo, exec_lo, s2
	s_cbranch_execz .LBB139_96
.LBB139_91:                             ; =>This Loop Header: Depth=1
                                        ;     Child Loop BB139_94 Depth 2
	s_or_b32 s0, s0, exec_lo
	s_cmp_eq_u32 s3, 0
	s_cbranch_scc1 .LBB139_95
; %bb.92:                               ;   in Loop: Header=BB139_91 Depth=1
	s_add_i32 s3, s3, -1
	s_mov_b32 s4, exec_lo
	v_lshl_or_b32 v6, s3, 8, v5
	s_delay_alu instid0(VALU_DEP_1) | instskip(NEXT) | instid1(VALU_DEP_1)
	v_lshlrev_b64 v[8:9], 2, v[6:7]
	v_add_co_u32 v8, s0, s12, v8
	s_delay_alu instid0(VALU_DEP_1) | instskip(SKIP_3) | instid1(VALU_DEP_1)
	v_add_co_ci_u32_e64 v9, s0, s13, v9, s0
	global_load_b32 v14, v[8:9], off glc
	s_waitcnt vmcnt(0)
	v_and_b32_e32 v6, -2.0, v14
	v_cmpx_eq_u32_e32 0, v6
	s_cbranch_execz .LBB139_90
; %bb.93:                               ;   in Loop: Header=BB139_91 Depth=1
	s_mov_b32 s5, 0
.LBB139_94:                             ;   Parent Loop BB139_91 Depth=1
                                        ; =>  This Inner Loop Header: Depth=2
	global_load_b32 v14, v[8:9], off glc
	s_waitcnt vmcnt(0)
	v_and_b32_e32 v6, -2.0, v14
	s_delay_alu instid0(VALU_DEP_1) | instskip(NEXT) | instid1(VALU_DEP_1)
	v_cmp_ne_u32_e64 s0, 0, v6
	s_or_b32 s5, s0, s5
	s_delay_alu instid0(SALU_CYCLE_1)
	s_and_not1_b32 exec_lo, exec_lo, s5
	s_cbranch_execnz .LBB139_94
	s_branch .LBB139_89
.LBB139_95:                             ;   in Loop: Header=BB139_91 Depth=1
                                        ; implicit-def: $sgpr3
	s_and_b32 s4, exec_lo, s0
	s_delay_alu instid0(SALU_CYCLE_1) | instskip(NEXT) | instid1(SALU_CYCLE_1)
	s_or_b32 s2, s4, s2
	s_and_not1_b32 exec_lo, exec_lo, s2
	s_cbranch_execnz .LBB139_91
.LBB139_96:
	s_or_b32 exec_lo, exec_lo, s2
	v_add_nc_u32_e32 v6, v11, v15
	v_lshlrev_b32_e32 v7, 3, v5
	s_delay_alu instid0(VALU_DEP_2) | instskip(SKIP_3) | instid1(VALU_DEP_1)
	v_or_b32_e32 v6, 0x80000000, v6
	global_store_b32 v[2:3], v6, off
	global_load_b64 v[2:3], v7, s[24:25]
	v_sub_co_u32 v6, s0, v11, v0
	v_sub_co_ci_u32_e64 v8, s0, 0, v1, s0
	s_waitcnt vmcnt(0)
	s_delay_alu instid0(VALU_DEP_2) | instskip(SKIP_1) | instid1(VALU_DEP_3)
	v_add_co_u32 v2, s0, v6, v2
	v_mov_b32_e32 v6, 0
	v_add_co_ci_u32_e64 v3, s0, v8, v3, s0
	ds_store_b64 v7, v[2:3]
.LBB139_97:
	s_or_b32 exec_lo, exec_lo, s1
	v_lshlrev_b32_e32 v2, 3, v12
	s_lshl_b64 s[0:1], s[6:7], 3
	v_lshlrev_b32_e32 v3, 3, v10
	s_add_u32 s0, s20, s0
	s_addc_u32 s1, s21, s1
	v_add_co_u32 v2, s0, s0, v2
	s_delay_alu instid0(VALU_DEP_1) | instskip(SKIP_2) | instid1(VALU_DEP_2)
	v_add_co_ci_u32_e64 v7, null, s1, 0, s0
	s_waitcnt lgkmcnt(0)
	s_waitcnt_vscnt null, 0x0
	v_add_co_u32 v2, s0, v2, v3
	s_delay_alu instid0(VALU_DEP_1)
	v_add_co_ci_u32_e64 v3, s0, 0, v7, s0
	s_barrier
	buffer_gl0_inv
	v_lshlrev_b32_e32 v27, 2, v5
	s_clause 0x3
	global_load_b64 v[7:8], v[2:3], off
	global_load_b64 v[9:10], v[2:3], off offset:256
	global_load_b64 v[11:12], v[2:3], off offset:512
	;; [unrolled: 1-line block ×3, first 2 shown]
	ds_load_2addr_stride64_b32 v[18:19], v4 offset0:24 offset1:40
	v_lshlrev_b32_e32 v34, 3, v17
	v_lshlrev_b32_e32 v33, 3, v20
	ds_load_b32 v28, v27 offset:2048
	v_lshlrev_b32_e32 v35, 3, v16
	v_or_b32_e32 v30, 0x400, v5
	v_lshlrev_b64 v[23:24], 2, v[5:6]
	v_or_b32_e32 v31, 0x800, v5
	v_or_b32_e32 v32, 0xc00, v5
	v_lshlrev_b32_e32 v13, 3, v13
	v_lshlrev_b32_e32 v36, 2, v30
	s_add_i32 s9, s9, -1
	v_lshlrev_b32_e32 v37, 2, v31
	v_lshlrev_b32_e32 v38, 2, v32
	s_cmp_eq_u32 s15, s9
	s_cselect_b32 s1, -1, 0
	s_delay_alu instid0(SALU_CYCLE_1) | instskip(SKIP_2) | instid1(VALU_DEP_1)
	s_and_b32 s1, vcc_lo, s1
	s_waitcnt lgkmcnt(1)
	v_cmp_ne_u32_e64 s0, 0x7fffffff, v18
	v_cndmask_b32_e64 v14, 0x80000000, v18, s0
	s_waitcnt lgkmcnt(0)
	v_cmp_ne_u32_e64 s0, 0x7fffffff, v28
	s_delay_alu instid0(VALU_DEP_2) | instskip(NEXT) | instid1(VALU_DEP_2)
	v_lshrrev_b32_e32 v14, s28, v14
	v_cndmask_b32_e64 v25, 0x80000000, v28, s0
	v_cmp_ne_u32_e64 s0, 0x7fffffff, v19
	s_delay_alu instid0(VALU_DEP_3) | instskip(NEXT) | instid1(VALU_DEP_3)
	v_and_b32_e32 v14, s10, v14
	v_lshrrev_b32_e32 v20, s28, v25
	s_delay_alu instid0(VALU_DEP_3) | instskip(NEXT) | instid1(VALU_DEP_3)
	v_cndmask_b32_e64 v17, 0x80000000, v19, s0
	v_lshlrev_b32_e32 v14, 3, v14
	ds_load_b64 v[21:22], v14
	ds_load_b32 v29, v4 offset:14336
	v_lshrrev_b32_e32 v16, s28, v17
	v_and_b32_e32 v17, s10, v20
	v_add3_u32 v4, 0x800, v4, v4
	s_delay_alu instid0(VALU_DEP_3) | instskip(NEXT) | instid1(VALU_DEP_3)
	v_and_b32_e32 v16, s10, v16
	v_lshlrev_b32_e32 v39, 3, v17
	s_delay_alu instid0(VALU_DEP_2) | instskip(SKIP_3) | instid1(VALU_DEP_1)
	v_lshlrev_b32_e32 v40, 3, v16
	ds_load_b64 v[16:17], v39
	s_waitcnt lgkmcnt(1)
	v_cmp_ne_u32_e64 s0, 0x7fffffff, v29
	v_cndmask_b32_e64 v20, 0x80000000, v29, s0
	v_cmp_lt_i32_e64 s0, -1, v18
	s_delay_alu instid0(VALU_DEP_2) | instskip(NEXT) | instid1(VALU_DEP_2)
	v_lshrrev_b32_e32 v20, s28, v20
	v_cndmask_b32_e64 v25, 0x80000000, -1, s0
	v_cmp_lt_i32_e64 s0, -1, v19
	s_delay_alu instid0(VALU_DEP_3) | instskip(NEXT) | instid1(VALU_DEP_3)
	v_and_b32_e32 v20, s10, v20
	v_xor_b32_e32 v42, v25, v18
	ds_load_b64 v[25:26], v40
	v_cndmask_b32_e64 v41, 0x80000000, -1, s0
	v_cmp_lt_i32_e64 s0, -1, v28
	v_lshlrev_b32_e32 v43, 3, v20
	v_lshlrev_b64 v[20:21], 2, v[21:22]
	s_delay_alu instid0(VALU_DEP_4) | instskip(NEXT) | instid1(VALU_DEP_4)
	v_xor_b32_e32 v41, v41, v19
	v_cndmask_b32_e64 v18, 0x80000000, -1, s0
	v_cmp_lt_i32_e64 s0, -1, v29
	s_delay_alu instid0(VALU_DEP_2) | instskip(SKIP_3) | instid1(VALU_DEP_1)
	v_xor_b32_e32 v28, v18, v28
	ds_load_b64 v[18:19], v43
	v_cndmask_b32_e64 v44, 0x80000000, -1, s0
	v_add_co_u32 v20, s0, s18, v20
	v_add_co_ci_u32_e64 v21, s0, s19, v21, s0
	s_waitcnt lgkmcnt(2)
	v_lshlrev_b64 v[16:17], 2, v[16:17]
	s_delay_alu instid0(VALU_DEP_3) | instskip(SKIP_3) | instid1(VALU_DEP_4)
	v_add_co_u32 v20, s0, v20, v36
	s_waitcnt lgkmcnt(1)
	v_lshlrev_b64 v[25:26], 2, v[25:26]
	v_add_co_ci_u32_e64 v21, s0, 0, v21, s0
	v_add_co_u32 v22, s0, s18, v16
	s_delay_alu instid0(VALU_DEP_1) | instskip(NEXT) | instid1(VALU_DEP_4)
	v_add_co_ci_u32_e64 v36, s0, s19, v17, s0
	v_add_co_u32 v25, s0, s18, v25
	s_delay_alu instid0(VALU_DEP_1) | instskip(SKIP_3) | instid1(VALU_DEP_1)
	v_add_co_ci_u32_e64 v26, s0, s19, v26, s0
	s_waitcnt lgkmcnt(0)
	v_lshlrev_b64 v[16:17], 2, v[18:19]
	v_add_co_u32 v18, s0, v22, v23
	v_add_co_ci_u32_e64 v19, s0, v36, v24, s0
	v_xor_b32_e32 v29, v44, v29
	s_delay_alu instid0(VALU_DEP_4) | instskip(NEXT) | instid1(VALU_DEP_1)
	v_add_co_u32 v22, s0, s18, v16
	v_add_co_ci_u32_e64 v23, s0, s19, v17, s0
	v_add_co_u32 v16, s0, v25, v37
	s_delay_alu instid0(VALU_DEP_1) | instskip(NEXT) | instid1(VALU_DEP_4)
	v_add_co_ci_u32_e64 v17, s0, 0, v26, s0
	v_add_co_u32 v22, s0, v22, v38
	s_delay_alu instid0(VALU_DEP_1)
	v_add_co_ci_u32_e64 v23, s0, 0, v23, s0
	s_clause 0x3
	global_store_b32 v[18:19], v28, off
	global_store_b32 v[20:21], v42, off
	;; [unrolled: 1-line block ×4, first 2 shown]
	s_waitcnt vmcnt(0)
	s_waitcnt_vscnt null, 0x0
	s_barrier
	buffer_gl0_inv
	v_add_nc_u32_e32 v20, v27, v27
	v_lshlrev_b64 v[18:19], 3, v[5:6]
	v_lshlrev_b32_e32 v24, 3, v30
	v_lshlrev_b32_e32 v25, 3, v31
	;; [unrolled: 1-line block ×3, first 2 shown]
	ds_store_b64 v33, v[7:8] offset:2048
	ds_store_b64 v34, v[9:10] offset:2048
	;; [unrolled: 1-line block ×4, first 2 shown]
	s_waitcnt lgkmcnt(0)
	s_barrier
	buffer_gl0_inv
	ds_load_b64 v[2:3], v39
	ds_load_b64 v[11:12], v14
	;; [unrolled: 1-line block ×4, first 2 shown]
	ds_load_2addr_stride64_b64 v[7:10], v4 offset0:16 offset1:32
	ds_load_b64 v[20:21], v20 offset:2048
	ds_load_b64 v[22:23], v4 offset:24576
	s_waitcnt lgkmcnt(6)
	v_lshlrev_b64 v[2:3], 3, v[2:3]
	s_waitcnt lgkmcnt(5)
	v_lshlrev_b64 v[11:12], 3, v[11:12]
	;; [unrolled: 2-line block ×4, first 2 shown]
	v_add_co_u32 v2, s0, s22, v2
	s_delay_alu instid0(VALU_DEP_1) | instskip(SKIP_1) | instid1(VALU_DEP_1)
	v_add_co_ci_u32_e64 v3, s0, s23, v3, s0
	v_add_co_u32 v4, s0, s22, v11
	v_add_co_ci_u32_e64 v12, s0, s23, v12, s0
	v_add_co_u32 v13, s0, s22, v13
	s_delay_alu instid0(VALU_DEP_1) | instskip(SKIP_1) | instid1(VALU_DEP_1)
	v_add_co_ci_u32_e64 v14, s0, s23, v14, s0
	v_add_co_u32 v16, s0, s22, v16
	v_add_co_ci_u32_e64 v17, s0, s23, v17, s0
	;; [unrolled: 5-line block ×4, first 2 shown]
	s_waitcnt lgkmcnt(1)
	s_clause 0x2
	global_store_b64 v[2:3], v[20:21], off
	global_store_b64 v[11:12], v[7:8], off
	global_store_b64 v[13:14], v[9:10], off
	s_waitcnt lgkmcnt(0)
	global_store_b64 v[16:17], v[22:23], off
                                        ; implicit-def: $vgpr2_vgpr3
	s_and_saveexec_b32 s0, s1
; %bb.98:
	v_add_co_u32 v2, vcc_lo, v0, v15
	v_add_co_ci_u32_e32 v3, vcc_lo, 0, v1, vcc_lo
	s_or_b32 s8, s8, exec_lo
; %bb.99:
	s_or_b32 exec_lo, exec_lo, s0
.LBB139_100:
	s_and_saveexec_b32 s0, s8
	s_cbranch_execnz .LBB139_102
; %bb.101:
	s_nop 0
	s_sendmsg sendmsg(MSG_DEALLOC_VGPRS)
	s_endpgm
.LBB139_102:
	v_lshlrev_b32_e32 v0, 3, v5
	v_lshlrev_b64 v[4:5], 3, v[5:6]
	ds_load_b64 v[0:1], v0
	v_add_co_u32 v4, vcc_lo, s26, v4
	v_add_co_ci_u32_e32 v5, vcc_lo, s27, v5, vcc_lo
	s_waitcnt lgkmcnt(0)
	v_add_co_u32 v0, vcc_lo, v0, v2
	v_add_co_ci_u32_e32 v1, vcc_lo, v1, v3, vcc_lo
	global_store_b64 v[4:5], v[0:1], off
	s_nop 0
	s_sendmsg sendmsg(MSG_DEALLOC_VGPRS)
	s_endpgm
.LBB139_103:
	global_load_b64 v[1:2], v[10:11], off
	s_or_b32 exec_lo, exec_lo, s10
                                        ; implicit-def: $vgpr3_vgpr4
	s_and_saveexec_b32 s10, s2
	s_cbranch_execz .LBB139_47
.LBB139_104:
	global_load_b64 v[3:4], v[10:11], off offset:256
	s_or_b32 exec_lo, exec_lo, s10
                                        ; implicit-def: $vgpr6_vgpr7
	s_and_saveexec_b32 s2, s3
	s_cbranch_execz .LBB139_48
.LBB139_105:
	global_load_b64 v[6:7], v[10:11], off offset:512
	s_or_b32 exec_lo, exec_lo, s2
                                        ; implicit-def: $vgpr8_vgpr9
	s_and_saveexec_b32 s2, s4
	s_cbranch_execnz .LBB139_49
	s_branch .LBB139_50
.LBB139_106:
	v_lshlrev_b32_e32 v2, 3, v24
	ds_load_b64 v[2:3], v2
	ds_load_b64 v[6:7], v1 offset:2048
	s_waitcnt lgkmcnt(1)
	v_lshlrev_b64 v[2:3], 3, v[2:3]
	s_delay_alu instid0(VALU_DEP_1) | instskip(NEXT) | instid1(VALU_DEP_2)
	v_add_co_u32 v2, vcc_lo, s22, v2
	v_add_co_ci_u32_e32 v3, vcc_lo, s23, v3, vcc_lo
	s_delay_alu instid0(VALU_DEP_2) | instskip(NEXT) | instid1(VALU_DEP_2)
	v_add_co_u32 v2, vcc_lo, v2, v1
	v_add_co_ci_u32_e32 v3, vcc_lo, 0, v3, vcc_lo
	s_waitcnt lgkmcnt(0)
	global_store_b64 v[2:3], v[6:7], off
	s_or_b32 exec_lo, exec_lo, s2
	s_and_saveexec_b32 s2, s7
	s_cbranch_execz .LBB139_60
.LBB139_107:
	v_lshlrev_b32_e32 v2, 3, v11
	v_lshlrev_b32_e32 v4, 3, v17
	ds_load_b64 v[2:3], v2
	ds_load_b64 v[6:7], v1 offset:10240
	s_waitcnt lgkmcnt(1)
	v_lshlrev_b64 v[2:3], 3, v[2:3]
	s_delay_alu instid0(VALU_DEP_1) | instskip(NEXT) | instid1(VALU_DEP_2)
	v_add_co_u32 v2, vcc_lo, s22, v2
	v_add_co_ci_u32_e32 v3, vcc_lo, s23, v3, vcc_lo
	s_delay_alu instid0(VALU_DEP_2) | instskip(NEXT) | instid1(VALU_DEP_2)
	v_add_co_u32 v2, vcc_lo, v2, v4
	v_add_co_ci_u32_e32 v3, vcc_lo, 0, v3, vcc_lo
	s_waitcnt lgkmcnt(0)
	global_store_b64 v[2:3], v[6:7], off
	s_or_b32 exec_lo, exec_lo, s2
	s_and_saveexec_b32 s2, s8
	s_cbranch_execz .LBB139_61
.LBB139_108:
	v_lshlrev_b32_e32 v2, 3, v23
	v_lshlrev_b32_e32 v4, 3, v20
	ds_load_b64 v[2:3], v2
	ds_load_b64 v[6:7], v1 offset:18432
	s_waitcnt lgkmcnt(1)
	v_lshlrev_b64 v[2:3], 3, v[2:3]
	s_delay_alu instid0(VALU_DEP_1) | instskip(NEXT) | instid1(VALU_DEP_2)
	v_add_co_u32 v2, vcc_lo, s22, v2
	v_add_co_ci_u32_e32 v3, vcc_lo, s23, v3, vcc_lo
	s_delay_alu instid0(VALU_DEP_2) | instskip(NEXT) | instid1(VALU_DEP_2)
	v_add_co_u32 v2, vcc_lo, v2, v4
	v_add_co_ci_u32_e32 v3, vcc_lo, 0, v3, vcc_lo
	s_waitcnt lgkmcnt(0)
	global_store_b64 v[2:3], v[6:7], off
	s_or_b32 exec_lo, exec_lo, s2
	s_and_saveexec_b32 s2, s9
	s_cbranch_execnz .LBB139_62
	s_branch .LBB139_63
	.section	.rodata,"a",@progbits
	.p2align	6, 0x0
	.amdhsa_kernel _ZN7rocprim17ROCPRIM_304000_NS6detail25onesweep_iteration_kernelINS1_34wrapped_radix_sort_onesweep_configINS0_14default_configEfN2at4cuda3cub6detail10OpaqueTypeILi8EEEEELb0EPfSC_PSA_SD_mNS0_19identity_decomposerEEEvT1_T2_T3_T4_jPT5_SK_PNS1_23onesweep_lookback_stateET6_jjj
		.amdhsa_group_segment_fixed_size 36992
		.amdhsa_private_segment_fixed_size 0
		.amdhsa_kernarg_size 336
		.amdhsa_user_sgpr_count 15
		.amdhsa_user_sgpr_dispatch_ptr 0
		.amdhsa_user_sgpr_queue_ptr 0
		.amdhsa_user_sgpr_kernarg_segment_ptr 1
		.amdhsa_user_sgpr_dispatch_id 0
		.amdhsa_user_sgpr_private_segment_size 0
		.amdhsa_wavefront_size32 1
		.amdhsa_uses_dynamic_stack 0
		.amdhsa_enable_private_segment 0
		.amdhsa_system_sgpr_workgroup_id_x 1
		.amdhsa_system_sgpr_workgroup_id_y 0
		.amdhsa_system_sgpr_workgroup_id_z 0
		.amdhsa_system_sgpr_workgroup_info 0
		.amdhsa_system_vgpr_workitem_id 2
		.amdhsa_next_free_vgpr 45
		.amdhsa_next_free_sgpr 36
		.amdhsa_reserve_vcc 1
		.amdhsa_float_round_mode_32 0
		.amdhsa_float_round_mode_16_64 0
		.amdhsa_float_denorm_mode_32 3
		.amdhsa_float_denorm_mode_16_64 3
		.amdhsa_dx10_clamp 1
		.amdhsa_ieee_mode 1
		.amdhsa_fp16_overflow 0
		.amdhsa_workgroup_processor_mode 1
		.amdhsa_memory_ordered 1
		.amdhsa_forward_progress 0
		.amdhsa_shared_vgpr_count 0
		.amdhsa_exception_fp_ieee_invalid_op 0
		.amdhsa_exception_fp_denorm_src 0
		.amdhsa_exception_fp_ieee_div_zero 0
		.amdhsa_exception_fp_ieee_overflow 0
		.amdhsa_exception_fp_ieee_underflow 0
		.amdhsa_exception_fp_ieee_inexact 0
		.amdhsa_exception_int_div_zero 0
	.end_amdhsa_kernel
	.section	.text._ZN7rocprim17ROCPRIM_304000_NS6detail25onesweep_iteration_kernelINS1_34wrapped_radix_sort_onesweep_configINS0_14default_configEfN2at4cuda3cub6detail10OpaqueTypeILi8EEEEELb0EPfSC_PSA_SD_mNS0_19identity_decomposerEEEvT1_T2_T3_T4_jPT5_SK_PNS1_23onesweep_lookback_stateET6_jjj,"axG",@progbits,_ZN7rocprim17ROCPRIM_304000_NS6detail25onesweep_iteration_kernelINS1_34wrapped_radix_sort_onesweep_configINS0_14default_configEfN2at4cuda3cub6detail10OpaqueTypeILi8EEEEELb0EPfSC_PSA_SD_mNS0_19identity_decomposerEEEvT1_T2_T3_T4_jPT5_SK_PNS1_23onesweep_lookback_stateET6_jjj,comdat
.Lfunc_end139:
	.size	_ZN7rocprim17ROCPRIM_304000_NS6detail25onesweep_iteration_kernelINS1_34wrapped_radix_sort_onesweep_configINS0_14default_configEfN2at4cuda3cub6detail10OpaqueTypeILi8EEEEELb0EPfSC_PSA_SD_mNS0_19identity_decomposerEEEvT1_T2_T3_T4_jPT5_SK_PNS1_23onesweep_lookback_stateET6_jjj, .Lfunc_end139-_ZN7rocprim17ROCPRIM_304000_NS6detail25onesweep_iteration_kernelINS1_34wrapped_radix_sort_onesweep_configINS0_14default_configEfN2at4cuda3cub6detail10OpaqueTypeILi8EEEEELb0EPfSC_PSA_SD_mNS0_19identity_decomposerEEEvT1_T2_T3_T4_jPT5_SK_PNS1_23onesweep_lookback_stateET6_jjj
                                        ; -- End function
	.section	.AMDGPU.csdata,"",@progbits
; Kernel info:
; codeLenInByte = 9752
; NumSgprs: 38
; NumVgprs: 45
; ScratchSize: 0
; MemoryBound: 0
; FloatMode: 240
; IeeeMode: 1
; LDSByteSize: 36992 bytes/workgroup (compile time only)
; SGPRBlocks: 4
; VGPRBlocks: 5
; NumSGPRsForWavesPerEU: 38
; NumVGPRsForWavesPerEU: 45
; Occupancy: 16
; WaveLimiterHint : 1
; COMPUTE_PGM_RSRC2:SCRATCH_EN: 0
; COMPUTE_PGM_RSRC2:USER_SGPR: 15
; COMPUTE_PGM_RSRC2:TRAP_HANDLER: 0
; COMPUTE_PGM_RSRC2:TGID_X_EN: 1
; COMPUTE_PGM_RSRC2:TGID_Y_EN: 0
; COMPUTE_PGM_RSRC2:TGID_Z_EN: 0
; COMPUTE_PGM_RSRC2:TIDIG_COMP_CNT: 2
	.section	.text._ZN7rocprim17ROCPRIM_304000_NS6detail28radix_sort_block_sort_kernelINS1_36wrapped_radix_sort_block_sort_configINS0_13kernel_configILj256ELj4ELj4294967295EEEdN2at4cuda3cub6detail10OpaqueTypeILi8EEEEELb1EPKdPdPKSB_PSB_NS0_19identity_decomposerEEEvT1_T2_T3_T4_jT5_jj,"axG",@progbits,_ZN7rocprim17ROCPRIM_304000_NS6detail28radix_sort_block_sort_kernelINS1_36wrapped_radix_sort_block_sort_configINS0_13kernel_configILj256ELj4ELj4294967295EEEdN2at4cuda3cub6detail10OpaqueTypeILi8EEEEELb1EPKdPdPKSB_PSB_NS0_19identity_decomposerEEEvT1_T2_T3_T4_jT5_jj,comdat
	.protected	_ZN7rocprim17ROCPRIM_304000_NS6detail28radix_sort_block_sort_kernelINS1_36wrapped_radix_sort_block_sort_configINS0_13kernel_configILj256ELj4ELj4294967295EEEdN2at4cuda3cub6detail10OpaqueTypeILi8EEEEELb1EPKdPdPKSB_PSB_NS0_19identity_decomposerEEEvT1_T2_T3_T4_jT5_jj ; -- Begin function _ZN7rocprim17ROCPRIM_304000_NS6detail28radix_sort_block_sort_kernelINS1_36wrapped_radix_sort_block_sort_configINS0_13kernel_configILj256ELj4ELj4294967295EEEdN2at4cuda3cub6detail10OpaqueTypeILi8EEEEELb1EPKdPdPKSB_PSB_NS0_19identity_decomposerEEEvT1_T2_T3_T4_jT5_jj
	.globl	_ZN7rocprim17ROCPRIM_304000_NS6detail28radix_sort_block_sort_kernelINS1_36wrapped_radix_sort_block_sort_configINS0_13kernel_configILj256ELj4ELj4294967295EEEdN2at4cuda3cub6detail10OpaqueTypeILi8EEEEELb1EPKdPdPKSB_PSB_NS0_19identity_decomposerEEEvT1_T2_T3_T4_jT5_jj
	.p2align	8
	.type	_ZN7rocprim17ROCPRIM_304000_NS6detail28radix_sort_block_sort_kernelINS1_36wrapped_radix_sort_block_sort_configINS0_13kernel_configILj256ELj4ELj4294967295EEEdN2at4cuda3cub6detail10OpaqueTypeILi8EEEEELb1EPKdPdPKSB_PSB_NS0_19identity_decomposerEEEvT1_T2_T3_T4_jT5_jj,@function
_ZN7rocprim17ROCPRIM_304000_NS6detail28radix_sort_block_sort_kernelINS1_36wrapped_radix_sort_block_sort_configINS0_13kernel_configILj256ELj4ELj4294967295EEEdN2at4cuda3cub6detail10OpaqueTypeILi8EEEEELb1EPKdPdPKSB_PSB_NS0_19identity_decomposerEEEvT1_T2_T3_T4_jT5_jj: ; @_ZN7rocprim17ROCPRIM_304000_NS6detail28radix_sort_block_sort_kernelINS1_36wrapped_radix_sort_block_sort_configINS0_13kernel_configILj256ELj4ELj4294967295EEEdN2at4cuda3cub6detail10OpaqueTypeILi8EEEEELb1EPKdPdPKSB_PSB_NS0_19identity_decomposerEEEvT1_T2_T3_T4_jT5_jj
; %bb.0:
	s_clause 0x1
	s_load_b32 s4, s[0:1], 0x20
	s_load_b256 s[16:23], s[0:1], 0x0
	v_and_b32_e32 v9, 0x3ff, v0
	v_mbcnt_lo_u32_b32 v12, -1, 0
	s_lshl_b32 s2, s15, 10
	s_mov_b32 s3, 0
	s_delay_alu instid0(VALU_DEP_2) | instskip(NEXT) | instid1(VALU_DEP_2)
	v_lshlrev_b32_e32 v1, 2, v9
	v_lshlrev_b32_e32 v17, 3, v12
	s_delay_alu instid0(VALU_DEP_2) | instskip(NEXT) | instid1(VALU_DEP_1)
	v_and_b32_e32 v13, 0x380, v1
	v_lshlrev_b32_e32 v18, 3, v13
	v_add_nc_u32_e32 v16, v12, v13
	s_waitcnt lgkmcnt(0)
	s_lshr_b32 s5, s4, 10
	s_delay_alu instid0(SALU_CYCLE_1) | instskip(SKIP_2) | instid1(SALU_CYCLE_1)
	s_cmp_lg_u32 s15, s5
	s_cselect_b32 s26, -1, 0
	s_lshl_b64 s[24:25], s[2:3], 3
	s_add_u32 s3, s16, s24
	s_addc_u32 s6, s17, s25
	v_add_co_u32 v1, s3, s3, v17
	s_delay_alu instid0(VALU_DEP_1) | instskip(SKIP_1) | instid1(VALU_DEP_2)
	v_add_co_ci_u32_e64 v2, null, s6, 0, s3
	s_cmp_eq_u32 s15, s5
	v_add_co_u32 v10, vcc_lo, v1, v18
	s_delay_alu instid0(VALU_DEP_2)
	v_add_co_ci_u32_e32 v11, vcc_lo, 0, v2, vcc_lo
	s_mov_b32 s3, -1
	s_cbranch_scc1 .LBB140_2
; %bb.1:
	s_add_u32 s3, s20, s24
	s_addc_u32 s5, s21, s25
	v_add_co_u32 v1, s3, s3, v17
	s_delay_alu instid0(VALU_DEP_1) | instskip(SKIP_1) | instid1(VALU_DEP_3)
	v_add_co_ci_u32_e64 v2, null, s5, 0, s3
	v_add_nc_u32_e32 v19, v12, v13
	v_add_co_u32 v14, vcc_lo, v1, v18
	s_delay_alu instid0(VALU_DEP_3)
	v_add_co_ci_u32_e32 v15, vcc_lo, 0, v2, vcc_lo
	s_clause 0x3
	global_load_b64 v[1:2], v[10:11], off
	global_load_b64 v[3:4], v[10:11], off offset:256
	global_load_b64 v[5:6], v[10:11], off offset:512
	;; [unrolled: 1-line block ×3, first 2 shown]
	s_clause 0x3
	global_load_b64 v[30:31], v[14:15], off
	global_load_b64 v[32:33], v[14:15], off offset:256
	global_load_b64 v[34:35], v[14:15], off offset:512
	;; [unrolled: 1-line block ×3, first 2 shown]
	v_add_nc_u32_e32 v13, 32, v19
	v_add_nc_u32_e32 v14, 64, v19
	;; [unrolled: 1-line block ×3, first 2 shown]
	s_sub_i32 s27, s4, s2
	s_cbranch_execz .LBB140_3
	s_branch .LBB140_17
.LBB140_2:
                                        ; implicit-def: $vgpr1_vgpr2_vgpr3_vgpr4_vgpr5_vgpr6_vgpr7_vgpr8
                                        ; implicit-def: $vgpr30_vgpr31
                                        ; implicit-def: $vgpr32_vgpr33
                                        ; implicit-def: $vgpr34_vgpr35
                                        ; implicit-def: $vgpr36_vgpr37
                                        ; implicit-def: $vgpr19
                                        ; implicit-def: $vgpr13
                                        ; implicit-def: $vgpr14
                                        ; implicit-def: $vgpr15
	s_and_not1_b32 vcc_lo, exec_lo, s3
	s_sub_i32 s27, s4, s2
	s_cbranch_vccnz .LBB140_17
.LBB140_3:
	s_mov_b32 s4, -1
	v_cmp_gt_u32_e32 vcc_lo, s27, v16
	s_mov_b32 s5, s4
	s_mov_b32 s6, s4
	;; [unrolled: 1-line block ×7, first 2 shown]
	s_waitcnt vmcnt(4)
	v_dual_mov_b32 v1, s4 :: v_dual_mov_b32 v2, s5
	v_dual_mov_b32 v3, s6 :: v_dual_mov_b32 v4, s7
	;; [unrolled: 1-line block ×4, first 2 shown]
	s_and_saveexec_b32 s2, vcc_lo
	s_cbranch_execz .LBB140_5
; %bb.4:
	global_load_b64 v[1:2], v[10:11], off
	v_mov_b32_e32 v3, -1
	s_delay_alu instid0(VALU_DEP_1)
	v_mov_b32_e32 v4, v3
	v_mov_b32_e32 v5, v3
	;; [unrolled: 1-line block ×5, first 2 shown]
.LBB140_5:
	s_or_b32 exec_lo, exec_lo, s2
	v_add_nc_u32_e32 v13, 32, v16
	s_delay_alu instid0(VALU_DEP_1) | instskip(NEXT) | instid1(VALU_DEP_1)
	v_cmp_gt_u32_e64 s2, s27, v13
	s_and_saveexec_b32 s3, s2
	s_cbranch_execz .LBB140_7
; %bb.6:
	global_load_b64 v[3:4], v[10:11], off offset:256
.LBB140_7:
	s_or_b32 exec_lo, exec_lo, s3
	v_add_nc_u32_e32 v14, 64, v16
	s_delay_alu instid0(VALU_DEP_1) | instskip(NEXT) | instid1(VALU_DEP_1)
	v_cmp_gt_u32_e64 s3, s27, v14
	s_and_saveexec_b32 s4, s3
	s_cbranch_execz .LBB140_9
; %bb.8:
	global_load_b64 v[5:6], v[10:11], off offset:512
.LBB140_9:
	;; [unrolled: 9-line block ×3, first 2 shown]
	s_or_b32 exec_lo, exec_lo, s5
	s_add_u32 s5, s20, s24
	s_addc_u32 s6, s21, s25
	v_add_co_u32 v10, s5, s5, v17
	s_delay_alu instid0(VALU_DEP_1) | instskip(NEXT) | instid1(VALU_DEP_2)
	v_add_co_ci_u32_e64 v11, null, s6, 0, s5
                                        ; implicit-def: $vgpr30_vgpr31
	v_add_co_u32 v10, s5, v10, v18
	s_delay_alu instid0(VALU_DEP_1)
	v_add_co_ci_u32_e64 v11, s5, 0, v11, s5
	s_and_saveexec_b32 s5, vcc_lo
	s_cbranch_execnz .LBB140_54
; %bb.12:
	s_or_b32 exec_lo, exec_lo, s5
                                        ; implicit-def: $vgpr32_vgpr33
	s_and_saveexec_b32 s5, s2
	s_cbranch_execnz .LBB140_55
.LBB140_13:
	s_or_b32 exec_lo, exec_lo, s5
                                        ; implicit-def: $vgpr34_vgpr35
	s_and_saveexec_b32 s2, s3
	s_cbranch_execnz .LBB140_56
.LBB140_14:
	s_or_b32 exec_lo, exec_lo, s2
                                        ; implicit-def: $vgpr36_vgpr37
	s_and_saveexec_b32 s2, s4
	s_cbranch_execz .LBB140_16
.LBB140_15:
	global_load_b64 v[36:37], v[10:11], off offset:768
.LBB140_16:
	s_or_b32 exec_lo, exec_lo, s2
	v_mov_b32_e32 v19, v16
.LBB140_17:
	s_clause 0x1
	s_load_b64 s[16:17], s[0:1], 0x28
	s_load_b32 s0, s[0:1], 0x3c
	s_waitcnt vmcnt(0)
	v_ashrrev_i32_e32 v10, 31, v2
	v_cmp_gt_i64_e32 vcc_lo, 0, v[1:2]
	v_ashrrev_i32_e32 v16, 31, v4
	s_mov_b32 s14, 0
	v_cmp_eq_u32_e64 s8, 0, v12
	v_not_b32_e32 v10, v10
	s_mov_b32 s15, s14
	v_cndmask_b32_e64 v11, 0x7fffffff, 0, vcc_lo
	v_cmp_gt_i64_e32 vcc_lo, 0, v[3:4]
	s_mov_b32 s20, s14
	v_xor_b32_e32 v38, v10, v1
	v_ashrrev_i32_e32 v1, 31, v6
	v_not_b32_e32 v10, v16
	v_xor_b32_e32 v39, v11, v2
	v_cndmask_b32_e64 v17, 0x7fffffff, 0, vcc_lo
	v_cmp_gt_i64_e32 vcc_lo, 0, v[5:6]
	v_not_b32_e32 v11, v1
	v_xor_b32_e32 v1, v10, v3
	v_bfe_u32 v10, v0, 10, 10
	v_bfe_u32 v0, v0, 20, 10
	s_waitcnt lgkmcnt(0)
	s_lshr_b32 s1, s0, 16
	s_and_b32 s0, s0, 0xffff
	v_xor_b32_e32 v3, v11, v5
	v_ashrrev_i32_e32 v5, 31, v8
	v_mad_u32_u24 v0, v0, s1, v10
	v_xor_b32_e32 v2, v17, v4
	v_cndmask_b32_e64 v4, 0x7fffffff, 0, vcc_lo
	v_cmp_gt_i64_e32 vcc_lo, 0, v[7:8]
	s_mov_b32 s21, s14
	v_mad_u64_u32 v[10:11], null, v0, s0, v[9:10]
	v_not_b32_e32 v0, v5
	v_xor_b32_e32 v4, v4, v6
	v_cndmask_b32_e64 v6, 0x7fffffff, 0, vcc_lo
	v_and_b32_e32 v11, 15, v12
	v_and_b32_e32 v16, 0x3e0, v9
	v_xor_b32_e32 v5, v0, v7
	v_lshrrev_b32_e32 v41, 5, v10
	v_add_nc_u32_e32 v10, -1, v12
	v_and_b32_e32 v7, 16, v12
	v_lshlrev_b32_e32 v46, 3, v13
	v_xor_b32_e32 v6, v6, v8
	v_cmp_gt_u32_e64 s6, 8, v9
	v_cmp_gt_i32_e32 vcc_lo, 0, v10
	v_lshlrev_b32_e32 v40, 5, v9
	v_cmp_eq_u32_e64 s4, 0, v7
	v_cmp_lt_u32_e64 s7, 31, v9
	v_cmp_eq_u32_e64 s9, 0, v9
	v_cndmask_b32_e32 v7, v10, v12, vcc_lo
	v_add_nc_u32_e32 v8, 32, v40
	v_lshlrev_b32_e32 v45, 3, v19
	v_lshlrev_b32_e32 v47, 3, v14
	;; [unrolled: 1-line block ×4, first 2 shown]
	v_dual_mov_b32 v12, s20 :: v_dual_and_b32 v7, 7, v12
	v_mov_b32_e32 v13, s21
	v_cmp_eq_u32_e64 s0, 0, v11
	v_cmp_lt_u32_e64 s1, 1, v11
	v_cmp_lt_u32_e64 s2, 3, v11
	;; [unrolled: 1-line block ×3, first 2 shown]
	v_dual_mov_b32 v10, s14 :: v_dual_mov_b32 v11, s15
	v_min_u32_e32 v0, 0xe0, v16
	v_cmp_eq_u32_e64 s10, 0, v7
	v_cmp_lt_u32_e64 s11, 1, v7
	v_cmp_lt_u32_e64 s12, 3, v7
	s_add_i32 s20, s17, s16
	v_or_b32_e32 v0, 31, v0
	s_brev_b32 s15, 1
	s_delay_alu instid0(VALU_DEP_1) | instskip(SKIP_1) | instid1(VALU_DEP_1)
	v_cmp_eq_u32_e64 s5, v0, v9
	v_lshrrev_b32_e32 v0, 3, v9
	v_and_b32_e32 v43, 0x7c, v0
	v_mul_i32_i24_e32 v0, 0xffffffe4, v9
	s_delay_alu instid0(VALU_DEP_2) | instskip(NEXT) | instid1(VALU_DEP_2)
	v_add_nc_u32_e32 v44, -4, v43
	v_add_nc_u32_e32 v49, v40, v0
	s_branch .LBB140_19
.LBB140_18:                             ;   in Loop: Header=BB140_19 Depth=1
	s_barrier
	buffer_gl0_inv
	ds_store_b64 v0, v[14:15]
	ds_store_b64 v7, v[28:29]
	;; [unrolled: 1-line block ×4, first 2 shown]
	s_waitcnt lgkmcnt(0)
	s_barrier
	buffer_gl0_inv
	ds_load_b64 v[38:39], v45
	ds_load_b64 v[1:2], v46
	;; [unrolled: 1-line block ×4, first 2 shown]
	s_waitcnt lgkmcnt(0)
	s_barrier
	buffer_gl0_inv
	ds_store_b64 v0, v[22:23]
	ds_store_b64 v7, v[20:21]
	;; [unrolled: 1-line block ×4, first 2 shown]
	s_waitcnt lgkmcnt(0)
	s_barrier
	buffer_gl0_inv
	ds_load_b64 v[30:31], v45
	ds_load_b64 v[32:33], v46
	;; [unrolled: 1-line block ×4, first 2 shown]
	s_add_i32 s17, s17, -8
	s_waitcnt lgkmcnt(0)
	s_barrier
	buffer_gl0_inv
	s_cbranch_execz .LBB140_35
.LBB140_19:                             ; =>This Inner Loop Header: Depth=1
	v_dual_mov_b32 v14, v38 :: v_dual_mov_b32 v15, v39
	s_min_u32 s13, s17, 8
	v_mov_b32_e32 v25, v6
	s_lshl_b32 s13, -1, s13
	ds_store_2addr_b64 v40, v[10:11], v[12:13] offset0:4 offset1:5
	ds_store_2addr_b64 v8, v[10:11], v[12:13] offset0:2 offset1:3
	v_cmp_ne_u64_e32 vcc_lo, s[14:15], v[14:15]
	s_not_b32 s21, s13
	s_waitcnt lgkmcnt(0)
	s_barrier
	buffer_gl0_inv
	v_cndmask_b32_e32 v17, 0x7fffffff, v15, vcc_lo
	v_cndmask_b32_e32 v16, -1, v14, vcc_lo
	; wave barrier
	v_dual_mov_b32 v24, v5 :: v_dual_mov_b32 v27, v4
	v_mov_b32_e32 v29, v2
	s_delay_alu instid0(VALU_DEP_3) | instskip(SKIP_1) | instid1(VALU_DEP_2)
	v_lshrrev_b64 v[16:17], s16, v[16:17]
	v_mov_b32_e32 v26, v3
	v_dual_mov_b32 v28, v1 :: v_dual_and_b32 v7, s21, v16
	s_delay_alu instid0(VALU_DEP_1)
	v_and_b32_e32 v0, 1, v7
	v_lshlrev_b32_e32 v16, 30, v7
	v_lshlrev_b32_e32 v17, 29, v7
	;; [unrolled: 1-line block ×4, first 2 shown]
	v_add_co_u32 v0, s13, v0, -1
	s_delay_alu instid0(VALU_DEP_1)
	v_cndmask_b32_e64 v19, 0, 1, s13
	v_not_b32_e32 v23, v16
	v_cmp_gt_i32_e64 s13, 0, v16
	v_not_b32_e32 v16, v17
	v_lshlrev_b32_e32 v21, 26, v7
	v_cmp_ne_u32_e32 vcc_lo, 0, v19
	v_ashrrev_i32_e32 v23, 31, v23
	v_lshlrev_b32_e32 v19, 24, v7
	v_ashrrev_i32_e32 v16, 31, v16
	v_lshlrev_b32_e32 v22, 25, v7
	v_xor_b32_e32 v0, vcc_lo, v0
	v_cmp_gt_i32_e32 vcc_lo, 0, v17
	v_not_b32_e32 v17, v18
	v_xor_b32_e32 v23, s13, v23
	v_cmp_gt_i32_e64 s13, 0, v18
	v_and_b32_e32 v0, exec_lo, v0
	v_not_b32_e32 v18, v20
	v_ashrrev_i32_e32 v17, 31, v17
	v_xor_b32_e32 v16, vcc_lo, v16
	v_cmp_gt_i32_e32 vcc_lo, 0, v20
	v_and_b32_e32 v0, v0, v23
	v_not_b32_e32 v20, v21
	v_ashrrev_i32_e32 v18, 31, v18
	v_xor_b32_e32 v17, s13, v17
	v_cmp_gt_i32_e64 s13, 0, v21
	v_and_b32_e32 v0, v0, v16
	v_ashrrev_i32_e32 v20, 31, v20
	v_xor_b32_e32 v18, vcc_lo, v18
	v_lshl_add_u32 v1, v7, 3, v41
	s_delay_alu instid0(VALU_DEP_4) | instskip(SKIP_3) | instid1(VALU_DEP_4)
	v_and_b32_e32 v0, v0, v17
	v_not_b32_e32 v17, v19
	v_xor_b32_e32 v20, s13, v20
	v_cmp_gt_i32_e64 s13, 0, v19
	v_and_b32_e32 v0, v0, v18
	v_dual_mov_b32 v18, v34 :: v_dual_mov_b32 v19, v35
	v_not_b32_e32 v16, v22
	v_cmp_gt_i32_e32 vcc_lo, 0, v22
	v_ashrrev_i32_e32 v17, 31, v17
	v_and_b32_e32 v0, v0, v20
	v_mov_b32_e32 v22, v30
	v_ashrrev_i32_e32 v16, 31, v16
	v_mov_b32_e32 v23, v31
	v_xor_b32_e32 v17, s13, v17
	v_dual_mov_b32 v20, v32 :: v_dual_mov_b32 v21, v33
	s_delay_alu instid0(VALU_DEP_4) | instskip(SKIP_1) | instid1(VALU_DEP_2)
	v_xor_b32_e32 v16, vcc_lo, v16
	v_lshl_add_u32 v31, v1, 2, 32
	v_and_b32_e32 v0, v0, v16
	s_delay_alu instid0(VALU_DEP_1) | instskip(SKIP_1) | instid1(VALU_DEP_2)
	v_and_b32_e32 v0, v0, v17
	v_dual_mov_b32 v16, v36 :: v_dual_mov_b32 v17, v37
	v_mbcnt_lo_u32_b32 v30, v0, 0
	v_cmp_ne_u32_e64 s13, 0, v0
	s_delay_alu instid0(VALU_DEP_2) | instskip(NEXT) | instid1(VALU_DEP_2)
	v_cmp_eq_u32_e32 vcc_lo, 0, v30
	s_and_b32 s28, s13, vcc_lo
	s_delay_alu instid0(SALU_CYCLE_1)
	s_and_saveexec_b32 s13, s28
	s_cbranch_execz .LBB140_21
; %bb.20:                               ;   in Loop: Header=BB140_19 Depth=1
	v_bcnt_u32_b32 v0, v0, 0
	ds_store_b32 v31, v0
.LBB140_21:                             ;   in Loop: Header=BB140_19 Depth=1
	s_or_b32 exec_lo, exec_lo, s13
	v_cmp_ne_u64_e32 vcc_lo, s[14:15], v[28:29]
	; wave barrier
	v_cndmask_b32_e32 v1, 0x7fffffff, v29, vcc_lo
	v_cndmask_b32_e32 v0, -1, v28, vcc_lo
	s_delay_alu instid0(VALU_DEP_1) | instskip(NEXT) | instid1(VALU_DEP_1)
	v_lshrrev_b64 v[0:1], s16, v[0:1]
	v_and_b32_e32 v0, s21, v0
	s_delay_alu instid0(VALU_DEP_1)
	v_and_b32_e32 v1, 1, v0
	v_lshlrev_b32_e32 v2, 30, v0
	v_lshlrev_b32_e32 v3, 29, v0
	;; [unrolled: 1-line block ×4, first 2 shown]
	v_add_co_u32 v1, s13, v1, -1
	s_delay_alu instid0(VALU_DEP_1)
	v_cndmask_b32_e64 v5, 0, 1, s13
	v_not_b32_e32 v33, v2
	v_cmp_gt_i32_e64 s13, 0, v2
	v_not_b32_e32 v2, v3
	v_lshlrev_b32_e32 v7, 26, v0
	v_cmp_ne_u32_e32 vcc_lo, 0, v5
	v_ashrrev_i32_e32 v33, 31, v33
	v_lshlrev_b32_e32 v32, 25, v0
	v_ashrrev_i32_e32 v2, 31, v2
	v_lshlrev_b32_e32 v5, 24, v0
	v_xor_b32_e32 v1, vcc_lo, v1
	v_cmp_gt_i32_e32 vcc_lo, 0, v3
	v_not_b32_e32 v3, v4
	v_xor_b32_e32 v33, s13, v33
	v_cmp_gt_i32_e64 s13, 0, v4
	v_and_b32_e32 v1, exec_lo, v1
	v_not_b32_e32 v4, v6
	v_ashrrev_i32_e32 v3, 31, v3
	v_xor_b32_e32 v2, vcc_lo, v2
	v_cmp_gt_i32_e32 vcc_lo, 0, v6
	v_and_b32_e32 v1, v1, v33
	v_not_b32_e32 v6, v7
	v_ashrrev_i32_e32 v4, 31, v4
	v_xor_b32_e32 v3, s13, v3
	v_cmp_gt_i32_e64 s13, 0, v7
	v_and_b32_e32 v1, v1, v2
	v_not_b32_e32 v2, v32
	v_ashrrev_i32_e32 v6, 31, v6
	v_xor_b32_e32 v4, vcc_lo, v4
	v_cmp_gt_i32_e32 vcc_lo, 0, v32
	v_and_b32_e32 v1, v1, v3
	v_not_b32_e32 v3, v5
	v_ashrrev_i32_e32 v2, 31, v2
	v_xor_b32_e32 v6, s13, v6
	v_lshlrev_b32_e32 v0, 3, v0
	v_and_b32_e32 v1, v1, v4
	v_cmp_gt_i32_e64 s13, 0, v5
	v_ashrrev_i32_e32 v3, 31, v3
	v_xor_b32_e32 v2, vcc_lo, v2
	v_add_lshl_u32 v4, v0, v41, 2
	v_and_b32_e32 v1, v1, v6
	s_delay_alu instid0(VALU_DEP_4) | instskip(SKIP_3) | instid1(VALU_DEP_2)
	v_xor_b32_e32 v0, s13, v3
	ds_load_b32 v32, v4 offset:32
	v_and_b32_e32 v1, v1, v2
	v_add_nc_u32_e32 v34, 32, v4
	; wave barrier
	v_and_b32_e32 v0, v1, v0
	s_delay_alu instid0(VALU_DEP_1) | instskip(SKIP_1) | instid1(VALU_DEP_2)
	v_mbcnt_lo_u32_b32 v33, v0, 0
	v_cmp_ne_u32_e64 s13, 0, v0
	v_cmp_eq_u32_e32 vcc_lo, 0, v33
	s_delay_alu instid0(VALU_DEP_2) | instskip(NEXT) | instid1(SALU_CYCLE_1)
	s_and_b32 s28, s13, vcc_lo
	s_and_saveexec_b32 s13, s28
	s_cbranch_execz .LBB140_23
; %bb.22:                               ;   in Loop: Header=BB140_19 Depth=1
	s_waitcnt lgkmcnt(0)
	v_bcnt_u32_b32 v0, v0, v32
	ds_store_b32 v34, v0
.LBB140_23:                             ;   in Loop: Header=BB140_19 Depth=1
	s_or_b32 exec_lo, exec_lo, s13
	v_cmp_ne_u64_e32 vcc_lo, s[14:15], v[26:27]
	; wave barrier
	v_cndmask_b32_e32 v1, 0x7fffffff, v27, vcc_lo
	v_cndmask_b32_e32 v0, -1, v26, vcc_lo
	s_delay_alu instid0(VALU_DEP_1) | instskip(NEXT) | instid1(VALU_DEP_1)
	v_lshrrev_b64 v[0:1], s16, v[0:1]
	v_and_b32_e32 v0, s21, v0
	s_delay_alu instid0(VALU_DEP_1)
	v_and_b32_e32 v1, 1, v0
	v_lshlrev_b32_e32 v2, 30, v0
	v_lshlrev_b32_e32 v3, 29, v0
	;; [unrolled: 1-line block ×4, first 2 shown]
	v_add_co_u32 v1, s13, v1, -1
	s_delay_alu instid0(VALU_DEP_1)
	v_cndmask_b32_e64 v5, 0, 1, s13
	v_not_b32_e32 v36, v2
	v_cmp_gt_i32_e64 s13, 0, v2
	v_not_b32_e32 v2, v3
	v_lshlrev_b32_e32 v7, 26, v0
	v_cmp_ne_u32_e32 vcc_lo, 0, v5
	v_ashrrev_i32_e32 v36, 31, v36
	v_lshlrev_b32_e32 v35, 25, v0
	v_ashrrev_i32_e32 v2, 31, v2
	v_lshlrev_b32_e32 v5, 24, v0
	v_xor_b32_e32 v1, vcc_lo, v1
	v_cmp_gt_i32_e32 vcc_lo, 0, v3
	v_not_b32_e32 v3, v4
	v_xor_b32_e32 v36, s13, v36
	v_cmp_gt_i32_e64 s13, 0, v4
	v_and_b32_e32 v1, exec_lo, v1
	v_not_b32_e32 v4, v6
	v_ashrrev_i32_e32 v3, 31, v3
	v_xor_b32_e32 v2, vcc_lo, v2
	v_cmp_gt_i32_e32 vcc_lo, 0, v6
	v_and_b32_e32 v1, v1, v36
	v_not_b32_e32 v6, v7
	v_ashrrev_i32_e32 v4, 31, v4
	v_xor_b32_e32 v3, s13, v3
	v_cmp_gt_i32_e64 s13, 0, v7
	v_and_b32_e32 v1, v1, v2
	v_not_b32_e32 v2, v35
	v_ashrrev_i32_e32 v6, 31, v6
	v_xor_b32_e32 v4, vcc_lo, v4
	v_cmp_gt_i32_e32 vcc_lo, 0, v35
	v_and_b32_e32 v1, v1, v3
	v_not_b32_e32 v3, v5
	v_ashrrev_i32_e32 v2, 31, v2
	v_xor_b32_e32 v6, s13, v6
	v_lshlrev_b32_e32 v0, 3, v0
	v_and_b32_e32 v1, v1, v4
	v_cmp_gt_i32_e64 s13, 0, v5
	v_ashrrev_i32_e32 v3, 31, v3
	v_xor_b32_e32 v2, vcc_lo, v2
	v_add_lshl_u32 v4, v0, v41, 2
	v_and_b32_e32 v1, v1, v6
	s_delay_alu instid0(VALU_DEP_4) | instskip(SKIP_3) | instid1(VALU_DEP_2)
	v_xor_b32_e32 v0, s13, v3
	ds_load_b32 v35, v4 offset:32
	v_and_b32_e32 v1, v1, v2
	v_add_nc_u32_e32 v37, 32, v4
	; wave barrier
	v_and_b32_e32 v0, v1, v0
	s_delay_alu instid0(VALU_DEP_1) | instskip(SKIP_1) | instid1(VALU_DEP_2)
	v_mbcnt_lo_u32_b32 v36, v0, 0
	v_cmp_ne_u32_e64 s13, 0, v0
	v_cmp_eq_u32_e32 vcc_lo, 0, v36
	s_delay_alu instid0(VALU_DEP_2) | instskip(NEXT) | instid1(SALU_CYCLE_1)
	s_and_b32 s28, s13, vcc_lo
	s_and_saveexec_b32 s13, s28
	s_cbranch_execz .LBB140_25
; %bb.24:                               ;   in Loop: Header=BB140_19 Depth=1
	s_waitcnt lgkmcnt(0)
	v_bcnt_u32_b32 v0, v0, v35
	ds_store_b32 v37, v0
.LBB140_25:                             ;   in Loop: Header=BB140_19 Depth=1
	s_or_b32 exec_lo, exec_lo, s13
	v_cmp_ne_u64_e32 vcc_lo, s[14:15], v[24:25]
	; wave barrier
	v_cndmask_b32_e32 v1, 0x7fffffff, v25, vcc_lo
	v_cndmask_b32_e32 v0, -1, v24, vcc_lo
	s_delay_alu instid0(VALU_DEP_1) | instskip(NEXT) | instid1(VALU_DEP_1)
	v_lshrrev_b64 v[0:1], s16, v[0:1]
	v_and_b32_e32 v0, s21, v0
	s_delay_alu instid0(VALU_DEP_1)
	v_and_b32_e32 v1, 1, v0
	v_lshlrev_b32_e32 v2, 30, v0
	v_lshlrev_b32_e32 v3, 29, v0
	;; [unrolled: 1-line block ×4, first 2 shown]
	v_add_co_u32 v1, s13, v1, -1
	s_delay_alu instid0(VALU_DEP_1)
	v_cndmask_b32_e64 v5, 0, 1, s13
	v_not_b32_e32 v39, v2
	v_cmp_gt_i32_e64 s13, 0, v2
	v_not_b32_e32 v2, v3
	v_lshlrev_b32_e32 v7, 26, v0
	v_cmp_ne_u32_e32 vcc_lo, 0, v5
	v_ashrrev_i32_e32 v39, 31, v39
	v_lshlrev_b32_e32 v38, 25, v0
	v_ashrrev_i32_e32 v2, 31, v2
	v_lshlrev_b32_e32 v5, 24, v0
	v_xor_b32_e32 v1, vcc_lo, v1
	v_cmp_gt_i32_e32 vcc_lo, 0, v3
	v_not_b32_e32 v3, v4
	v_xor_b32_e32 v39, s13, v39
	v_cmp_gt_i32_e64 s13, 0, v4
	v_and_b32_e32 v1, exec_lo, v1
	v_not_b32_e32 v4, v6
	v_ashrrev_i32_e32 v3, 31, v3
	v_xor_b32_e32 v2, vcc_lo, v2
	v_cmp_gt_i32_e32 vcc_lo, 0, v6
	v_and_b32_e32 v1, v1, v39
	v_not_b32_e32 v6, v7
	v_ashrrev_i32_e32 v4, 31, v4
	v_xor_b32_e32 v3, s13, v3
	v_cmp_gt_i32_e64 s13, 0, v7
	v_and_b32_e32 v1, v1, v2
	v_not_b32_e32 v2, v38
	v_ashrrev_i32_e32 v6, 31, v6
	v_xor_b32_e32 v4, vcc_lo, v4
	v_cmp_gt_i32_e32 vcc_lo, 0, v38
	v_and_b32_e32 v1, v1, v3
	v_not_b32_e32 v3, v5
	v_ashrrev_i32_e32 v2, 31, v2
	v_xor_b32_e32 v6, s13, v6
	v_lshlrev_b32_e32 v0, 3, v0
	v_and_b32_e32 v1, v1, v4
	v_cmp_gt_i32_e64 s13, 0, v5
	v_ashrrev_i32_e32 v3, 31, v3
	v_xor_b32_e32 v2, vcc_lo, v2
	v_add_lshl_u32 v4, v0, v41, 2
	v_and_b32_e32 v1, v1, v6
	s_delay_alu instid0(VALU_DEP_4) | instskip(SKIP_3) | instid1(VALU_DEP_2)
	v_xor_b32_e32 v0, s13, v3
	ds_load_b32 v38, v4 offset:32
	v_and_b32_e32 v1, v1, v2
	v_add_nc_u32_e32 v50, 32, v4
	; wave barrier
	v_and_b32_e32 v0, v1, v0
	s_delay_alu instid0(VALU_DEP_1) | instskip(SKIP_1) | instid1(VALU_DEP_2)
	v_mbcnt_lo_u32_b32 v39, v0, 0
	v_cmp_ne_u32_e64 s13, 0, v0
	v_cmp_eq_u32_e32 vcc_lo, 0, v39
	s_delay_alu instid0(VALU_DEP_2) | instskip(NEXT) | instid1(SALU_CYCLE_1)
	s_and_b32 s21, s13, vcc_lo
	s_and_saveexec_b32 s13, s21
	s_cbranch_execz .LBB140_27
; %bb.26:                               ;   in Loop: Header=BB140_19 Depth=1
	s_waitcnt lgkmcnt(0)
	v_bcnt_u32_b32 v0, v0, v38
	ds_store_b32 v50, v0
.LBB140_27:                             ;   in Loop: Header=BB140_19 Depth=1
	s_or_b32 exec_lo, exec_lo, s13
	; wave barrier
	s_waitcnt lgkmcnt(0)
	s_barrier
	buffer_gl0_inv
	ds_load_2addr_b64 v[4:7], v40 offset0:4 offset1:5
	ds_load_2addr_b64 v[0:3], v8 offset0:2 offset1:3
	s_waitcnt lgkmcnt(1)
	v_add_nc_u32_e32 v51, v5, v4
	s_delay_alu instid0(VALU_DEP_1) | instskip(SKIP_1) | instid1(VALU_DEP_1)
	v_add3_u32 v51, v51, v6, v7
	s_waitcnt lgkmcnt(0)
	v_add3_u32 v51, v51, v0, v1
	s_delay_alu instid0(VALU_DEP_1) | instskip(NEXT) | instid1(VALU_DEP_1)
	v_add3_u32 v3, v51, v2, v3
	v_mov_b32_dpp v51, v3 row_shr:1 row_mask:0xf bank_mask:0xf
	s_delay_alu instid0(VALU_DEP_1) | instskip(NEXT) | instid1(VALU_DEP_1)
	v_cndmask_b32_e64 v51, v51, 0, s0
	v_add_nc_u32_e32 v3, v51, v3
	s_delay_alu instid0(VALU_DEP_1) | instskip(NEXT) | instid1(VALU_DEP_1)
	v_mov_b32_dpp v51, v3 row_shr:2 row_mask:0xf bank_mask:0xf
	v_cndmask_b32_e64 v51, 0, v51, s1
	s_delay_alu instid0(VALU_DEP_1) | instskip(NEXT) | instid1(VALU_DEP_1)
	v_add_nc_u32_e32 v3, v3, v51
	v_mov_b32_dpp v51, v3 row_shr:4 row_mask:0xf bank_mask:0xf
	s_delay_alu instid0(VALU_DEP_1) | instskip(NEXT) | instid1(VALU_DEP_1)
	v_cndmask_b32_e64 v51, 0, v51, s2
	v_add_nc_u32_e32 v3, v3, v51
	s_delay_alu instid0(VALU_DEP_1) | instskip(NEXT) | instid1(VALU_DEP_1)
	v_mov_b32_dpp v51, v3 row_shr:8 row_mask:0xf bank_mask:0xf
	v_cndmask_b32_e64 v51, 0, v51, s3
	s_delay_alu instid0(VALU_DEP_1) | instskip(SKIP_3) | instid1(VALU_DEP_1)
	v_add_nc_u32_e32 v3, v3, v51
	ds_swizzle_b32 v51, v3 offset:swizzle(BROADCAST,32,15)
	s_waitcnt lgkmcnt(0)
	v_cndmask_b32_e64 v51, v51, 0, s4
	v_add_nc_u32_e32 v3, v3, v51
	s_and_saveexec_b32 s13, s5
	s_cbranch_execz .LBB140_29
; %bb.28:                               ;   in Loop: Header=BB140_19 Depth=1
	ds_store_b32 v43, v3
.LBB140_29:                             ;   in Loop: Header=BB140_19 Depth=1
	s_or_b32 exec_lo, exec_lo, s13
	s_waitcnt lgkmcnt(0)
	s_barrier
	buffer_gl0_inv
	s_and_saveexec_b32 s13, s6
	s_cbranch_execz .LBB140_31
; %bb.30:                               ;   in Loop: Header=BB140_19 Depth=1
	ds_load_b32 v51, v49
	s_waitcnt lgkmcnt(0)
	v_mov_b32_dpp v52, v51 row_shr:1 row_mask:0xf bank_mask:0xf
	s_delay_alu instid0(VALU_DEP_1) | instskip(NEXT) | instid1(VALU_DEP_1)
	v_cndmask_b32_e64 v52, v52, 0, s10
	v_add_nc_u32_e32 v51, v52, v51
	s_delay_alu instid0(VALU_DEP_1) | instskip(NEXT) | instid1(VALU_DEP_1)
	v_mov_b32_dpp v52, v51 row_shr:2 row_mask:0xf bank_mask:0xf
	v_cndmask_b32_e64 v52, 0, v52, s11
	s_delay_alu instid0(VALU_DEP_1) | instskip(NEXT) | instid1(VALU_DEP_1)
	v_add_nc_u32_e32 v51, v51, v52
	v_mov_b32_dpp v52, v51 row_shr:4 row_mask:0xf bank_mask:0xf
	s_delay_alu instid0(VALU_DEP_1) | instskip(NEXT) | instid1(VALU_DEP_1)
	v_cndmask_b32_e64 v52, 0, v52, s12
	v_add_nc_u32_e32 v51, v51, v52
	ds_store_b32 v49, v51
.LBB140_31:                             ;   in Loop: Header=BB140_19 Depth=1
	s_or_b32 exec_lo, exec_lo, s13
	v_mov_b32_e32 v51, 0
	s_waitcnt lgkmcnt(0)
	s_barrier
	buffer_gl0_inv
	s_and_saveexec_b32 s13, s7
	s_cbranch_execz .LBB140_33
; %bb.32:                               ;   in Loop: Header=BB140_19 Depth=1
	ds_load_b32 v51, v44
.LBB140_33:                             ;   in Loop: Header=BB140_19 Depth=1
	s_or_b32 exec_lo, exec_lo, s13
	s_waitcnt lgkmcnt(0)
	v_add_nc_u32_e32 v3, v51, v3
	s_add_i32 s16, s16, 8
	s_delay_alu instid0(SALU_CYCLE_1) | instskip(SKIP_3) | instid1(VALU_DEP_1)
	s_cmp_ge_u32 s16, s20
	ds_bpermute_b32 v3, v42, v3
	s_waitcnt lgkmcnt(0)
	v_cndmask_b32_e64 v3, v3, v51, s8
	v_cndmask_b32_e64 v3, v3, 0, s9
	s_delay_alu instid0(VALU_DEP_1) | instskip(NEXT) | instid1(VALU_DEP_1)
	v_add_nc_u32_e32 v4, v3, v4
	v_add_nc_u32_e32 v5, v4, v5
	s_delay_alu instid0(VALU_DEP_1) | instskip(NEXT) | instid1(VALU_DEP_1)
	v_add_nc_u32_e32 v6, v5, v6
	v_add_nc_u32_e32 v51, v6, v7
	;; [unrolled: 3-line block ×3, first 2 shown]
	s_delay_alu instid0(VALU_DEP_1)
	v_add_nc_u32_e32 v1, v0, v2
	ds_store_2addr_b64 v40, v[3:4], v[5:6] offset0:4 offset1:5
	ds_store_2addr_b64 v8, v[51:52], v[0:1] offset0:2 offset1:3
	s_waitcnt lgkmcnt(0)
	s_barrier
	buffer_gl0_inv
	ds_load_b32 v0, v34
	ds_load_b32 v1, v37
	;; [unrolled: 1-line block ×4, first 2 shown]
	v_lshlrev_b32_e32 v4, 3, v30
	v_lshlrev_b32_e32 v5, 3, v33
	;; [unrolled: 1-line block ×7, first 2 shown]
	s_waitcnt lgkmcnt(0)
	v_lshlrev_b32_e32 v7, 3, v0
	v_lshlrev_b32_e32 v1, 3, v1
	;; [unrolled: 1-line block ×3, first 2 shown]
	v_lshl_add_u32 v0, v3, 3, v4
	s_delay_alu instid0(VALU_DEP_4) | instskip(NEXT) | instid1(VALU_DEP_4)
	v_add3_u32 v7, v5, v6, v7
	v_add3_u32 v50, v30, v31, v1
	s_delay_alu instid0(VALU_DEP_4)
	v_add3_u32 v51, v32, v33, v2
	s_cbranch_scc0 .LBB140_18
; %bb.34:
                                        ; implicit-def: $vgpr5_vgpr6
                                        ; implicit-def: $vgpr3_vgpr4
                                        ; implicit-def: $vgpr1_vgpr2
                                        ; implicit-def: $vgpr38_vgpr39
                                        ; implicit-def: $sgpr16
                                        ; implicit-def: $vgpr30_vgpr31
                                        ; implicit-def: $vgpr32_vgpr33
                                        ; implicit-def: $vgpr34_vgpr35
                                        ; implicit-def: $vgpr36_vgpr37
.LBB140_35:
	s_barrier
	buffer_gl0_inv
	ds_store_b64 v0, v[14:15]
	ds_store_b64 v7, v[28:29]
	;; [unrolled: 1-line block ×3, first 2 shown]
	v_lshlrev_b32_e32 v26, 3, v9
	ds_store_b64 v51, v[24:25]
	s_waitcnt lgkmcnt(0)
	s_barrier
	buffer_gl0_inv
	ds_load_2addr_stride64_b64 v[10:13], v26 offset1:4
	ds_load_2addr_stride64_b64 v[27:30], v26 offset0:8 offset1:12
	s_waitcnt lgkmcnt(0)
	s_barrier
	buffer_gl0_inv
	ds_store_b64 v0, v[22:23]
	ds_store_b64 v7, v[20:21]
	;; [unrolled: 1-line block ×4, first 2 shown]
	s_waitcnt lgkmcnt(0)
	s_barrier
	buffer_gl0_inv
	ds_load_2addr_stride64_b64 v[4:7], v26 offset1:4
	ds_load_2addr_stride64_b64 v[0:3], v26 offset0:8 offset1:12
	s_add_u32 s0, s18, s24
	s_addc_u32 s1, s19, s25
	s_mov_b32 s3, 0
	v_cmp_gt_i64_e32 vcc_lo, 0, v[10:11]
	v_ashrrev_i32_e32 v8, 31, v11
	v_ashrrev_i32_e32 v14, 31, v13
	;; [unrolled: 1-line block ×3, first 2 shown]
	v_cndmask_b32_e64 v15, 0x7fffffff, 0, vcc_lo
	v_cmp_gt_i64_e32 vcc_lo, 0, v[12:13]
	v_not_b32_e32 v8, v8
	v_not_b32_e32 v14, v14
	s_delay_alu instid0(VALU_DEP_4)
	v_xor_b32_e32 v19, v15, v11
	v_cndmask_b32_e64 v16, 0x7fffffff, 0, vcc_lo
	v_cmp_gt_i64_e32 vcc_lo, 0, v[27:28]
	v_xor_b32_e32 v18, v8, v10
	v_xor_b32_e32 v10, v14, v12
	v_ashrrev_i32_e32 v8, 31, v30
	v_xor_b32_e32 v11, v16, v13
	v_not_b32_e32 v13, v17
	v_cndmask_b32_e64 v12, 0x7fffffff, 0, vcc_lo
	v_cmp_gt_i64_e32 vcc_lo, 0, v[29:30]
	v_not_b32_e32 v8, v8
	s_delay_alu instid0(VALU_DEP_4) | instskip(NEXT) | instid1(VALU_DEP_4)
	v_xor_b32_e32 v14, v13, v27
	v_xor_b32_e32 v15, v12, v28
	v_cndmask_b32_e64 v16, 0x7fffffff, 0, vcc_lo
	s_delay_alu instid0(VALU_DEP_4) | instskip(SKIP_1) | instid1(VALU_DEP_2)
	v_xor_b32_e32 v12, v8, v29
	s_and_not1_b32 vcc_lo, exec_lo, s26
	v_xor_b32_e32 v13, v16, v30
	v_add_co_u32 v16, s0, s0, v26
	s_delay_alu instid0(VALU_DEP_1)
	v_add_co_ci_u32_e64 v17, null, s1, 0, s0
	s_mov_b32 s0, -1
	s_cbranch_vccz .LBB140_39
; %bb.36:
	s_and_not1_b32 vcc_lo, exec_lo, s0
	s_cbranch_vccz .LBB140_40
.LBB140_37:
	s_and_saveexec_b32 s0, s3
	s_cbranch_execnz .LBB140_53
.LBB140_38:
	s_nop 0
	s_sendmsg sendmsg(MSG_DEALLOC_VGPRS)
	s_endpgm
.LBB140_39:
	s_add_u32 s2, s22, s24
	s_addc_u32 s3, s23, s25
	v_add_co_u32 v8, s1, s2, v26
	s_delay_alu instid0(VALU_DEP_1) | instskip(SKIP_2) | instid1(VALU_DEP_4)
	v_add_co_ci_u32_e64 v23, null, s3, 0, s1
	v_add_co_u32 v20, vcc_lo, 0x1000, v16
	v_add_co_ci_u32_e32 v21, vcc_lo, 0, v17, vcc_lo
	v_add_co_u32 v22, vcc_lo, 0x1000, v8
	s_delay_alu instid0(VALU_DEP_4)
	v_add_co_ci_u32_e32 v23, vcc_lo, 0, v23, vcc_lo
	s_clause 0x1
	global_store_b64 v[16:17], v[18:19], off
	global_store_b64 v[16:17], v[10:11], off offset:2048
	s_clause 0x1
	global_store_b64 v[20:21], v[14:15], off
	global_store_b64 v[20:21], v[12:13], off offset:2048
	s_waitcnt lgkmcnt(1)
	s_clause 0x1
	global_store_b64 v26, v[4:5], s[2:3]
	global_store_b64 v26, v[6:7], s[2:3] offset:2048
	s_mov_b32 s3, -1
	s_waitcnt lgkmcnt(0)
	global_store_b64 v[22:23], v[0:1], off
	s_cbranch_execnz .LBB140_37
.LBB140_40:
	v_cmp_gt_u32_e32 vcc_lo, s27, v9
	s_and_saveexec_b32 s0, vcc_lo
	s_cbranch_execz .LBB140_42
; %bb.41:
	global_store_b64 v[16:17], v[18:19], off
.LBB140_42:
	s_or_b32 exec_lo, exec_lo, s0
	v_add_nc_u32_e32 v8, 0x100, v9
	s_delay_alu instid0(VALU_DEP_1) | instskip(NEXT) | instid1(VALU_DEP_1)
	v_cmp_gt_u32_e64 s0, s27, v8
	s_and_saveexec_b32 s1, s0
	s_cbranch_execz .LBB140_44
; %bb.43:
	global_store_b64 v[16:17], v[10:11], off offset:2048
.LBB140_44:
	s_or_b32 exec_lo, exec_lo, s1
	v_add_nc_u32_e32 v8, 0x200, v9
	s_delay_alu instid0(VALU_DEP_1) | instskip(NEXT) | instid1(VALU_DEP_1)
	v_cmp_gt_u32_e64 s1, s27, v8
	s_and_saveexec_b32 s3, s1
	s_cbranch_execz .LBB140_46
; %bb.45:
	v_add_co_u32 v10, s2, 0x1000, v16
	s_delay_alu instid0(VALU_DEP_1)
	v_add_co_ci_u32_e64 v11, s2, 0, v17, s2
	global_store_b64 v[10:11], v[14:15], off
.LBB140_46:
	s_or_b32 exec_lo, exec_lo, s3
	v_add_nc_u32_e32 v8, 0x300, v9
	s_delay_alu instid0(VALU_DEP_1) | instskip(NEXT) | instid1(VALU_DEP_1)
	v_cmp_gt_u32_e64 s3, s27, v8
	s_and_saveexec_b32 s4, s3
	s_cbranch_execz .LBB140_48
; %bb.47:
	v_add_co_u32 v8, s2, 0x1000, v16
	s_delay_alu instid0(VALU_DEP_1)
	v_add_co_ci_u32_e64 v9, s2, 0, v17, s2
	global_store_b64 v[8:9], v[12:13], off offset:2048
.LBB140_48:
	s_or_b32 exec_lo, exec_lo, s4
	s_add_u32 s2, s22, s24
	s_addc_u32 s4, s23, s25
	v_add_co_u32 v8, s2, s2, v26
	s_delay_alu instid0(VALU_DEP_1)
	v_add_co_ci_u32_e64 v9, null, s4, 0, s2
	s_and_saveexec_b32 s2, vcc_lo
	s_cbranch_execnz .LBB140_57
; %bb.49:
	s_or_b32 exec_lo, exec_lo, s2
	s_and_saveexec_b32 s2, s0
	s_cbranch_execnz .LBB140_58
.LBB140_50:
	s_or_b32 exec_lo, exec_lo, s2
	s_and_saveexec_b32 s0, s1
	s_cbranch_execz .LBB140_52
.LBB140_51:
	s_waitcnt lgkmcnt(1)
	v_add_co_u32 v4, vcc_lo, 0x1000, v8
	v_add_co_ci_u32_e32 v5, vcc_lo, 0, v9, vcc_lo
	s_waitcnt lgkmcnt(0)
	global_store_b64 v[4:5], v[0:1], off
.LBB140_52:
	s_or_b32 exec_lo, exec_lo, s0
	s_and_saveexec_b32 s0, s3
	s_cbranch_execz .LBB140_38
.LBB140_53:
	s_add_u32 s0, s22, s24
	s_addc_u32 s1, s23, s25
	s_waitcnt lgkmcnt(0)
	v_add_co_u32 v0, s0, s0, v26
	s_delay_alu instid0(VALU_DEP_1) | instskip(NEXT) | instid1(VALU_DEP_2)
	v_add_co_ci_u32_e64 v1, null, s1, 0, s0
	v_add_co_u32 v0, vcc_lo, 0x1000, v0
	s_delay_alu instid0(VALU_DEP_2)
	v_add_co_ci_u32_e32 v1, vcc_lo, 0, v1, vcc_lo
	global_store_b64 v[0:1], v[2:3], off offset:2048
	s_nop 0
	s_sendmsg sendmsg(MSG_DEALLOC_VGPRS)
	s_endpgm
.LBB140_54:
	global_load_b64 v[30:31], v[10:11], off
	s_or_b32 exec_lo, exec_lo, s5
                                        ; implicit-def: $vgpr32_vgpr33
	s_and_saveexec_b32 s5, s2
	s_cbranch_execz .LBB140_13
.LBB140_55:
	global_load_b64 v[32:33], v[10:11], off offset:256
	s_or_b32 exec_lo, exec_lo, s5
                                        ; implicit-def: $vgpr34_vgpr35
	s_and_saveexec_b32 s2, s3
	s_cbranch_execz .LBB140_14
.LBB140_56:
	global_load_b64 v[34:35], v[10:11], off offset:512
	s_or_b32 exec_lo, exec_lo, s2
                                        ; implicit-def: $vgpr36_vgpr37
	s_and_saveexec_b32 s2, s4
	s_cbranch_execnz .LBB140_15
	s_branch .LBB140_16
.LBB140_57:
	s_waitcnt lgkmcnt(1)
	global_store_b64 v[8:9], v[4:5], off
	s_or_b32 exec_lo, exec_lo, s2
	s_and_saveexec_b32 s2, s0
	s_cbranch_execz .LBB140_50
.LBB140_58:
	s_waitcnt lgkmcnt(1)
	global_store_b64 v[8:9], v[6:7], off offset:2048
	s_or_b32 exec_lo, exec_lo, s2
	s_and_saveexec_b32 s0, s1
	s_cbranch_execnz .LBB140_51
	s_branch .LBB140_52
	.section	.rodata,"a",@progbits
	.p2align	6, 0x0
	.amdhsa_kernel _ZN7rocprim17ROCPRIM_304000_NS6detail28radix_sort_block_sort_kernelINS1_36wrapped_radix_sort_block_sort_configINS0_13kernel_configILj256ELj4ELj4294967295EEEdN2at4cuda3cub6detail10OpaqueTypeILi8EEEEELb1EPKdPdPKSB_PSB_NS0_19identity_decomposerEEEvT1_T2_T3_T4_jT5_jj
		.amdhsa_group_segment_fixed_size 8224
		.amdhsa_private_segment_fixed_size 0
		.amdhsa_kernarg_size 304
		.amdhsa_user_sgpr_count 15
		.amdhsa_user_sgpr_dispatch_ptr 0
		.amdhsa_user_sgpr_queue_ptr 0
		.amdhsa_user_sgpr_kernarg_segment_ptr 1
		.amdhsa_user_sgpr_dispatch_id 0
		.amdhsa_user_sgpr_private_segment_size 0
		.amdhsa_wavefront_size32 1
		.amdhsa_uses_dynamic_stack 0
		.amdhsa_enable_private_segment 0
		.amdhsa_system_sgpr_workgroup_id_x 1
		.amdhsa_system_sgpr_workgroup_id_y 0
		.amdhsa_system_sgpr_workgroup_id_z 0
		.amdhsa_system_sgpr_workgroup_info 0
		.amdhsa_system_vgpr_workitem_id 2
		.amdhsa_next_free_vgpr 53
		.amdhsa_next_free_sgpr 29
		.amdhsa_reserve_vcc 1
		.amdhsa_float_round_mode_32 0
		.amdhsa_float_round_mode_16_64 0
		.amdhsa_float_denorm_mode_32 3
		.amdhsa_float_denorm_mode_16_64 3
		.amdhsa_dx10_clamp 1
		.amdhsa_ieee_mode 1
		.amdhsa_fp16_overflow 0
		.amdhsa_workgroup_processor_mode 1
		.amdhsa_memory_ordered 1
		.amdhsa_forward_progress 0
		.amdhsa_shared_vgpr_count 0
		.amdhsa_exception_fp_ieee_invalid_op 0
		.amdhsa_exception_fp_denorm_src 0
		.amdhsa_exception_fp_ieee_div_zero 0
		.amdhsa_exception_fp_ieee_overflow 0
		.amdhsa_exception_fp_ieee_underflow 0
		.amdhsa_exception_fp_ieee_inexact 0
		.amdhsa_exception_int_div_zero 0
	.end_amdhsa_kernel
	.section	.text._ZN7rocprim17ROCPRIM_304000_NS6detail28radix_sort_block_sort_kernelINS1_36wrapped_radix_sort_block_sort_configINS0_13kernel_configILj256ELj4ELj4294967295EEEdN2at4cuda3cub6detail10OpaqueTypeILi8EEEEELb1EPKdPdPKSB_PSB_NS0_19identity_decomposerEEEvT1_T2_T3_T4_jT5_jj,"axG",@progbits,_ZN7rocprim17ROCPRIM_304000_NS6detail28radix_sort_block_sort_kernelINS1_36wrapped_radix_sort_block_sort_configINS0_13kernel_configILj256ELj4ELj4294967295EEEdN2at4cuda3cub6detail10OpaqueTypeILi8EEEEELb1EPKdPdPKSB_PSB_NS0_19identity_decomposerEEEvT1_T2_T3_T4_jT5_jj,comdat
.Lfunc_end140:
	.size	_ZN7rocprim17ROCPRIM_304000_NS6detail28radix_sort_block_sort_kernelINS1_36wrapped_radix_sort_block_sort_configINS0_13kernel_configILj256ELj4ELj4294967295EEEdN2at4cuda3cub6detail10OpaqueTypeILi8EEEEELb1EPKdPdPKSB_PSB_NS0_19identity_decomposerEEEvT1_T2_T3_T4_jT5_jj, .Lfunc_end140-_ZN7rocprim17ROCPRIM_304000_NS6detail28radix_sort_block_sort_kernelINS1_36wrapped_radix_sort_block_sort_configINS0_13kernel_configILj256ELj4ELj4294967295EEEdN2at4cuda3cub6detail10OpaqueTypeILi8EEEEELb1EPKdPdPKSB_PSB_NS0_19identity_decomposerEEEvT1_T2_T3_T4_jT5_jj
                                        ; -- End function
	.section	.AMDGPU.csdata,"",@progbits
; Kernel info:
; codeLenInByte = 4460
; NumSgprs: 31
; NumVgprs: 53
; ScratchSize: 0
; MemoryBound: 1
; FloatMode: 240
; IeeeMode: 1
; LDSByteSize: 8224 bytes/workgroup (compile time only)
; SGPRBlocks: 3
; VGPRBlocks: 6
; NumSGPRsForWavesPerEU: 31
; NumVGPRsForWavesPerEU: 53
; Occupancy: 16
; WaveLimiterHint : 1
; COMPUTE_PGM_RSRC2:SCRATCH_EN: 0
; COMPUTE_PGM_RSRC2:USER_SGPR: 15
; COMPUTE_PGM_RSRC2:TRAP_HANDLER: 0
; COMPUTE_PGM_RSRC2:TGID_X_EN: 1
; COMPUTE_PGM_RSRC2:TGID_Y_EN: 0
; COMPUTE_PGM_RSRC2:TGID_Z_EN: 0
; COMPUTE_PGM_RSRC2:TIDIG_COMP_CNT: 2
	.section	.text._ZN7rocprim17ROCPRIM_304000_NS6detail39device_merge_sort_compile_time_verifierINS1_36wrapped_merge_sort_block_sort_configINS1_28merge_sort_block_sort_configILj256ELj4ELNS0_20block_sort_algorithmE0EEEdN2at4cuda3cub6detail10OpaqueTypeILi8EEEEENS1_37wrapped_merge_sort_block_merge_configINS0_14default_configEdSC_EEEEvv,"axG",@progbits,_ZN7rocprim17ROCPRIM_304000_NS6detail39device_merge_sort_compile_time_verifierINS1_36wrapped_merge_sort_block_sort_configINS1_28merge_sort_block_sort_configILj256ELj4ELNS0_20block_sort_algorithmE0EEEdN2at4cuda3cub6detail10OpaqueTypeILi8EEEEENS1_37wrapped_merge_sort_block_merge_configINS0_14default_configEdSC_EEEEvv,comdat
	.protected	_ZN7rocprim17ROCPRIM_304000_NS6detail39device_merge_sort_compile_time_verifierINS1_36wrapped_merge_sort_block_sort_configINS1_28merge_sort_block_sort_configILj256ELj4ELNS0_20block_sort_algorithmE0EEEdN2at4cuda3cub6detail10OpaqueTypeILi8EEEEENS1_37wrapped_merge_sort_block_merge_configINS0_14default_configEdSC_EEEEvv ; -- Begin function _ZN7rocprim17ROCPRIM_304000_NS6detail39device_merge_sort_compile_time_verifierINS1_36wrapped_merge_sort_block_sort_configINS1_28merge_sort_block_sort_configILj256ELj4ELNS0_20block_sort_algorithmE0EEEdN2at4cuda3cub6detail10OpaqueTypeILi8EEEEENS1_37wrapped_merge_sort_block_merge_configINS0_14default_configEdSC_EEEEvv
	.globl	_ZN7rocprim17ROCPRIM_304000_NS6detail39device_merge_sort_compile_time_verifierINS1_36wrapped_merge_sort_block_sort_configINS1_28merge_sort_block_sort_configILj256ELj4ELNS0_20block_sort_algorithmE0EEEdN2at4cuda3cub6detail10OpaqueTypeILi8EEEEENS1_37wrapped_merge_sort_block_merge_configINS0_14default_configEdSC_EEEEvv
	.p2align	8
	.type	_ZN7rocprim17ROCPRIM_304000_NS6detail39device_merge_sort_compile_time_verifierINS1_36wrapped_merge_sort_block_sort_configINS1_28merge_sort_block_sort_configILj256ELj4ELNS0_20block_sort_algorithmE0EEEdN2at4cuda3cub6detail10OpaqueTypeILi8EEEEENS1_37wrapped_merge_sort_block_merge_configINS0_14default_configEdSC_EEEEvv,@function
_ZN7rocprim17ROCPRIM_304000_NS6detail39device_merge_sort_compile_time_verifierINS1_36wrapped_merge_sort_block_sort_configINS1_28merge_sort_block_sort_configILj256ELj4ELNS0_20block_sort_algorithmE0EEEdN2at4cuda3cub6detail10OpaqueTypeILi8EEEEENS1_37wrapped_merge_sort_block_merge_configINS0_14default_configEdSC_EEEEvv: ; @_ZN7rocprim17ROCPRIM_304000_NS6detail39device_merge_sort_compile_time_verifierINS1_36wrapped_merge_sort_block_sort_configINS1_28merge_sort_block_sort_configILj256ELj4ELNS0_20block_sort_algorithmE0EEEdN2at4cuda3cub6detail10OpaqueTypeILi8EEEEENS1_37wrapped_merge_sort_block_merge_configINS0_14default_configEdSC_EEEEvv
; %bb.0:
	s_endpgm
	.section	.rodata,"a",@progbits
	.p2align	6, 0x0
	.amdhsa_kernel _ZN7rocprim17ROCPRIM_304000_NS6detail39device_merge_sort_compile_time_verifierINS1_36wrapped_merge_sort_block_sort_configINS1_28merge_sort_block_sort_configILj256ELj4ELNS0_20block_sort_algorithmE0EEEdN2at4cuda3cub6detail10OpaqueTypeILi8EEEEENS1_37wrapped_merge_sort_block_merge_configINS0_14default_configEdSC_EEEEvv
		.amdhsa_group_segment_fixed_size 0
		.amdhsa_private_segment_fixed_size 0
		.amdhsa_kernarg_size 0
		.amdhsa_user_sgpr_count 15
		.amdhsa_user_sgpr_dispatch_ptr 0
		.amdhsa_user_sgpr_queue_ptr 0
		.amdhsa_user_sgpr_kernarg_segment_ptr 0
		.amdhsa_user_sgpr_dispatch_id 0
		.amdhsa_user_sgpr_private_segment_size 0
		.amdhsa_wavefront_size32 1
		.amdhsa_uses_dynamic_stack 0
		.amdhsa_enable_private_segment 0
		.amdhsa_system_sgpr_workgroup_id_x 1
		.amdhsa_system_sgpr_workgroup_id_y 0
		.amdhsa_system_sgpr_workgroup_id_z 0
		.amdhsa_system_sgpr_workgroup_info 0
		.amdhsa_system_vgpr_workitem_id 0
		.amdhsa_next_free_vgpr 1
		.amdhsa_next_free_sgpr 1
		.amdhsa_reserve_vcc 0
		.amdhsa_float_round_mode_32 0
		.amdhsa_float_round_mode_16_64 0
		.amdhsa_float_denorm_mode_32 3
		.amdhsa_float_denorm_mode_16_64 3
		.amdhsa_dx10_clamp 1
		.amdhsa_ieee_mode 1
		.amdhsa_fp16_overflow 0
		.amdhsa_workgroup_processor_mode 1
		.amdhsa_memory_ordered 1
		.amdhsa_forward_progress 0
		.amdhsa_shared_vgpr_count 0
		.amdhsa_exception_fp_ieee_invalid_op 0
		.amdhsa_exception_fp_denorm_src 0
		.amdhsa_exception_fp_ieee_div_zero 0
		.amdhsa_exception_fp_ieee_overflow 0
		.amdhsa_exception_fp_ieee_underflow 0
		.amdhsa_exception_fp_ieee_inexact 0
		.amdhsa_exception_int_div_zero 0
	.end_amdhsa_kernel
	.section	.text._ZN7rocprim17ROCPRIM_304000_NS6detail39device_merge_sort_compile_time_verifierINS1_36wrapped_merge_sort_block_sort_configINS1_28merge_sort_block_sort_configILj256ELj4ELNS0_20block_sort_algorithmE0EEEdN2at4cuda3cub6detail10OpaqueTypeILi8EEEEENS1_37wrapped_merge_sort_block_merge_configINS0_14default_configEdSC_EEEEvv,"axG",@progbits,_ZN7rocprim17ROCPRIM_304000_NS6detail39device_merge_sort_compile_time_verifierINS1_36wrapped_merge_sort_block_sort_configINS1_28merge_sort_block_sort_configILj256ELj4ELNS0_20block_sort_algorithmE0EEEdN2at4cuda3cub6detail10OpaqueTypeILi8EEEEENS1_37wrapped_merge_sort_block_merge_configINS0_14default_configEdSC_EEEEvv,comdat
.Lfunc_end141:
	.size	_ZN7rocprim17ROCPRIM_304000_NS6detail39device_merge_sort_compile_time_verifierINS1_36wrapped_merge_sort_block_sort_configINS1_28merge_sort_block_sort_configILj256ELj4ELNS0_20block_sort_algorithmE0EEEdN2at4cuda3cub6detail10OpaqueTypeILi8EEEEENS1_37wrapped_merge_sort_block_merge_configINS0_14default_configEdSC_EEEEvv, .Lfunc_end141-_ZN7rocprim17ROCPRIM_304000_NS6detail39device_merge_sort_compile_time_verifierINS1_36wrapped_merge_sort_block_sort_configINS1_28merge_sort_block_sort_configILj256ELj4ELNS0_20block_sort_algorithmE0EEEdN2at4cuda3cub6detail10OpaqueTypeILi8EEEEENS1_37wrapped_merge_sort_block_merge_configINS0_14default_configEdSC_EEEEvv
                                        ; -- End function
	.section	.AMDGPU.csdata,"",@progbits
; Kernel info:
; codeLenInByte = 4
; NumSgprs: 0
; NumVgprs: 0
; ScratchSize: 0
; MemoryBound: 0
; FloatMode: 240
; IeeeMode: 1
; LDSByteSize: 0 bytes/workgroup (compile time only)
; SGPRBlocks: 0
; VGPRBlocks: 0
; NumSGPRsForWavesPerEU: 1
; NumVGPRsForWavesPerEU: 1
; Occupancy: 16
; WaveLimiterHint : 0
; COMPUTE_PGM_RSRC2:SCRATCH_EN: 0
; COMPUTE_PGM_RSRC2:USER_SGPR: 15
; COMPUTE_PGM_RSRC2:TRAP_HANDLER: 0
; COMPUTE_PGM_RSRC2:TGID_X_EN: 1
; COMPUTE_PGM_RSRC2:TGID_Y_EN: 0
; COMPUTE_PGM_RSRC2:TGID_Z_EN: 0
; COMPUTE_PGM_RSRC2:TIDIG_COMP_CNT: 0
	.section	.text._ZN7rocprim17ROCPRIM_304000_NS6detail45device_block_merge_mergepath_partition_kernelINS1_37wrapped_merge_sort_block_merge_configINS0_14default_configEdN2at4cuda3cub6detail10OpaqueTypeILi8EEEEEPdjNS1_19radix_merge_compareILb1ELb0EdNS0_19identity_decomposerEEEEEvT0_T1_jPSH_T2_SH_,"axG",@progbits,_ZN7rocprim17ROCPRIM_304000_NS6detail45device_block_merge_mergepath_partition_kernelINS1_37wrapped_merge_sort_block_merge_configINS0_14default_configEdN2at4cuda3cub6detail10OpaqueTypeILi8EEEEEPdjNS1_19radix_merge_compareILb1ELb0EdNS0_19identity_decomposerEEEEEvT0_T1_jPSH_T2_SH_,comdat
	.protected	_ZN7rocprim17ROCPRIM_304000_NS6detail45device_block_merge_mergepath_partition_kernelINS1_37wrapped_merge_sort_block_merge_configINS0_14default_configEdN2at4cuda3cub6detail10OpaqueTypeILi8EEEEEPdjNS1_19radix_merge_compareILb1ELb0EdNS0_19identity_decomposerEEEEEvT0_T1_jPSH_T2_SH_ ; -- Begin function _ZN7rocprim17ROCPRIM_304000_NS6detail45device_block_merge_mergepath_partition_kernelINS1_37wrapped_merge_sort_block_merge_configINS0_14default_configEdN2at4cuda3cub6detail10OpaqueTypeILi8EEEEEPdjNS1_19radix_merge_compareILb1ELb0EdNS0_19identity_decomposerEEEEEvT0_T1_jPSH_T2_SH_
	.globl	_ZN7rocprim17ROCPRIM_304000_NS6detail45device_block_merge_mergepath_partition_kernelINS1_37wrapped_merge_sort_block_merge_configINS0_14default_configEdN2at4cuda3cub6detail10OpaqueTypeILi8EEEEEPdjNS1_19radix_merge_compareILb1ELb0EdNS0_19identity_decomposerEEEEEvT0_T1_jPSH_T2_SH_
	.p2align	8
	.type	_ZN7rocprim17ROCPRIM_304000_NS6detail45device_block_merge_mergepath_partition_kernelINS1_37wrapped_merge_sort_block_merge_configINS0_14default_configEdN2at4cuda3cub6detail10OpaqueTypeILi8EEEEEPdjNS1_19radix_merge_compareILb1ELb0EdNS0_19identity_decomposerEEEEEvT0_T1_jPSH_T2_SH_,@function
_ZN7rocprim17ROCPRIM_304000_NS6detail45device_block_merge_mergepath_partition_kernelINS1_37wrapped_merge_sort_block_merge_configINS0_14default_configEdN2at4cuda3cub6detail10OpaqueTypeILi8EEEEEPdjNS1_19radix_merge_compareILb1ELb0EdNS0_19identity_decomposerEEEEEvT0_T1_jPSH_T2_SH_: ; @_ZN7rocprim17ROCPRIM_304000_NS6detail45device_block_merge_mergepath_partition_kernelINS1_37wrapped_merge_sort_block_merge_configINS0_14default_configEdN2at4cuda3cub6detail10OpaqueTypeILi8EEEEEPdjNS1_19radix_merge_compareILb1ELb0EdNS0_19identity_decomposerEEEEEvT0_T1_jPSH_T2_SH_
; %bb.0:
	s_load_b64 s[2:3], s[0:1], 0x8
	v_lshl_or_b32 v0, s15, 7, v0
	s_waitcnt lgkmcnt(0)
	s_delay_alu instid0(VALU_DEP_1)
	v_cmp_gt_u32_e32 vcc_lo, s3, v0
	s_and_saveexec_b32 s3, vcc_lo
	s_cbranch_execz .LBB142_6
; %bb.1:
	s_load_b32 s3, s[0:1], 0x1c
	s_waitcnt lgkmcnt(0)
	s_lshr_b32 s4, s3, 9
	s_delay_alu instid0(SALU_CYCLE_1) | instskip(NEXT) | instid1(SALU_CYCLE_1)
	s_and_b32 s4, s4, 0x7ffffe
	s_sub_i32 s5, 0, s4
	s_add_i32 s4, s4, -1
	v_and_b32_e32 v1, s5, v0
	v_and_b32_e32 v5, s4, v0
	s_mov_b32 s4, 0
	s_delay_alu instid0(VALU_DEP_2) | instskip(NEXT) | instid1(VALU_DEP_1)
	v_lshlrev_b32_e32 v1, 10, v1
	v_add_nc_u32_e32 v2, s3, v1
	s_delay_alu instid0(VALU_DEP_1) | instskip(SKIP_1) | instid1(VALU_DEP_2)
	v_min_u32_e32 v4, s2, v2
	v_min_u32_e32 v2, s2, v1
	v_add_nc_u32_e32 v3, s3, v4
	s_mov_b32 s3, exec_lo
	s_delay_alu instid0(VALU_DEP_1) | instskip(SKIP_1) | instid1(VALU_DEP_2)
	v_min_u32_e32 v1, s2, v3
	v_lshlrev_b32_e32 v3, 10, v5
	v_sub_nc_u32_e32 v5, v1, v2
	v_sub_nc_u32_e32 v6, v1, v4
	s_delay_alu instid0(VALU_DEP_2) | instskip(SKIP_1) | instid1(VALU_DEP_2)
	v_min_u32_e32 v1, v5, v3
	v_sub_nc_u32_e32 v3, v4, v2
	v_sub_nc_u32_e64 v6, v1, v6 clamp
	s_delay_alu instid0(VALU_DEP_2) | instskip(NEXT) | instid1(VALU_DEP_1)
	v_min_u32_e32 v7, v1, v3
	v_cmpx_lt_u32_e64 v6, v7
	s_cbranch_execz .LBB142_5
; %bb.2:
	s_load_b64 s[6:7], s[0:1], 0x0
	v_mov_b32_e32 v5, 0
	s_brev_b32 s5, 1
	s_delay_alu instid0(VALU_DEP_1) | instskip(SKIP_1) | instid1(VALU_DEP_2)
	v_mov_b32_e32 v3, v5
	v_lshlrev_b64 v[10:11], 3, v[4:5]
	v_lshlrev_b64 v[8:9], 3, v[2:3]
	s_waitcnt lgkmcnt(0)
	s_delay_alu instid0(VALU_DEP_1) | instskip(NEXT) | instid1(VALU_DEP_2)
	v_add_co_u32 v3, vcc_lo, s6, v8
	v_add_co_ci_u32_e32 v8, vcc_lo, s7, v9, vcc_lo
	s_delay_alu instid0(VALU_DEP_4)
	v_add_co_u32 v9, vcc_lo, s6, v10
	v_add_co_ci_u32_e32 v10, vcc_lo, s7, v11, vcc_lo
	s_mov_b32 s6, s4
.LBB142_3:                              ; =>This Inner Loop Header: Depth=1
	v_add_nc_u32_e32 v4, v7, v6
	s_delay_alu instid0(VALU_DEP_1) | instskip(SKIP_1) | instid1(VALU_DEP_2)
	v_lshrrev_b32_e32 v4, 1, v4
	v_mov_b32_e32 v12, v5
	v_xad_u32 v11, v4, -1, v1
	v_lshlrev_b64 v[13:14], 3, v[4:5]
	s_delay_alu instid0(VALU_DEP_2) | instskip(NEXT) | instid1(VALU_DEP_2)
	v_lshlrev_b64 v[11:12], 3, v[11:12]
	v_add_co_u32 v13, vcc_lo, v3, v13
	s_delay_alu instid0(VALU_DEP_3) | instskip(NEXT) | instid1(VALU_DEP_3)
	v_add_co_ci_u32_e32 v14, vcc_lo, v8, v14, vcc_lo
	v_add_co_u32 v11, vcc_lo, v9, v11
	s_delay_alu instid0(VALU_DEP_4)
	v_add_co_ci_u32_e32 v12, vcc_lo, v10, v12, vcc_lo
	s_clause 0x1
	global_load_b64 v[13:14], v[13:14], off
	global_load_b64 v[11:12], v[11:12], off
	s_waitcnt vmcnt(1)
	v_cmp_ne_u64_e32 vcc_lo, s[4:5], v[13:14]
	s_waitcnt vmcnt(0)
	v_cmp_ne_u64_e64 s2, s[4:5], v[11:12]
	v_dual_cndmask_b32 v14, 0, v14 :: v_dual_cndmask_b32 v13, 0, v13
	s_delay_alu instid0(VALU_DEP_2) | instskip(SKIP_1) | instid1(VALU_DEP_3)
	v_cndmask_b32_e64 v12, 0, v12, s2
	v_cndmask_b32_e64 v11, 0, v11, s2
	v_ashrrev_i32_e32 v15, 31, v14
	s_delay_alu instid0(VALU_DEP_4) | instskip(NEXT) | instid1(VALU_DEP_4)
	v_cmp_lt_i64_e32 vcc_lo, -1, v[13:14]
	v_ashrrev_i32_e32 v16, 31, v12
	s_delay_alu instid0(VALU_DEP_3) | instskip(SKIP_2) | instid1(VALU_DEP_4)
	v_xor_b32_e32 v13, v15, v13
	v_cndmask_b32_e64 v17, -1, 0x80000000, vcc_lo
	v_cmp_lt_i64_e32 vcc_lo, -1, v[11:12]
	v_xor_b32_e32 v11, v16, v11
	s_delay_alu instid0(VALU_DEP_3) | instskip(SKIP_1) | instid1(VALU_DEP_1)
	v_xor_b32_e32 v14, v17, v14
	v_cndmask_b32_e64 v18, -1, 0x80000000, vcc_lo
	v_xor_b32_e32 v12, v18, v12
	s_delay_alu instid0(VALU_DEP_1) | instskip(SKIP_2) | instid1(VALU_DEP_2)
	v_cmp_gt_u64_e32 vcc_lo, v[11:12], v[13:14]
	v_add_nc_u32_e32 v11, 1, v4
	v_cndmask_b32_e32 v7, v7, v4, vcc_lo
	v_cndmask_b32_e32 v6, v11, v6, vcc_lo
	s_delay_alu instid0(VALU_DEP_1) | instskip(SKIP_1) | instid1(SALU_CYCLE_1)
	v_cmp_ge_u32_e32 vcc_lo, v6, v7
	s_or_b32 s6, vcc_lo, s6
	s_and_not1_b32 exec_lo, exec_lo, s6
	s_cbranch_execnz .LBB142_3
; %bb.4:
	s_or_b32 exec_lo, exec_lo, s6
.LBB142_5:
	s_delay_alu instid0(SALU_CYCLE_1) | instskip(SKIP_2) | instid1(VALU_DEP_1)
	s_or_b32 exec_lo, exec_lo, s3
	s_load_b64 s[0:1], s[0:1], 0x10
	v_dual_mov_b32 v1, 0 :: v_dual_add_nc_u32 v2, v6, v2
	v_lshlrev_b64 v[0:1], 2, v[0:1]
	s_waitcnt lgkmcnt(0)
	s_delay_alu instid0(VALU_DEP_1) | instskip(NEXT) | instid1(VALU_DEP_2)
	v_add_co_u32 v0, vcc_lo, s0, v0
	v_add_co_ci_u32_e32 v1, vcc_lo, s1, v1, vcc_lo
	global_store_b32 v[0:1], v2, off
.LBB142_6:
	s_nop 0
	s_sendmsg sendmsg(MSG_DEALLOC_VGPRS)
	s_endpgm
	.section	.rodata,"a",@progbits
	.p2align	6, 0x0
	.amdhsa_kernel _ZN7rocprim17ROCPRIM_304000_NS6detail45device_block_merge_mergepath_partition_kernelINS1_37wrapped_merge_sort_block_merge_configINS0_14default_configEdN2at4cuda3cub6detail10OpaqueTypeILi8EEEEEPdjNS1_19radix_merge_compareILb1ELb0EdNS0_19identity_decomposerEEEEEvT0_T1_jPSH_T2_SH_
		.amdhsa_group_segment_fixed_size 0
		.amdhsa_private_segment_fixed_size 0
		.amdhsa_kernarg_size 32
		.amdhsa_user_sgpr_count 15
		.amdhsa_user_sgpr_dispatch_ptr 0
		.amdhsa_user_sgpr_queue_ptr 0
		.amdhsa_user_sgpr_kernarg_segment_ptr 1
		.amdhsa_user_sgpr_dispatch_id 0
		.amdhsa_user_sgpr_private_segment_size 0
		.amdhsa_wavefront_size32 1
		.amdhsa_uses_dynamic_stack 0
		.amdhsa_enable_private_segment 0
		.amdhsa_system_sgpr_workgroup_id_x 1
		.amdhsa_system_sgpr_workgroup_id_y 0
		.amdhsa_system_sgpr_workgroup_id_z 0
		.amdhsa_system_sgpr_workgroup_info 0
		.amdhsa_system_vgpr_workitem_id 0
		.amdhsa_next_free_vgpr 19
		.amdhsa_next_free_sgpr 16
		.amdhsa_reserve_vcc 1
		.amdhsa_float_round_mode_32 0
		.amdhsa_float_round_mode_16_64 0
		.amdhsa_float_denorm_mode_32 3
		.amdhsa_float_denorm_mode_16_64 3
		.amdhsa_dx10_clamp 1
		.amdhsa_ieee_mode 1
		.amdhsa_fp16_overflow 0
		.amdhsa_workgroup_processor_mode 1
		.amdhsa_memory_ordered 1
		.amdhsa_forward_progress 0
		.amdhsa_shared_vgpr_count 0
		.amdhsa_exception_fp_ieee_invalid_op 0
		.amdhsa_exception_fp_denorm_src 0
		.amdhsa_exception_fp_ieee_div_zero 0
		.amdhsa_exception_fp_ieee_overflow 0
		.amdhsa_exception_fp_ieee_underflow 0
		.amdhsa_exception_fp_ieee_inexact 0
		.amdhsa_exception_int_div_zero 0
	.end_amdhsa_kernel
	.section	.text._ZN7rocprim17ROCPRIM_304000_NS6detail45device_block_merge_mergepath_partition_kernelINS1_37wrapped_merge_sort_block_merge_configINS0_14default_configEdN2at4cuda3cub6detail10OpaqueTypeILi8EEEEEPdjNS1_19radix_merge_compareILb1ELb0EdNS0_19identity_decomposerEEEEEvT0_T1_jPSH_T2_SH_,"axG",@progbits,_ZN7rocprim17ROCPRIM_304000_NS6detail45device_block_merge_mergepath_partition_kernelINS1_37wrapped_merge_sort_block_merge_configINS0_14default_configEdN2at4cuda3cub6detail10OpaqueTypeILi8EEEEEPdjNS1_19radix_merge_compareILb1ELb0EdNS0_19identity_decomposerEEEEEvT0_T1_jPSH_T2_SH_,comdat
.Lfunc_end142:
	.size	_ZN7rocprim17ROCPRIM_304000_NS6detail45device_block_merge_mergepath_partition_kernelINS1_37wrapped_merge_sort_block_merge_configINS0_14default_configEdN2at4cuda3cub6detail10OpaqueTypeILi8EEEEEPdjNS1_19radix_merge_compareILb1ELb0EdNS0_19identity_decomposerEEEEEvT0_T1_jPSH_T2_SH_, .Lfunc_end142-_ZN7rocprim17ROCPRIM_304000_NS6detail45device_block_merge_mergepath_partition_kernelINS1_37wrapped_merge_sort_block_merge_configINS0_14default_configEdN2at4cuda3cub6detail10OpaqueTypeILi8EEEEEPdjNS1_19radix_merge_compareILb1ELb0EdNS0_19identity_decomposerEEEEEvT0_T1_jPSH_T2_SH_
                                        ; -- End function
	.section	.AMDGPU.csdata,"",@progbits
; Kernel info:
; codeLenInByte = 584
; NumSgprs: 18
; NumVgprs: 19
; ScratchSize: 0
; MemoryBound: 0
; FloatMode: 240
; IeeeMode: 1
; LDSByteSize: 0 bytes/workgroup (compile time only)
; SGPRBlocks: 2
; VGPRBlocks: 2
; NumSGPRsForWavesPerEU: 18
; NumVGPRsForWavesPerEU: 19
; Occupancy: 16
; WaveLimiterHint : 0
; COMPUTE_PGM_RSRC2:SCRATCH_EN: 0
; COMPUTE_PGM_RSRC2:USER_SGPR: 15
; COMPUTE_PGM_RSRC2:TRAP_HANDLER: 0
; COMPUTE_PGM_RSRC2:TGID_X_EN: 1
; COMPUTE_PGM_RSRC2:TGID_Y_EN: 0
; COMPUTE_PGM_RSRC2:TGID_Z_EN: 0
; COMPUTE_PGM_RSRC2:TIDIG_COMP_CNT: 0
	.section	.text._ZN7rocprim17ROCPRIM_304000_NS6detail35device_block_merge_mergepath_kernelINS1_37wrapped_merge_sort_block_merge_configINS0_14default_configEdN2at4cuda3cub6detail10OpaqueTypeILi8EEEEEPdSC_PSA_SD_jNS1_19radix_merge_compareILb1ELb0EdNS0_19identity_decomposerEEEEEvT0_T1_T2_T3_T4_SL_jT5_PKSL_NS1_7vsmem_tE,"axG",@progbits,_ZN7rocprim17ROCPRIM_304000_NS6detail35device_block_merge_mergepath_kernelINS1_37wrapped_merge_sort_block_merge_configINS0_14default_configEdN2at4cuda3cub6detail10OpaqueTypeILi8EEEEEPdSC_PSA_SD_jNS1_19radix_merge_compareILb1ELb0EdNS0_19identity_decomposerEEEEEvT0_T1_T2_T3_T4_SL_jT5_PKSL_NS1_7vsmem_tE,comdat
	.protected	_ZN7rocprim17ROCPRIM_304000_NS6detail35device_block_merge_mergepath_kernelINS1_37wrapped_merge_sort_block_merge_configINS0_14default_configEdN2at4cuda3cub6detail10OpaqueTypeILi8EEEEEPdSC_PSA_SD_jNS1_19radix_merge_compareILb1ELb0EdNS0_19identity_decomposerEEEEEvT0_T1_T2_T3_T4_SL_jT5_PKSL_NS1_7vsmem_tE ; -- Begin function _ZN7rocprim17ROCPRIM_304000_NS6detail35device_block_merge_mergepath_kernelINS1_37wrapped_merge_sort_block_merge_configINS0_14default_configEdN2at4cuda3cub6detail10OpaqueTypeILi8EEEEEPdSC_PSA_SD_jNS1_19radix_merge_compareILb1ELb0EdNS0_19identity_decomposerEEEEEvT0_T1_T2_T3_T4_SL_jT5_PKSL_NS1_7vsmem_tE
	.globl	_ZN7rocprim17ROCPRIM_304000_NS6detail35device_block_merge_mergepath_kernelINS1_37wrapped_merge_sort_block_merge_configINS0_14default_configEdN2at4cuda3cub6detail10OpaqueTypeILi8EEEEEPdSC_PSA_SD_jNS1_19radix_merge_compareILb1ELb0EdNS0_19identity_decomposerEEEEEvT0_T1_T2_T3_T4_SL_jT5_PKSL_NS1_7vsmem_tE
	.p2align	8
	.type	_ZN7rocprim17ROCPRIM_304000_NS6detail35device_block_merge_mergepath_kernelINS1_37wrapped_merge_sort_block_merge_configINS0_14default_configEdN2at4cuda3cub6detail10OpaqueTypeILi8EEEEEPdSC_PSA_SD_jNS1_19radix_merge_compareILb1ELb0EdNS0_19identity_decomposerEEEEEvT0_T1_T2_T3_T4_SL_jT5_PKSL_NS1_7vsmem_tE,@function
_ZN7rocprim17ROCPRIM_304000_NS6detail35device_block_merge_mergepath_kernelINS1_37wrapped_merge_sort_block_merge_configINS0_14default_configEdN2at4cuda3cub6detail10OpaqueTypeILi8EEEEEPdSC_PSA_SD_jNS1_19radix_merge_compareILb1ELb0EdNS0_19identity_decomposerEEEEEvT0_T1_T2_T3_T4_SL_jT5_PKSL_NS1_7vsmem_tE: ; @_ZN7rocprim17ROCPRIM_304000_NS6detail35device_block_merge_mergepath_kernelINS1_37wrapped_merge_sort_block_merge_configINS0_14default_configEdN2at4cuda3cub6detail10OpaqueTypeILi8EEEEEPdSC_PSA_SD_jNS1_19radix_merge_compareILb1ELb0EdNS0_19identity_decomposerEEEEEvT0_T1_T2_T3_T4_SL_jT5_PKSL_NS1_7vsmem_tE
; %bb.0:
	s_clause 0x1
	s_load_b64 s[2:3], s[0:1], 0x40
	s_load_b128 s[8:11], s[0:1], 0x20
	s_waitcnt lgkmcnt(0)
	s_mul_i32 s3, s3, s15
	s_delay_alu instid0(SALU_CYCLE_1) | instskip(NEXT) | instid1(SALU_CYCLE_1)
	s_add_i32 s3, s3, s14
	s_mul_i32 s2, s3, s2
	s_delay_alu instid0(SALU_CYCLE_1) | instskip(NEXT) | instid1(SALU_CYCLE_1)
	s_add_i32 s14, s2, s13
	s_cmp_ge_u32 s14, s10
	s_cbranch_scc1 .LBB143_40
; %bb.1:
	s_load_b64 s[2:3], s[0:1], 0x30
	s_lshr_b32 s4, s8, 10
	s_mov_b32 s15, 0
	s_cmp_lg_u32 s14, s4
                                        ; implicit-def: $vgpr2_vgpr3
	s_cselect_b32 s11, -1, 0
	s_lshl_b64 s[4:5], s[14:15], 2
	s_waitcnt lgkmcnt(0)
	s_add_u32 s2, s2, s4
	s_addc_u32 s3, s3, s5
	s_load_b64 s[12:13], s[2:3], 0x0
	s_lshr_b32 s2, s9, 9
	s_delay_alu instid0(SALU_CYCLE_1)
	s_and_b32 s10, s2, 0x7ffffe
	s_load_b256 s[0:7], s[0:1], 0x0
	s_sub_i32 s16, 0, s10
	s_lshl_b32 s10, s14, 10
	s_and_b32 s17, s14, s16
	s_or_b32 s16, s14, s16
	s_lshl_b32 s14, s17, 11
	s_lshl_b32 s17, s17, 10
	s_add_i32 s14, s14, s9
	s_sub_i32 s18, s10, s17
	s_sub_i32 s17, s14, s17
	s_add_i32 s14, s14, s18
	s_min_u32 s18, s8, s17
	s_add_i32 s17, s17, s9
	s_waitcnt lgkmcnt(0)
	s_sub_i32 s19, s14, s12
	s_sub_i32 s20, s14, s13
	s_min_u32 s14, s8, s19
	s_addk_i32 s20, 0x400
	s_cmp_eq_u32 s16, -1
	s_cselect_b32 s9, s17, s20
	s_cselect_b32 s13, s18, s13
	s_min_u32 s9, s9, s8
	s_sub_i32 s18, s13, s12
	s_sub_i32 s19, s9, s14
	s_mov_b32 s13, s15
	s_add_i32 s20, s19, s18
	s_delay_alu instid0(SALU_CYCLE_1) | instskip(SKIP_1) | instid1(SALU_CYCLE_1)
	v_cmp_gt_u32_e32 vcc_lo, s20, v0
	s_or_b32 s9, s11, vcc_lo
	s_and_saveexec_b32 s16, s9
	s_delay_alu instid0(SALU_CYCLE_1)
	s_xor_b32 s16, exec_lo, s16
	s_cbranch_execz .LBB143_3
; %bb.2:
	v_dual_mov_b32 v1, 0 :: v_dual_lshlrev_b32 v4, 3, v0
	s_lshl_b64 s[22:23], s[12:13], 3
	v_subrev_nc_u32_e32 v2, s18, v0
	s_add_u32 s17, s0, s22
	s_addc_u32 s21, s1, s23
	v_add_co_u32 v4, s17, s17, v4
	v_mov_b32_e32 v3, v1
	s_lshl_b64 s[22:23], s[14:15], 3
	v_add_co_ci_u32_e64 v5, null, s21, 0, s17
	s_add_u32 s0, s0, s22
	s_delay_alu instid0(VALU_DEP_2) | instskip(SKIP_1) | instid1(VALU_DEP_1)
	v_lshlrev_b64 v[2:3], 3, v[2:3]
	s_addc_u32 s1, s1, s23
	v_add_co_u32 v2, vcc_lo, s0, v2
	s_delay_alu instid0(VALU_DEP_2) | instskip(SKIP_1) | instid1(VALU_DEP_2)
	v_add_co_ci_u32_e32 v3, vcc_lo, s1, v3, vcc_lo
	v_cmp_gt_u32_e32 vcc_lo, s18, v0
	v_dual_cndmask_b32 v2, v2, v4 :: v_dual_cndmask_b32 v3, v3, v5
	global_load_b64 v[2:3], v[2:3], off
.LBB143_3:
	s_and_not1_saveexec_b32 s0, s16
; %bb.4:
	v_mov_b32_e32 v1, 0
                                        ; implicit-def: $vgpr2_vgpr3
; %bb.5:
	s_or_b32 exec_lo, exec_lo, s0
	v_min_u32_e32 v4, s20, v0
	v_lshlrev_b32_e32 v8, 3, v0
	s_mov_b32 s1, exec_lo
	s_delay_alu instid0(VALU_DEP_2)
	v_sub_nc_u32_e64 v6, v4, s19 clamp
	v_min_u32_e32 v5, s18, v4
	s_waitcnt vmcnt(0)
	ds_store_b64 v8, v[2:3]
	s_waitcnt lgkmcnt(0)
	s_barrier
	buffer_gl0_inv
	v_cmpx_lt_u32_e64 v6, v5
	s_cbranch_execz .LBB143_9
; %bb.6:
	v_lshlrev_b32_e32 v7, 3, v4
	s_mov_b32 s16, 0
	s_brev_b32 s17, 1
	s_mov_b32 s21, s16
	s_delay_alu instid0(VALU_DEP_1)
	v_lshl_add_u32 v7, s18, 3, v7
	s_set_inst_prefetch_distance 0x1
	.p2align	6
.LBB143_7:                              ; =>This Inner Loop Header: Depth=1
	v_add_nc_u32_e32 v9, v5, v6
	s_delay_alu instid0(VALU_DEP_1) | instskip(NEXT) | instid1(VALU_DEP_1)
	v_lshrrev_b32_e32 v13, 1, v9
	v_not_b32_e32 v9, v13
	v_lshlrev_b32_e32 v10, 3, v13
	s_delay_alu instid0(VALU_DEP_2)
	v_lshl_add_u32 v11, v9, 3, v7
	ds_load_b64 v[9:10], v10
	ds_load_b64 v[11:12], v11
	s_waitcnt lgkmcnt(1)
	v_cmp_ne_u64_e32 vcc_lo, s[16:17], v[9:10]
	s_waitcnt lgkmcnt(0)
	v_cmp_ne_u64_e64 s0, s[16:17], v[11:12]
	v_dual_cndmask_b32 v10, 0, v10 :: v_dual_cndmask_b32 v9, 0, v9
	s_delay_alu instid0(VALU_DEP_2) | instskip(SKIP_1) | instid1(VALU_DEP_3)
	v_cndmask_b32_e64 v12, 0, v12, s0
	v_cndmask_b32_e64 v11, 0, v11, s0
	v_ashrrev_i32_e32 v14, 31, v10
	s_delay_alu instid0(VALU_DEP_4) | instskip(NEXT) | instid1(VALU_DEP_4)
	v_cmp_lt_i64_e32 vcc_lo, -1, v[9:10]
	v_ashrrev_i32_e32 v15, 31, v12
	s_delay_alu instid0(VALU_DEP_3) | instskip(SKIP_2) | instid1(VALU_DEP_4)
	v_xor_b32_e32 v9, v14, v9
	v_cndmask_b32_e64 v16, -1, 0x80000000, vcc_lo
	v_cmp_lt_i64_e32 vcc_lo, -1, v[11:12]
	v_xor_b32_e32 v11, v15, v11
	s_delay_alu instid0(VALU_DEP_3) | instskip(SKIP_1) | instid1(VALU_DEP_1)
	v_xor_b32_e32 v10, v16, v10
	v_cndmask_b32_e64 v17, -1, 0x80000000, vcc_lo
	v_xor_b32_e32 v12, v17, v12
	s_delay_alu instid0(VALU_DEP_1) | instskip(SKIP_2) | instid1(VALU_DEP_2)
	v_cmp_gt_u64_e32 vcc_lo, v[11:12], v[9:10]
	v_add_nc_u32_e32 v9, 1, v13
	v_cndmask_b32_e32 v5, v5, v13, vcc_lo
	v_cndmask_b32_e32 v6, v9, v6, vcc_lo
	s_delay_alu instid0(VALU_DEP_1) | instskip(SKIP_1) | instid1(SALU_CYCLE_1)
	v_cmp_ge_u32_e32 vcc_lo, v6, v5
	s_or_b32 s21, vcc_lo, s21
	s_and_not1_b32 exec_lo, exec_lo, s21
	s_cbranch_execnz .LBB143_7
; %bb.8:
	s_set_inst_prefetch_distance 0x2
	s_or_b32 exec_lo, exec_lo, s21
.LBB143_9:
	s_delay_alu instid0(SALU_CYCLE_1) | instskip(SKIP_3) | instid1(VALU_DEP_3)
	s_or_b32 exec_lo, exec_lo, s1
	v_sub_nc_u32_e32 v4, v4, v6
	v_cmp_ge_u32_e32 vcc_lo, s18, v6
	v_mov_b32_e32 v9, 0
	v_add_nc_u32_e32 v7, s18, v4
	s_delay_alu instid0(VALU_DEP_1) | instskip(NEXT) | instid1(VALU_DEP_1)
	v_cmp_ge_u32_e64 s0, s20, v7
	s_or_b32 s0, vcc_lo, s0
	s_delay_alu instid0(SALU_CYCLE_1)
	s_and_saveexec_b32 s1, s0
	s_cbranch_execz .LBB143_17
; %bb.10:
	v_cmp_le_u32_e32 vcc_lo, s18, v6
	s_mov_b32 s16, exec_lo
                                        ; implicit-def: $vgpr2_vgpr3
	v_cmpx_gt_u32_e64 s18, v6
	s_cbranch_execz .LBB143_12
; %bb.11:
	v_lshlrev_b32_e32 v2, 3, v6
	ds_load_b64 v[2:3], v2
.LBB143_12:
	s_or_b32 exec_lo, exec_lo, s16
	v_cmp_le_u32_e64 s16, s20, v7
	s_mov_b32 s17, exec_lo
                                        ; implicit-def: $vgpr4_vgpr5
	v_cmpx_gt_u32_e64 s20, v7
	s_cbranch_execz .LBB143_14
; %bb.13:
	v_lshlrev_b32_e32 v4, 3, v7
	ds_load_b64 v[4:5], v4
.LBB143_14:
	s_or_b32 exec_lo, exec_lo, s17
	s_or_b32 s0, vcc_lo, s16
	s_delay_alu instid0(SALU_CYCLE_1) | instskip(NEXT) | instid1(SALU_CYCLE_1)
	s_xor_b32 s0, s0, -1
	s_and_saveexec_b32 s17, s0
	s_cbranch_execz .LBB143_16
; %bb.15:
	s_mov_b32 s20, 0
	s_brev_b32 s21, 1
	s_waitcnt lgkmcnt(0)
	v_cmp_ne_u64_e32 vcc_lo, s[20:21], v[4:5]
	v_cmp_ne_u64_e64 s0, s[20:21], v[2:3]
	v_dual_cndmask_b32 v10, 0, v5 :: v_dual_cndmask_b32 v9, 0, v4
	s_delay_alu instid0(VALU_DEP_2) | instskip(SKIP_2) | instid1(VALU_DEP_3)
	v_cndmask_b32_e64 v12, 0, v3, s0
	v_cndmask_b32_e64 v11, 0, v2, s0
	s_and_not1_b32 s0, s16, exec_lo
	v_ashrrev_i32_e32 v13, 31, v10
	v_cmp_lt_i64_e32 vcc_lo, -1, v[9:10]
	v_ashrrev_i32_e32 v16, 31, v12
	s_delay_alu instid0(VALU_DEP_3) | instskip(SKIP_2) | instid1(VALU_DEP_4)
	v_xor_b32_e32 v9, v13, v9
	v_cndmask_b32_e64 v14, -1, 0x80000000, vcc_lo
	v_cmp_lt_i64_e32 vcc_lo, -1, v[11:12]
	v_xor_b32_e32 v11, v16, v11
	s_delay_alu instid0(VALU_DEP_3) | instskip(SKIP_1) | instid1(VALU_DEP_1)
	v_xor_b32_e32 v10, v14, v10
	v_cndmask_b32_e64 v15, -1, 0x80000000, vcc_lo
	v_xor_b32_e32 v12, v15, v12
	s_delay_alu instid0(VALU_DEP_1) | instskip(SKIP_1) | instid1(SALU_CYCLE_1)
	v_cmp_le_u64_e32 vcc_lo, v[9:10], v[11:12]
	s_and_b32 s16, vcc_lo, exec_lo
	s_or_b32 s16, s0, s16
.LBB143_16:
	s_or_b32 exec_lo, exec_lo, s17
	v_cndmask_b32_e64 v9, v7, v6, s16
	s_waitcnt lgkmcnt(0)
	v_cndmask_b32_e64 v3, v5, v3, s16
	v_cndmask_b32_e64 v2, v4, v2, s16
.LBB143_17:
	s_or_b32 exec_lo, exec_lo, s1
	s_lshl_b64 s[12:13], s[12:13], 3
	v_cmp_le_u32_e64 s0, s18, v0
	s_add_u32 s1, s4, s12
	s_addc_u32 s12, s5, s13
	s_lshl_b64 s[14:15], s[14:15], 3
	s_delay_alu instid0(SALU_CYCLE_1)
	s_add_u32 s13, s4, s14
	s_addc_u32 s5, s5, s15
	s_and_b32 vcc_lo, exec_lo, s11
	s_barrier
	buffer_gl0_inv
	s_cbranch_vccz .LBB143_23
; %bb.18:
                                        ; implicit-def: $vgpr4_vgpr5
	s_and_saveexec_b32 s4, s0
	s_delay_alu instid0(SALU_CYCLE_1)
	s_xor_b32 s4, exec_lo, s4
; %bb.19:
	v_subrev_nc_u32_e32 v4, s18, v0
	v_mov_b32_e32 v5, 0
	s_delay_alu instid0(VALU_DEP_1) | instskip(NEXT) | instid1(VALU_DEP_1)
	v_lshlrev_b64 v[4:5], 3, v[4:5]
	v_add_co_u32 v4, vcc_lo, s13, v4
	s_delay_alu instid0(VALU_DEP_2)
	v_add_co_ci_u32_e32 v5, vcc_lo, s5, v5, vcc_lo
; %bb.20:
	s_and_not1_saveexec_b32 s4, s4
; %bb.21:
	v_lshlrev_b64 v[4:5], 3, v[0:1]
	s_delay_alu instid0(VALU_DEP_1) | instskip(NEXT) | instid1(VALU_DEP_2)
	v_add_co_u32 v4, vcc_lo, s1, v4
	v_add_co_ci_u32_e32 v5, vcc_lo, s12, v5, vcc_lo
; %bb.22:
	s_or_b32 exec_lo, exec_lo, s4
	s_mov_b32 s4, -1
	s_cbranch_execz .LBB143_24
	s_branch .LBB143_31
.LBB143_23:
	s_mov_b32 s4, 0
                                        ; implicit-def: $vgpr4_vgpr5
.LBB143_24:
                                        ; implicit-def: $vgpr4_vgpr5
	s_and_saveexec_b32 s14, s0
	s_delay_alu instid0(SALU_CYCLE_1)
	s_xor_b32 s0, exec_lo, s14
	s_cbranch_execz .LBB143_28
; %bb.25:
	v_subrev_nc_u32_e32 v6, s18, v0
	s_mov_b32 s15, s4
	s_mov_b32 s14, exec_lo
                                        ; implicit-def: $vgpr4_vgpr5
	s_delay_alu instid0(VALU_DEP_1)
	v_cmpx_gt_u32_e64 s19, v6
	s_xor_b32 s14, exec_lo, s14
; %bb.26:
	v_mov_b32_e32 v7, 0
	s_or_b32 s15, s4, exec_lo
	s_delay_alu instid0(VALU_DEP_1) | instskip(NEXT) | instid1(VALU_DEP_1)
	v_lshlrev_b64 v[4:5], 3, v[6:7]
	v_add_co_u32 v4, vcc_lo, s13, v4
	s_delay_alu instid0(VALU_DEP_2)
	v_add_co_ci_u32_e32 v5, vcc_lo, s5, v5, vcc_lo
; %bb.27:
	s_or_b32 exec_lo, exec_lo, s14
	s_delay_alu instid0(SALU_CYCLE_1) | instskip(SKIP_1) | instid1(SALU_CYCLE_1)
	s_and_not1_b32 s4, s4, exec_lo
	s_and_b32 s5, s15, exec_lo
	s_or_b32 s4, s4, s5
.LBB143_28:
	s_and_not1_saveexec_b32 s0, s0
; %bb.29:
	v_lshlrev_b64 v[4:5], 3, v[0:1]
	s_or_b32 s4, s4, exec_lo
	s_delay_alu instid0(VALU_DEP_1) | instskip(NEXT) | instid1(VALU_DEP_2)
	v_add_co_u32 v4, vcc_lo, s1, v4
	v_add_co_ci_u32_e32 v5, vcc_lo, s12, v5, vcc_lo
; %bb.30:
	s_or_b32 exec_lo, exec_lo, s0
.LBB143_31:
	s_and_saveexec_b32 s0, s4
	s_cbranch_execz .LBB143_33
; %bb.32:
	global_load_b64 v[4:5], v[4:5], off
	s_waitcnt vmcnt(0)
	ds_store_b64 v8, v[4:5]
.LBB143_33:
	s_or_b32 exec_lo, exec_lo, s0
	s_waitcnt lgkmcnt(0)
	s_barrier
	buffer_gl0_inv
	s_and_saveexec_b32 s0, s9
	s_cbranch_execz .LBB143_35
; %bb.34:
	v_dual_mov_b32 v7, 0 :: v_dual_lshlrev_b32 v4, 3, v9
	v_or_b32_e32 v6, s10, v0
	ds_load_b64 v[4:5], v4
	v_lshlrev_b64 v[6:7], 3, v[6:7]
	s_delay_alu instid0(VALU_DEP_1) | instskip(NEXT) | instid1(VALU_DEP_2)
	v_add_co_u32 v6, vcc_lo, s6, v6
	v_add_co_ci_u32_e32 v7, vcc_lo, s7, v7, vcc_lo
	s_waitcnt lgkmcnt(0)
	global_store_b64 v[6:7], v[4:5], off
.LBB143_35:
	s_or_b32 exec_lo, exec_lo, s0
	s_delay_alu instid0(SALU_CYCLE_1)
	s_and_b32 vcc_lo, exec_lo, s11
	s_mov_b32 s11, -1
	s_waitcnt_vscnt null, 0x0
	s_barrier
	buffer_gl0_inv
	s_barrier
	buffer_gl0_inv
	s_cbranch_vccz .LBB143_37
; %bb.36:
	ds_store_b64 v8, v[2:3]
	s_waitcnt lgkmcnt(0)
	s_barrier
	buffer_gl0_inv
	ds_load_b64 v[4:5], v8
	s_mov_b32 s11, 0
	v_lshlrev_b64 v[6:7], 3, v[0:1]
	s_lshl_b64 s[0:1], s[10:11], 3
	s_delay_alu instid0(SALU_CYCLE_1) | instskip(SKIP_1) | instid1(VALU_DEP_1)
	s_add_u32 s0, s2, s0
	s_addc_u32 s1, s3, s1
	v_add_co_u32 v6, vcc_lo, s0, v6
	s_delay_alu instid0(VALU_DEP_2)
	v_add_co_ci_u32_e32 v7, vcc_lo, s1, v7, vcc_lo
	s_waitcnt lgkmcnt(0)
	global_store_b64 v[6:7], v[4:5], off
.LBB143_37:
	s_and_not1_b32 vcc_lo, exec_lo, s11
	s_cbranch_vccnz .LBB143_40
; %bb.38:
	s_sub_i32 s0, s8, s10
	ds_store_b64 v8, v[2:3]
	v_cmp_gt_u32_e32 vcc_lo, s0, v0
	s_waitcnt lgkmcnt(0)
	s_waitcnt_vscnt null, 0x0
	s_barrier
	buffer_gl0_inv
	s_and_saveexec_b32 s0, vcc_lo
	s_cbranch_execz .LBB143_40
; %bb.39:
	ds_load_b64 v[2:3], v8
	s_mov_b32 s11, 0
	v_lshlrev_b64 v[0:1], 3, v[0:1]
	s_lshl_b64 s[0:1], s[10:11], 3
	s_delay_alu instid0(SALU_CYCLE_1) | instskip(SKIP_1) | instid1(VALU_DEP_1)
	s_add_u32 s0, s2, s0
	s_addc_u32 s1, s3, s1
	v_add_co_u32 v0, vcc_lo, s0, v0
	s_delay_alu instid0(VALU_DEP_2)
	v_add_co_ci_u32_e32 v1, vcc_lo, s1, v1, vcc_lo
	s_waitcnt lgkmcnt(0)
	global_store_b64 v[0:1], v[2:3], off
.LBB143_40:
	s_nop 0
	s_sendmsg sendmsg(MSG_DEALLOC_VGPRS)
	s_endpgm
	.section	.rodata,"a",@progbits
	.p2align	6, 0x0
	.amdhsa_kernel _ZN7rocprim17ROCPRIM_304000_NS6detail35device_block_merge_mergepath_kernelINS1_37wrapped_merge_sort_block_merge_configINS0_14default_configEdN2at4cuda3cub6detail10OpaqueTypeILi8EEEEEPdSC_PSA_SD_jNS1_19radix_merge_compareILb1ELb0EdNS0_19identity_decomposerEEEEEvT0_T1_T2_T3_T4_SL_jT5_PKSL_NS1_7vsmem_tE
		.amdhsa_group_segment_fixed_size 8208
		.amdhsa_private_segment_fixed_size 0
		.amdhsa_kernarg_size 320
		.amdhsa_user_sgpr_count 13
		.amdhsa_user_sgpr_dispatch_ptr 0
		.amdhsa_user_sgpr_queue_ptr 0
		.amdhsa_user_sgpr_kernarg_segment_ptr 1
		.amdhsa_user_sgpr_dispatch_id 0
		.amdhsa_user_sgpr_private_segment_size 0
		.amdhsa_wavefront_size32 1
		.amdhsa_uses_dynamic_stack 0
		.amdhsa_enable_private_segment 0
		.amdhsa_system_sgpr_workgroup_id_x 1
		.amdhsa_system_sgpr_workgroup_id_y 1
		.amdhsa_system_sgpr_workgroup_id_z 1
		.amdhsa_system_sgpr_workgroup_info 0
		.amdhsa_system_vgpr_workitem_id 0
		.amdhsa_next_free_vgpr 18
		.amdhsa_next_free_sgpr 24
		.amdhsa_reserve_vcc 1
		.amdhsa_float_round_mode_32 0
		.amdhsa_float_round_mode_16_64 0
		.amdhsa_float_denorm_mode_32 3
		.amdhsa_float_denorm_mode_16_64 3
		.amdhsa_dx10_clamp 1
		.amdhsa_ieee_mode 1
		.amdhsa_fp16_overflow 0
		.amdhsa_workgroup_processor_mode 1
		.amdhsa_memory_ordered 1
		.amdhsa_forward_progress 0
		.amdhsa_shared_vgpr_count 0
		.amdhsa_exception_fp_ieee_invalid_op 0
		.amdhsa_exception_fp_denorm_src 0
		.amdhsa_exception_fp_ieee_div_zero 0
		.amdhsa_exception_fp_ieee_overflow 0
		.amdhsa_exception_fp_ieee_underflow 0
		.amdhsa_exception_fp_ieee_inexact 0
		.amdhsa_exception_int_div_zero 0
	.end_amdhsa_kernel
	.section	.text._ZN7rocprim17ROCPRIM_304000_NS6detail35device_block_merge_mergepath_kernelINS1_37wrapped_merge_sort_block_merge_configINS0_14default_configEdN2at4cuda3cub6detail10OpaqueTypeILi8EEEEEPdSC_PSA_SD_jNS1_19radix_merge_compareILb1ELb0EdNS0_19identity_decomposerEEEEEvT0_T1_T2_T3_T4_SL_jT5_PKSL_NS1_7vsmem_tE,"axG",@progbits,_ZN7rocprim17ROCPRIM_304000_NS6detail35device_block_merge_mergepath_kernelINS1_37wrapped_merge_sort_block_merge_configINS0_14default_configEdN2at4cuda3cub6detail10OpaqueTypeILi8EEEEEPdSC_PSA_SD_jNS1_19radix_merge_compareILb1ELb0EdNS0_19identity_decomposerEEEEEvT0_T1_T2_T3_T4_SL_jT5_PKSL_NS1_7vsmem_tE,comdat
.Lfunc_end143:
	.size	_ZN7rocprim17ROCPRIM_304000_NS6detail35device_block_merge_mergepath_kernelINS1_37wrapped_merge_sort_block_merge_configINS0_14default_configEdN2at4cuda3cub6detail10OpaqueTypeILi8EEEEEPdSC_PSA_SD_jNS1_19radix_merge_compareILb1ELb0EdNS0_19identity_decomposerEEEEEvT0_T1_T2_T3_T4_SL_jT5_PKSL_NS1_7vsmem_tE, .Lfunc_end143-_ZN7rocprim17ROCPRIM_304000_NS6detail35device_block_merge_mergepath_kernelINS1_37wrapped_merge_sort_block_merge_configINS0_14default_configEdN2at4cuda3cub6detail10OpaqueTypeILi8EEEEEPdSC_PSA_SD_jNS1_19radix_merge_compareILb1ELb0EdNS0_19identity_decomposerEEEEEvT0_T1_T2_T3_T4_SL_jT5_PKSL_NS1_7vsmem_tE
                                        ; -- End function
	.section	.AMDGPU.csdata,"",@progbits
; Kernel info:
; codeLenInByte = 1668
; NumSgprs: 26
; NumVgprs: 18
; ScratchSize: 0
; MemoryBound: 1
; FloatMode: 240
; IeeeMode: 1
; LDSByteSize: 8208 bytes/workgroup (compile time only)
; SGPRBlocks: 3
; VGPRBlocks: 2
; NumSGPRsForWavesPerEU: 26
; NumVGPRsForWavesPerEU: 18
; Occupancy: 16
; WaveLimiterHint : 1
; COMPUTE_PGM_RSRC2:SCRATCH_EN: 0
; COMPUTE_PGM_RSRC2:USER_SGPR: 13
; COMPUTE_PGM_RSRC2:TRAP_HANDLER: 0
; COMPUTE_PGM_RSRC2:TGID_X_EN: 1
; COMPUTE_PGM_RSRC2:TGID_Y_EN: 1
; COMPUTE_PGM_RSRC2:TGID_Z_EN: 1
; COMPUTE_PGM_RSRC2:TIDIG_COMP_CNT: 0
	.section	.text._ZN7rocprim17ROCPRIM_304000_NS6detail33device_block_merge_oddeven_kernelINS1_37wrapped_merge_sort_block_merge_configINS0_14default_configEdN2at4cuda3cub6detail10OpaqueTypeILi8EEEEEPdSC_PSA_SD_jNS1_19radix_merge_compareILb1ELb0EdNS0_19identity_decomposerEEEEEvT0_T1_T2_T3_T4_SL_T5_,"axG",@progbits,_ZN7rocprim17ROCPRIM_304000_NS6detail33device_block_merge_oddeven_kernelINS1_37wrapped_merge_sort_block_merge_configINS0_14default_configEdN2at4cuda3cub6detail10OpaqueTypeILi8EEEEEPdSC_PSA_SD_jNS1_19radix_merge_compareILb1ELb0EdNS0_19identity_decomposerEEEEEvT0_T1_T2_T3_T4_SL_T5_,comdat
	.protected	_ZN7rocprim17ROCPRIM_304000_NS6detail33device_block_merge_oddeven_kernelINS1_37wrapped_merge_sort_block_merge_configINS0_14default_configEdN2at4cuda3cub6detail10OpaqueTypeILi8EEEEEPdSC_PSA_SD_jNS1_19radix_merge_compareILb1ELb0EdNS0_19identity_decomposerEEEEEvT0_T1_T2_T3_T4_SL_T5_ ; -- Begin function _ZN7rocprim17ROCPRIM_304000_NS6detail33device_block_merge_oddeven_kernelINS1_37wrapped_merge_sort_block_merge_configINS0_14default_configEdN2at4cuda3cub6detail10OpaqueTypeILi8EEEEEPdSC_PSA_SD_jNS1_19radix_merge_compareILb1ELb0EdNS0_19identity_decomposerEEEEEvT0_T1_T2_T3_T4_SL_T5_
	.globl	_ZN7rocprim17ROCPRIM_304000_NS6detail33device_block_merge_oddeven_kernelINS1_37wrapped_merge_sort_block_merge_configINS0_14default_configEdN2at4cuda3cub6detail10OpaqueTypeILi8EEEEEPdSC_PSA_SD_jNS1_19radix_merge_compareILb1ELb0EdNS0_19identity_decomposerEEEEEvT0_T1_T2_T3_T4_SL_T5_
	.p2align	8
	.type	_ZN7rocprim17ROCPRIM_304000_NS6detail33device_block_merge_oddeven_kernelINS1_37wrapped_merge_sort_block_merge_configINS0_14default_configEdN2at4cuda3cub6detail10OpaqueTypeILi8EEEEEPdSC_PSA_SD_jNS1_19radix_merge_compareILb1ELb0EdNS0_19identity_decomposerEEEEEvT0_T1_T2_T3_T4_SL_T5_,@function
_ZN7rocprim17ROCPRIM_304000_NS6detail33device_block_merge_oddeven_kernelINS1_37wrapped_merge_sort_block_merge_configINS0_14default_configEdN2at4cuda3cub6detail10OpaqueTypeILi8EEEEEPdSC_PSA_SD_jNS1_19radix_merge_compareILb1ELb0EdNS0_19identity_decomposerEEEEEvT0_T1_T2_T3_T4_SL_T5_: ; @_ZN7rocprim17ROCPRIM_304000_NS6detail33device_block_merge_oddeven_kernelINS1_37wrapped_merge_sort_block_merge_configINS0_14default_configEdN2at4cuda3cub6detail10OpaqueTypeILi8EEEEEPdSC_PSA_SD_jNS1_19radix_merge_compareILb1ELb0EdNS0_19identity_decomposerEEEEEvT0_T1_T2_T3_T4_SL_T5_
; %bb.0:
	s_load_b64 s[16:17], s[0:1], 0x20
	s_waitcnt lgkmcnt(0)
	s_lshr_b32 s2, s16, 8
	s_delay_alu instid0(SALU_CYCLE_1) | instskip(SKIP_4) | instid1(SALU_CYCLE_1)
	s_cmp_lg_u32 s15, s2
	s_cselect_b32 s4, -1, 0
	s_cmp_eq_u32 s15, s2
	s_cselect_b32 s3, -1, 0
	s_lshl_b32 s12, s15, 8
	s_sub_i32 s2, s16, s12
	s_delay_alu instid0(SALU_CYCLE_1) | instskip(NEXT) | instid1(VALU_DEP_1)
	v_cmp_gt_u32_e64 s2, s2, v0
	s_or_b32 s4, s4, s2
	s_delay_alu instid0(SALU_CYCLE_1)
	s_and_saveexec_b32 s5, s4
	s_cbranch_execz .LBB144_26
; %bb.1:
	s_load_b256 s[4:11], s[0:1], 0x0
	s_mov_b32 s13, 0
	v_lshlrev_b32_e32 v3, 3, v0
	s_lshl_b64 s[0:1], s[12:13], 3
	v_add_nc_u32_e32 v7, s12, v0
	s_waitcnt lgkmcnt(0)
	s_add_u32 s18, s4, s0
	s_addc_u32 s19, s5, s1
	s_add_u32 s0, s8, s0
	s_addc_u32 s1, s9, s1
	s_clause 0x1
	global_load_b64 v[1:2], v3, s[0:1]
	global_load_b64 v[3:4], v3, s[18:19]
	s_lshr_b32 s0, s17, 8
	s_delay_alu instid0(SALU_CYCLE_1) | instskip(NEXT) | instid1(SALU_CYCLE_1)
	s_sub_i32 s1, 0, s0
	s_and_b32 s1, s15, s1
	s_delay_alu instid0(SALU_CYCLE_1) | instskip(SKIP_4) | instid1(SALU_CYCLE_1)
	s_and_b32 s0, s1, s0
	s_lshl_b32 s9, s1, 8
	s_sub_i32 s1, 0, s17
	s_cmp_eq_u32 s0, 0
	s_cselect_b32 s0, -1, 0
	s_and_b32 s8, s0, exec_lo
	s_cselect_b32 s1, s17, s1
	s_delay_alu instid0(SALU_CYCLE_1) | instskip(NEXT) | instid1(SALU_CYCLE_1)
	s_add_i32 s1, s1, s9
	s_cmp_lt_u32 s1, s16
	s_cbranch_scc1 .LBB144_6
; %bb.2:
	s_and_b32 vcc_lo, exec_lo, s3
	s_cbranch_vccz .LBB144_7
; %bb.3:
	s_mov_b32 s8, 0
	s_mov_b32 s12, exec_lo
                                        ; implicit-def: $vgpr5_vgpr6
	v_cmpx_gt_u32_e64 s16, v7
	s_cbranch_execz .LBB144_5
; %bb.4:
	v_mov_b32_e32 v8, 0
	s_mov_b32 s13, exec_lo
	s_delay_alu instid0(VALU_DEP_1) | instskip(NEXT) | instid1(VALU_DEP_1)
	v_lshlrev_b64 v[5:6], 3, v[7:8]
	v_add_co_u32 v8, vcc_lo, s6, v5
	s_delay_alu instid0(VALU_DEP_2)
	v_add_co_ci_u32_e32 v9, vcc_lo, s7, v6, vcc_lo
	v_add_co_u32 v5, vcc_lo, s10, v5
	v_add_co_ci_u32_e32 v6, vcc_lo, s11, v6, vcc_lo
	s_waitcnt vmcnt(0)
	global_store_b64 v[8:9], v[3:4], off
.LBB144_5:
	s_or_b32 exec_lo, exec_lo, s12
	s_delay_alu instid0(SALU_CYCLE_1)
	s_and_b32 vcc_lo, exec_lo, s8
	s_cbranch_vccnz .LBB144_8
	s_branch .LBB144_9
.LBB144_6:
                                        ; implicit-def: $vgpr5_vgpr6
	s_cbranch_execnz .LBB144_10
	s_branch .LBB144_24
.LBB144_7:
                                        ; implicit-def: $vgpr5_vgpr6
	s_cbranch_execz .LBB144_9
.LBB144_8:
	v_mov_b32_e32 v8, 0
	s_or_b32 s13, s13, exec_lo
	s_delay_alu instid0(VALU_DEP_1) | instskip(NEXT) | instid1(VALU_DEP_1)
	v_lshlrev_b64 v[5:6], 3, v[7:8]
	v_add_co_u32 v8, vcc_lo, s6, v5
	s_delay_alu instid0(VALU_DEP_2)
	v_add_co_ci_u32_e32 v9, vcc_lo, s7, v6, vcc_lo
	v_add_co_u32 v5, vcc_lo, s10, v5
	v_add_co_ci_u32_e32 v6, vcc_lo, s11, v6, vcc_lo
	s_waitcnt vmcnt(0)
	global_store_b64 v[8:9], v[3:4], off
.LBB144_9:
	s_branch .LBB144_24
.LBB144_10:
	s_min_u32 s8, s1, s16
	s_and_b32 vcc_lo, exec_lo, s3
	s_add_i32 s12, s9, s8
	s_min_u32 s9, s9, s8
	v_subrev_nc_u32_e32 v0, s12, v7
	s_add_i32 s12, s8, s17
	s_delay_alu instid0(VALU_DEP_1)
	v_add_nc_u32_e32 v0, s9, v0
	s_min_u32 s9, s12, s16
	s_cbranch_vccz .LBB144_18
; %bb.11:
                                        ; implicit-def: $vgpr5_vgpr6
	s_and_saveexec_b32 s12, s2
	s_cbranch_execz .LBB144_17
; %bb.12:
	v_mov_b32_e32 v9, s8
	s_cmp_ge_u32 s1, s9
	s_cbranch_scc1 .LBB144_16
; %bb.13:
	s_mov_b32 s2, 0
	s_brev_b32 s3, 1
	v_dual_mov_b32 v10, s9 :: v_dual_mov_b32 v9, s8
	s_waitcnt vmcnt(0)
	v_cmp_ne_u64_e32 vcc_lo, s[2:3], v[3:4]
	s_mov_b32 s14, s2
	v_dual_cndmask_b32 v6, 0, v4 :: v_dual_cndmask_b32 v5, 0, v3
	s_delay_alu instid0(VALU_DEP_1) | instskip(NEXT) | instid1(VALU_DEP_2)
	v_ashrrev_i32_e32 v7, 31, v6
	v_cmp_lt_i64_e32 vcc_lo, -1, v[5:6]
	s_delay_alu instid0(VALU_DEP_2) | instskip(SKIP_1) | instid1(VALU_DEP_1)
	v_xor_b32_e32 v5, v7, v5
	v_cndmask_b32_e64 v8, -1, 0x80000000, vcc_lo
	v_xor_b32_e32 v6, v8, v6
	v_mov_b32_e32 v8, 0
	s_set_inst_prefetch_distance 0x1
	.p2align	6
.LBB144_14:                             ; =>This Inner Loop Header: Depth=1
	v_add_nc_u32_e32 v7, v9, v10
	s_delay_alu instid0(VALU_DEP_1) | instskip(NEXT) | instid1(VALU_DEP_1)
	v_lshrrev_b32_e32 v7, 1, v7
	v_lshlrev_b64 v[11:12], 3, v[7:8]
	s_delay_alu instid0(VALU_DEP_1) | instskip(NEXT) | instid1(VALU_DEP_2)
	v_add_co_u32 v11, vcc_lo, s4, v11
	v_add_co_ci_u32_e32 v12, vcc_lo, s5, v12, vcc_lo
	global_load_b64 v[11:12], v[11:12], off
	s_waitcnt vmcnt(0)
	v_cmp_ne_u64_e32 vcc_lo, s[2:3], v[11:12]
	v_dual_cndmask_b32 v12, 0, v12 :: v_dual_cndmask_b32 v11, 0, v11
	s_delay_alu instid0(VALU_DEP_1) | instskip(NEXT) | instid1(VALU_DEP_2)
	v_ashrrev_i32_e32 v13, 31, v12
	v_cmp_lt_i64_e32 vcc_lo, -1, v[11:12]
	s_delay_alu instid0(VALU_DEP_2) | instskip(SKIP_1) | instid1(VALU_DEP_1)
	v_xor_b32_e32 v11, v13, v11
	v_cndmask_b32_e64 v14, -1, 0x80000000, vcc_lo
	v_xor_b32_e32 v12, v14, v12
	s_delay_alu instid0(VALU_DEP_1) | instskip(SKIP_4) | instid1(VALU_DEP_1)
	v_cmp_gt_u64_e32 vcc_lo, v[11:12], v[5:6]
	v_cndmask_b32_e64 v13, 0, 1, vcc_lo
	v_cmp_le_u64_e32 vcc_lo, v[5:6], v[11:12]
	v_add_nc_u32_e32 v12, 1, v7
	v_cndmask_b32_e64 v11, 0, 1, vcc_lo
	v_cndmask_b32_e64 v11, v11, v13, s0
	s_delay_alu instid0(VALU_DEP_1) | instskip(NEXT) | instid1(VALU_DEP_1)
	v_and_b32_e32 v11, 1, v11
	v_cmp_eq_u32_e32 vcc_lo, 1, v11
	v_dual_cndmask_b32 v10, v7, v10 :: v_dual_cndmask_b32 v9, v9, v12
	s_delay_alu instid0(VALU_DEP_1) | instskip(SKIP_1) | instid1(SALU_CYCLE_1)
	v_cmp_ge_u32_e32 vcc_lo, v9, v10
	s_or_b32 s14, vcc_lo, s14
	s_and_not1_b32 exec_lo, exec_lo, s14
	s_cbranch_execnz .LBB144_14
; %bb.15:
	s_set_inst_prefetch_distance 0x2
	s_or_b32 exec_lo, exec_lo, s14
.LBB144_16:
	s_delay_alu instid0(VALU_DEP_1) | instskip(SKIP_1) | instid1(VALU_DEP_1)
	v_dual_mov_b32 v6, 0 :: v_dual_add_nc_u32 v5, v9, v0
	s_or_b32 s13, s13, exec_lo
	v_lshlrev_b64 v[5:6], 3, v[5:6]
	s_delay_alu instid0(VALU_DEP_1) | instskip(NEXT) | instid1(VALU_DEP_2)
	v_add_co_u32 v7, vcc_lo, s6, v5
	v_add_co_ci_u32_e32 v8, vcc_lo, s7, v6, vcc_lo
	v_add_co_u32 v5, vcc_lo, s10, v5
	v_add_co_ci_u32_e32 v6, vcc_lo, s11, v6, vcc_lo
	s_waitcnt vmcnt(0)
	global_store_b64 v[7:8], v[3:4], off
.LBB144_17:
	s_or_b32 exec_lo, exec_lo, s12
	s_branch .LBB144_24
.LBB144_18:
                                        ; implicit-def: $vgpr5_vgpr6
	s_cbranch_execz .LBB144_24
; %bb.19:
	v_mov_b32_e32 v9, s8
	s_cmp_ge_u32 s1, s9
	s_cbranch_scc1 .LBB144_23
; %bb.20:
	s_mov_b32 s2, 0
	s_brev_b32 s3, 1
	v_dual_mov_b32 v10, s9 :: v_dual_mov_b32 v9, s8
	s_waitcnt vmcnt(0)
	v_cmp_ne_u64_e32 vcc_lo, s[2:3], v[3:4]
	s_mov_b32 s1, s2
	v_dual_cndmask_b32 v6, 0, v4 :: v_dual_cndmask_b32 v5, 0, v3
	s_delay_alu instid0(VALU_DEP_1) | instskip(NEXT) | instid1(VALU_DEP_2)
	v_ashrrev_i32_e32 v7, 31, v6
	v_cmp_lt_i64_e32 vcc_lo, -1, v[5:6]
	s_delay_alu instid0(VALU_DEP_2) | instskip(SKIP_1) | instid1(VALU_DEP_1)
	v_xor_b32_e32 v5, v7, v5
	v_cndmask_b32_e64 v8, -1, 0x80000000, vcc_lo
	v_xor_b32_e32 v6, v8, v6
	v_mov_b32_e32 v8, 0
	s_set_inst_prefetch_distance 0x1
	.p2align	6
.LBB144_21:                             ; =>This Inner Loop Header: Depth=1
	v_add_nc_u32_e32 v7, v9, v10
	s_delay_alu instid0(VALU_DEP_1) | instskip(NEXT) | instid1(VALU_DEP_1)
	v_lshrrev_b32_e32 v7, 1, v7
	v_lshlrev_b64 v[11:12], 3, v[7:8]
	s_delay_alu instid0(VALU_DEP_1) | instskip(NEXT) | instid1(VALU_DEP_2)
	v_add_co_u32 v11, vcc_lo, s4, v11
	v_add_co_ci_u32_e32 v12, vcc_lo, s5, v12, vcc_lo
	global_load_b64 v[11:12], v[11:12], off
	s_waitcnt vmcnt(0)
	v_cmp_ne_u64_e32 vcc_lo, s[2:3], v[11:12]
	v_dual_cndmask_b32 v12, 0, v12 :: v_dual_cndmask_b32 v11, 0, v11
	s_delay_alu instid0(VALU_DEP_1) | instskip(NEXT) | instid1(VALU_DEP_2)
	v_ashrrev_i32_e32 v13, 31, v12
	v_cmp_lt_i64_e32 vcc_lo, -1, v[11:12]
	s_delay_alu instid0(VALU_DEP_2) | instskip(SKIP_1) | instid1(VALU_DEP_1)
	v_xor_b32_e32 v11, v13, v11
	v_cndmask_b32_e64 v14, -1, 0x80000000, vcc_lo
	v_xor_b32_e32 v12, v14, v12
	s_delay_alu instid0(VALU_DEP_1) | instskip(SKIP_4) | instid1(VALU_DEP_1)
	v_cmp_gt_u64_e32 vcc_lo, v[11:12], v[5:6]
	v_cndmask_b32_e64 v13, 0, 1, vcc_lo
	v_cmp_le_u64_e32 vcc_lo, v[5:6], v[11:12]
	v_add_nc_u32_e32 v12, 1, v7
	v_cndmask_b32_e64 v11, 0, 1, vcc_lo
	v_cndmask_b32_e64 v11, v11, v13, s0
	s_delay_alu instid0(VALU_DEP_1) | instskip(NEXT) | instid1(VALU_DEP_1)
	v_and_b32_e32 v11, 1, v11
	v_cmp_eq_u32_e32 vcc_lo, 1, v11
	v_dual_cndmask_b32 v10, v7, v10 :: v_dual_cndmask_b32 v9, v9, v12
	s_delay_alu instid0(VALU_DEP_1) | instskip(SKIP_1) | instid1(SALU_CYCLE_1)
	v_cmp_ge_u32_e32 vcc_lo, v9, v10
	s_or_b32 s1, vcc_lo, s1
	s_and_not1_b32 exec_lo, exec_lo, s1
	s_cbranch_execnz .LBB144_21
; %bb.22:
	s_set_inst_prefetch_distance 0x2
	s_or_b32 exec_lo, exec_lo, s1
.LBB144_23:
	s_delay_alu instid0(VALU_DEP_1) | instskip(SKIP_1) | instid1(VALU_DEP_1)
	v_dual_mov_b32 v6, 0 :: v_dual_add_nc_u32 v5, v9, v0
	s_mov_b32 s13, -1
	v_lshlrev_b64 v[5:6], 3, v[5:6]
	s_delay_alu instid0(VALU_DEP_1) | instskip(NEXT) | instid1(VALU_DEP_2)
	v_add_co_u32 v7, vcc_lo, s6, v5
	v_add_co_ci_u32_e32 v8, vcc_lo, s7, v6, vcc_lo
	v_add_co_u32 v5, vcc_lo, s10, v5
	v_add_co_ci_u32_e32 v6, vcc_lo, s11, v6, vcc_lo
	s_waitcnt vmcnt(0)
	global_store_b64 v[7:8], v[3:4], off
.LBB144_24:
	s_and_b32 exec_lo, exec_lo, s13
	s_cbranch_execz .LBB144_26
; %bb.25:
	s_waitcnt vmcnt(1)
	global_store_b64 v[5:6], v[1:2], off
.LBB144_26:
	s_nop 0
	s_sendmsg sendmsg(MSG_DEALLOC_VGPRS)
	s_endpgm
	.section	.rodata,"a",@progbits
	.p2align	6, 0x0
	.amdhsa_kernel _ZN7rocprim17ROCPRIM_304000_NS6detail33device_block_merge_oddeven_kernelINS1_37wrapped_merge_sort_block_merge_configINS0_14default_configEdN2at4cuda3cub6detail10OpaqueTypeILi8EEEEEPdSC_PSA_SD_jNS1_19radix_merge_compareILb1ELb0EdNS0_19identity_decomposerEEEEEvT0_T1_T2_T3_T4_SL_T5_
		.amdhsa_group_segment_fixed_size 0
		.amdhsa_private_segment_fixed_size 0
		.amdhsa_kernarg_size 44
		.amdhsa_user_sgpr_count 15
		.amdhsa_user_sgpr_dispatch_ptr 0
		.amdhsa_user_sgpr_queue_ptr 0
		.amdhsa_user_sgpr_kernarg_segment_ptr 1
		.amdhsa_user_sgpr_dispatch_id 0
		.amdhsa_user_sgpr_private_segment_size 0
		.amdhsa_wavefront_size32 1
		.amdhsa_uses_dynamic_stack 0
		.amdhsa_enable_private_segment 0
		.amdhsa_system_sgpr_workgroup_id_x 1
		.amdhsa_system_sgpr_workgroup_id_y 0
		.amdhsa_system_sgpr_workgroup_id_z 0
		.amdhsa_system_sgpr_workgroup_info 0
		.amdhsa_system_vgpr_workitem_id 0
		.amdhsa_next_free_vgpr 15
		.amdhsa_next_free_sgpr 20
		.amdhsa_reserve_vcc 1
		.amdhsa_float_round_mode_32 0
		.amdhsa_float_round_mode_16_64 0
		.amdhsa_float_denorm_mode_32 3
		.amdhsa_float_denorm_mode_16_64 3
		.amdhsa_dx10_clamp 1
		.amdhsa_ieee_mode 1
		.amdhsa_fp16_overflow 0
		.amdhsa_workgroup_processor_mode 1
		.amdhsa_memory_ordered 1
		.amdhsa_forward_progress 0
		.amdhsa_shared_vgpr_count 0
		.amdhsa_exception_fp_ieee_invalid_op 0
		.amdhsa_exception_fp_denorm_src 0
		.amdhsa_exception_fp_ieee_div_zero 0
		.amdhsa_exception_fp_ieee_overflow 0
		.amdhsa_exception_fp_ieee_underflow 0
		.amdhsa_exception_fp_ieee_inexact 0
		.amdhsa_exception_int_div_zero 0
	.end_amdhsa_kernel
	.section	.text._ZN7rocprim17ROCPRIM_304000_NS6detail33device_block_merge_oddeven_kernelINS1_37wrapped_merge_sort_block_merge_configINS0_14default_configEdN2at4cuda3cub6detail10OpaqueTypeILi8EEEEEPdSC_PSA_SD_jNS1_19radix_merge_compareILb1ELb0EdNS0_19identity_decomposerEEEEEvT0_T1_T2_T3_T4_SL_T5_,"axG",@progbits,_ZN7rocprim17ROCPRIM_304000_NS6detail33device_block_merge_oddeven_kernelINS1_37wrapped_merge_sort_block_merge_configINS0_14default_configEdN2at4cuda3cub6detail10OpaqueTypeILi8EEEEEPdSC_PSA_SD_jNS1_19radix_merge_compareILb1ELb0EdNS0_19identity_decomposerEEEEEvT0_T1_T2_T3_T4_SL_T5_,comdat
.Lfunc_end144:
	.size	_ZN7rocprim17ROCPRIM_304000_NS6detail33device_block_merge_oddeven_kernelINS1_37wrapped_merge_sort_block_merge_configINS0_14default_configEdN2at4cuda3cub6detail10OpaqueTypeILi8EEEEEPdSC_PSA_SD_jNS1_19radix_merge_compareILb1ELb0EdNS0_19identity_decomposerEEEEEvT0_T1_T2_T3_T4_SL_T5_, .Lfunc_end144-_ZN7rocprim17ROCPRIM_304000_NS6detail33device_block_merge_oddeven_kernelINS1_37wrapped_merge_sort_block_merge_configINS0_14default_configEdN2at4cuda3cub6detail10OpaqueTypeILi8EEEEEPdSC_PSA_SD_jNS1_19radix_merge_compareILb1ELb0EdNS0_19identity_decomposerEEEEEvT0_T1_T2_T3_T4_SL_T5_
                                        ; -- End function
	.section	.AMDGPU.csdata,"",@progbits
; Kernel info:
; codeLenInByte = 1156
; NumSgprs: 22
; NumVgprs: 15
; ScratchSize: 0
; MemoryBound: 0
; FloatMode: 240
; IeeeMode: 1
; LDSByteSize: 0 bytes/workgroup (compile time only)
; SGPRBlocks: 2
; VGPRBlocks: 1
; NumSGPRsForWavesPerEU: 22
; NumVGPRsForWavesPerEU: 15
; Occupancy: 16
; WaveLimiterHint : 0
; COMPUTE_PGM_RSRC2:SCRATCH_EN: 0
; COMPUTE_PGM_RSRC2:USER_SGPR: 15
; COMPUTE_PGM_RSRC2:TRAP_HANDLER: 0
; COMPUTE_PGM_RSRC2:TGID_X_EN: 1
; COMPUTE_PGM_RSRC2:TGID_Y_EN: 0
; COMPUTE_PGM_RSRC2:TGID_Z_EN: 0
; COMPUTE_PGM_RSRC2:TIDIG_COMP_CNT: 0
	.section	.text._ZN7rocprim17ROCPRIM_304000_NS6detail16transform_kernelINS1_24wrapped_transform_configINS0_14default_configEdEEdPdS6_NS0_8identityIdEEEEvT1_mT2_T3_,"axG",@progbits,_ZN7rocprim17ROCPRIM_304000_NS6detail16transform_kernelINS1_24wrapped_transform_configINS0_14default_configEdEEdPdS6_NS0_8identityIdEEEEvT1_mT2_T3_,comdat
	.protected	_ZN7rocprim17ROCPRIM_304000_NS6detail16transform_kernelINS1_24wrapped_transform_configINS0_14default_configEdEEdPdS6_NS0_8identityIdEEEEvT1_mT2_T3_ ; -- Begin function _ZN7rocprim17ROCPRIM_304000_NS6detail16transform_kernelINS1_24wrapped_transform_configINS0_14default_configEdEEdPdS6_NS0_8identityIdEEEEvT1_mT2_T3_
	.globl	_ZN7rocprim17ROCPRIM_304000_NS6detail16transform_kernelINS1_24wrapped_transform_configINS0_14default_configEdEEdPdS6_NS0_8identityIdEEEEvT1_mT2_T3_
	.p2align	8
	.type	_ZN7rocprim17ROCPRIM_304000_NS6detail16transform_kernelINS1_24wrapped_transform_configINS0_14default_configEdEEdPdS6_NS0_8identityIdEEEEvT1_mT2_T3_,@function
_ZN7rocprim17ROCPRIM_304000_NS6detail16transform_kernelINS1_24wrapped_transform_configINS0_14default_configEdEEdPdS6_NS0_8identityIdEEEEvT1_mT2_T3_: ; @_ZN7rocprim17ROCPRIM_304000_NS6detail16transform_kernelINS1_24wrapped_transform_configINS0_14default_configEdEEdPdS6_NS0_8identityIdEEEEvT1_mT2_T3_
; %bb.0:
	s_clause 0x2
	s_load_b32 s3, s[0:1], 0x20
	s_load_b128 s[4:7], s[0:1], 0x0
	s_load_b64 s[0:1], s[0:1], 0x10
	v_lshlrev_b32_e32 v2, 3, v0
	s_lshl_b32 s2, s15, 9
	s_waitcnt lgkmcnt(0)
	s_add_i32 s7, s3, -1
	s_mov_b32 s3, 0
	s_cmp_lg_u32 s15, s7
	s_mov_b32 s7, -1
	s_cbranch_scc0 .LBB145_2
; %bb.1:
	s_lshl_b64 s[8:9], s[2:3], 3
	s_mov_b32 s7, s3
	s_add_u32 s10, s4, s8
	s_addc_u32 s11, s5, s9
	s_add_u32 s8, s0, s8
	global_load_b64 v[3:4], v2, s[10:11]
	s_addc_u32 s9, s1, s9
	s_waitcnt vmcnt(0)
	global_store_b64 v2, v[3:4], s[8:9]
.LBB145_2:
	s_and_not1_b32 vcc_lo, exec_lo, s7
	s_cbranch_vccnz .LBB145_7
; %bb.3:
	s_sub_i32 s6, s6, s2
	s_delay_alu instid0(SALU_CYCLE_1)
	v_cmp_gt_u32_e32 vcc_lo, s6, v0
                                        ; implicit-def: $vgpr0_vgpr1
	s_and_saveexec_b32 s6, vcc_lo
	s_cbranch_execz .LBB145_5
; %bb.4:
	s_lshl_b64 s[8:9], s[2:3], 3
	s_delay_alu instid0(SALU_CYCLE_1)
	s_add_u32 s4, s4, s8
	s_addc_u32 s5, s5, s9
	global_load_b64 v[0:1], v2, s[4:5]
.LBB145_5:
	s_or_b32 exec_lo, exec_lo, s6
	s_and_saveexec_b32 s4, vcc_lo
	s_cbranch_execz .LBB145_7
; %bb.6:
	s_lshl_b64 s[2:3], s[2:3], 3
	s_delay_alu instid0(SALU_CYCLE_1)
	s_add_u32 s0, s0, s2
	s_addc_u32 s1, s1, s3
	s_waitcnt vmcnt(0)
	global_store_b64 v2, v[0:1], s[0:1]
.LBB145_7:
	s_nop 0
	s_sendmsg sendmsg(MSG_DEALLOC_VGPRS)
	s_endpgm
	.section	.rodata,"a",@progbits
	.p2align	6, 0x0
	.amdhsa_kernel _ZN7rocprim17ROCPRIM_304000_NS6detail16transform_kernelINS1_24wrapped_transform_configINS0_14default_configEdEEdPdS6_NS0_8identityIdEEEEvT1_mT2_T3_
		.amdhsa_group_segment_fixed_size 0
		.amdhsa_private_segment_fixed_size 0
		.amdhsa_kernarg_size 288
		.amdhsa_user_sgpr_count 15
		.amdhsa_user_sgpr_dispatch_ptr 0
		.amdhsa_user_sgpr_queue_ptr 0
		.amdhsa_user_sgpr_kernarg_segment_ptr 1
		.amdhsa_user_sgpr_dispatch_id 0
		.amdhsa_user_sgpr_private_segment_size 0
		.amdhsa_wavefront_size32 1
		.amdhsa_uses_dynamic_stack 0
		.amdhsa_enable_private_segment 0
		.amdhsa_system_sgpr_workgroup_id_x 1
		.amdhsa_system_sgpr_workgroup_id_y 0
		.amdhsa_system_sgpr_workgroup_id_z 0
		.amdhsa_system_sgpr_workgroup_info 0
		.amdhsa_system_vgpr_workitem_id 0
		.amdhsa_next_free_vgpr 5
		.amdhsa_next_free_sgpr 16
		.amdhsa_reserve_vcc 1
		.amdhsa_float_round_mode_32 0
		.amdhsa_float_round_mode_16_64 0
		.amdhsa_float_denorm_mode_32 3
		.amdhsa_float_denorm_mode_16_64 3
		.amdhsa_dx10_clamp 1
		.amdhsa_ieee_mode 1
		.amdhsa_fp16_overflow 0
		.amdhsa_workgroup_processor_mode 1
		.amdhsa_memory_ordered 1
		.amdhsa_forward_progress 0
		.amdhsa_shared_vgpr_count 0
		.amdhsa_exception_fp_ieee_invalid_op 0
		.amdhsa_exception_fp_denorm_src 0
		.amdhsa_exception_fp_ieee_div_zero 0
		.amdhsa_exception_fp_ieee_overflow 0
		.amdhsa_exception_fp_ieee_underflow 0
		.amdhsa_exception_fp_ieee_inexact 0
		.amdhsa_exception_int_div_zero 0
	.end_amdhsa_kernel
	.section	.text._ZN7rocprim17ROCPRIM_304000_NS6detail16transform_kernelINS1_24wrapped_transform_configINS0_14default_configEdEEdPdS6_NS0_8identityIdEEEEvT1_mT2_T3_,"axG",@progbits,_ZN7rocprim17ROCPRIM_304000_NS6detail16transform_kernelINS1_24wrapped_transform_configINS0_14default_configEdEEdPdS6_NS0_8identityIdEEEEvT1_mT2_T3_,comdat
.Lfunc_end145:
	.size	_ZN7rocprim17ROCPRIM_304000_NS6detail16transform_kernelINS1_24wrapped_transform_configINS0_14default_configEdEEdPdS6_NS0_8identityIdEEEEvT1_mT2_T3_, .Lfunc_end145-_ZN7rocprim17ROCPRIM_304000_NS6detail16transform_kernelINS1_24wrapped_transform_configINS0_14default_configEdEEdPdS6_NS0_8identityIdEEEEvT1_mT2_T3_
                                        ; -- End function
	.section	.AMDGPU.csdata,"",@progbits
; Kernel info:
; codeLenInByte = 208
; NumSgprs: 18
; NumVgprs: 5
; ScratchSize: 0
; MemoryBound: 0
; FloatMode: 240
; IeeeMode: 1
; LDSByteSize: 0 bytes/workgroup (compile time only)
; SGPRBlocks: 2
; VGPRBlocks: 0
; NumSGPRsForWavesPerEU: 18
; NumVGPRsForWavesPerEU: 5
; Occupancy: 16
; WaveLimiterHint : 0
; COMPUTE_PGM_RSRC2:SCRATCH_EN: 0
; COMPUTE_PGM_RSRC2:USER_SGPR: 15
; COMPUTE_PGM_RSRC2:TRAP_HANDLER: 0
; COMPUTE_PGM_RSRC2:TGID_X_EN: 1
; COMPUTE_PGM_RSRC2:TGID_Y_EN: 0
; COMPUTE_PGM_RSRC2:TGID_Z_EN: 0
; COMPUTE_PGM_RSRC2:TIDIG_COMP_CNT: 0
	.section	.text._ZN7rocprim17ROCPRIM_304000_NS6detail26onesweep_histograms_kernelINS1_34wrapped_radix_sort_onesweep_configINS0_14default_configEdN2at4cuda3cub6detail10OpaqueTypeILi8EEEEELb1EPKdmNS0_19identity_decomposerEEEvT1_PT2_SG_SG_T3_jj,"axG",@progbits,_ZN7rocprim17ROCPRIM_304000_NS6detail26onesweep_histograms_kernelINS1_34wrapped_radix_sort_onesweep_configINS0_14default_configEdN2at4cuda3cub6detail10OpaqueTypeILi8EEEEELb1EPKdmNS0_19identity_decomposerEEEvT1_PT2_SG_SG_T3_jj,comdat
	.protected	_ZN7rocprim17ROCPRIM_304000_NS6detail26onesweep_histograms_kernelINS1_34wrapped_radix_sort_onesweep_configINS0_14default_configEdN2at4cuda3cub6detail10OpaqueTypeILi8EEEEELb1EPKdmNS0_19identity_decomposerEEEvT1_PT2_SG_SG_T3_jj ; -- Begin function _ZN7rocprim17ROCPRIM_304000_NS6detail26onesweep_histograms_kernelINS1_34wrapped_radix_sort_onesweep_configINS0_14default_configEdN2at4cuda3cub6detail10OpaqueTypeILi8EEEEELb1EPKdmNS0_19identity_decomposerEEEvT1_PT2_SG_SG_T3_jj
	.globl	_ZN7rocprim17ROCPRIM_304000_NS6detail26onesweep_histograms_kernelINS1_34wrapped_radix_sort_onesweep_configINS0_14default_configEdN2at4cuda3cub6detail10OpaqueTypeILi8EEEEELb1EPKdmNS0_19identity_decomposerEEEvT1_PT2_SG_SG_T3_jj
	.p2align	8
	.type	_ZN7rocprim17ROCPRIM_304000_NS6detail26onesweep_histograms_kernelINS1_34wrapped_radix_sort_onesweep_configINS0_14default_configEdN2at4cuda3cub6detail10OpaqueTypeILi8EEEEELb1EPKdmNS0_19identity_decomposerEEEvT1_PT2_SG_SG_T3_jj,@function
_ZN7rocprim17ROCPRIM_304000_NS6detail26onesweep_histograms_kernelINS1_34wrapped_radix_sort_onesweep_configINS0_14default_configEdN2at4cuda3cub6detail10OpaqueTypeILi8EEEEELb1EPKdmNS0_19identity_decomposerEEEvT1_PT2_SG_SG_T3_jj: ; @_ZN7rocprim17ROCPRIM_304000_NS6detail26onesweep_histograms_kernelINS1_34wrapped_radix_sort_onesweep_configINS0_14default_configEdN2at4cuda3cub6detail10OpaqueTypeILi8EEEEELb1EPKdmNS0_19identity_decomposerEEEvT1_PT2_SG_SG_T3_jj
; %bb.0:
	s_clause 0x1
	s_load_b256 s[4:11], s[0:1], 0x0
	s_load_b64 s[12:13], s[0:1], 0x24
	s_mov_b32 s2, s15
	s_mov_b32 s3, 0
	v_lshlrev_b32_e32 v12, 3, v0
	s_lshl_b64 s[0:1], s[2:3], 15
	s_waitcnt lgkmcnt(0)
	v_cmp_ge_u64_e64 s9, s[2:3], s[10:11]
	s_add_u32 s4, s4, s0
	s_addc_u32 s5, s5, s1
	s_mov_b32 s0, -1
	s_delay_alu instid0(VALU_DEP_1)
	s_and_b32 vcc_lo, exec_lo, s9
	s_cbranch_vccz .LBB146_32
; %bb.1:
	s_lshl_b32 s0, s10, 12
                                        ; implicit-def: $vgpr1_vgpr2_vgpr3_vgpr4_vgpr5_vgpr6_vgpr7_vgpr8
	s_delay_alu instid0(SALU_CYCLE_1) | instskip(SKIP_1) | instid1(VALU_DEP_1)
	s_sub_i32 s3, s8, s0
	v_add_co_u32 v9, s0, s4, v12
	v_add_co_ci_u32_e64 v10, null, s5, 0, s0
	v_cmp_gt_u32_e64 s2, s3, v0
	s_delay_alu instid0(VALU_DEP_1)
	s_and_saveexec_b32 s0, s2
	s_cbranch_execz .LBB146_3
; %bb.2:
	global_load_b64 v[1:2], v[9:10], off
.LBB146_3:
	s_or_b32 exec_lo, exec_lo, s0
	v_or_b32_e32 v11, 0x400, v0
	s_delay_alu instid0(VALU_DEP_1) | instskip(NEXT) | instid1(VALU_DEP_1)
	v_cmp_gt_u32_e64 s1, s3, v11
	s_and_saveexec_b32 s0, s1
	s_cbranch_execz .LBB146_5
; %bb.4:
	v_add_co_u32 v3, vcc_lo, 0x2000, v9
	v_add_co_ci_u32_e32 v4, vcc_lo, 0, v10, vcc_lo
	global_load_b64 v[3:4], v[3:4], off
.LBB146_5:
	s_or_b32 exec_lo, exec_lo, s0
	v_or_b32_e32 v11, 0x800, v0
	s_delay_alu instid0(VALU_DEP_1) | instskip(NEXT) | instid1(VALU_DEP_1)
	v_cmp_gt_u32_e64 s0, s3, v11
	s_and_saveexec_b32 s8, s0
	s_cbranch_execz .LBB146_7
; %bb.6:
	v_add_co_u32 v5, vcc_lo, 0x4000, v9
	v_add_co_ci_u32_e32 v6, vcc_lo, 0, v10, vcc_lo
	global_load_b64 v[5:6], v[5:6], off
.LBB146_7:
	s_or_b32 exec_lo, exec_lo, s8
	v_or_b32_e32 v11, 0xc00, v0
	s_delay_alu instid0(VALU_DEP_1)
	v_cmp_gt_u32_e32 vcc_lo, s3, v11
	s_and_saveexec_b32 s8, vcc_lo
	s_cbranch_execz .LBB146_9
; %bb.8:
	v_add_co_u32 v7, s3, 0x6000, v9
	s_delay_alu instid0(VALU_DEP_1)
	v_add_co_ci_u32_e64 v8, s3, 0, v10, s3
	global_load_b64 v[7:8], v[7:8], off
.LBB146_9:
	s_or_b32 exec_lo, exec_lo, s8
	v_dual_mov_b32 v10, 0 :: v_dual_lshlrev_b32 v9, 2, v0
	s_cmp_gt_u32 s13, s12
	ds_store_2addr_stride64_b32 v9, v10, v10 offset1:16
	ds_store_2addr_stride64_b32 v9, v10, v10 offset0:32 offset1:48
	ds_store_2addr_stride64_b32 v9, v10, v10 offset0:64 offset1:80
	;; [unrolled: 1-line block ×3, first 2 shown]
	s_cselect_b32 s8, -1, 0
	s_cmp_le_u32 s13, s12
	s_waitcnt vmcnt(0) lgkmcnt(0)
	s_barrier
	buffer_gl0_inv
	s_cbranch_scc1 .LBB146_26
; %bb.10:
	v_cmp_gt_i64_e64 s3, 0, v[1:2]
	v_ashrrev_i32_e32 v9, 31, v2
	s_mov_b32 s10, 0
	s_brev_b32 s11, 1
	s_sub_i32 s9, s13, s12
	s_delay_alu instid0(VALU_DEP_1) | instskip(SKIP_1) | instid1(VALU_DEP_2)
	v_not_b32_e32 v9, v9
	v_cndmask_b32_e64 v10, 0x7fffffff, 0, s3
	v_xor_b32_e32 v1, v9, v1
	s_delay_alu instid0(VALU_DEP_2) | instskip(SKIP_1) | instid1(VALU_DEP_2)
	v_xor_b32_e32 v2, v10, v2
	v_dual_mov_b32 v10, 1 :: v_dual_and_b32 v9, 3, v0
	v_cmp_ne_u64_e64 s3, s[10:11], v[1:2]
	s_delay_alu instid0(VALU_DEP_2) | instskip(SKIP_1) | instid1(VALU_DEP_1)
	v_lshlrev_b32_e32 v9, 2, v9
	s_mov_b32 s10, s12
	v_mov_b32_e32 v11, v9
	s_delay_alu instid0(VALU_DEP_3)
	v_cndmask_b32_e64 v2, 0x7fffffff, v2, s3
	v_cndmask_b32_e64 v1, -1, v1, s3
	s_mov_b32 s3, s9
	s_branch .LBB146_12
	.p2align	6
.LBB146_11:                             ;   in Loop: Header=BB146_12 Depth=1
	s_or_b32 exec_lo, exec_lo, s11
	v_add_nc_u32_e32 v11, 0x1000, v11
	s_add_i32 s10, s10, 8
	s_add_i32 s3, s3, -8
	s_cmp_ge_u32 s10, s13
	s_cbranch_scc1 .LBB146_14
.LBB146_12:                             ; =>This Inner Loop Header: Depth=1
	s_and_saveexec_b32 s11, s2
	s_cbranch_execz .LBB146_11
; %bb.13:                               ;   in Loop: Header=BB146_12 Depth=1
	v_lshrrev_b64 v[13:14], s10, v[1:2]
	s_min_u32 s14, s3, 8
	s_delay_alu instid0(VALU_DEP_1) | instid1(SALU_CYCLE_1)
	v_bfe_u32 v13, v13, 0, s14
	s_delay_alu instid0(VALU_DEP_1)
	v_lshl_add_u32 v13, v13, 4, v11
	ds_add_u32 v13, v10
	s_branch .LBB146_11
.LBB146_14:
	v_cmp_gt_i64_e64 s2, 0, v[3:4]
	v_ashrrev_i32_e32 v1, 31, v4
	s_delay_alu instid0(VALU_DEP_1) | instskip(NEXT) | instid1(VALU_DEP_3)
	v_not_b32_e32 v1, v1
	v_cndmask_b32_e64 v2, 0x7fffffff, 0, s2
	s_mov_b32 s2, 0
	s_brev_b32 s3, 1
	s_delay_alu instid0(VALU_DEP_2) | instskip(NEXT) | instid1(VALU_DEP_2)
	v_xor_b32_e32 v1, v1, v3
	v_xor_b32_e32 v2, v2, v4
	v_dual_mov_b32 v3, 1 :: v_dual_mov_b32 v4, v9
	s_delay_alu instid0(VALU_DEP_2) | instskip(SKIP_1) | instid1(VALU_DEP_1)
	v_cmp_ne_u64_e64 s2, s[2:3], v[1:2]
	s_mov_b32 s3, s12
	v_cndmask_b32_e64 v2, 0x7fffffff, v2, s2
	v_cndmask_b32_e64 v1, -1, v1, s2
	s_mov_b32 s2, s9
	s_branch .LBB146_16
	.p2align	6
.LBB146_15:                             ;   in Loop: Header=BB146_16 Depth=1
	s_or_b32 exec_lo, exec_lo, s10
	v_add_nc_u32_e32 v4, 0x1000, v4
	s_add_i32 s3, s3, 8
	s_add_i32 s2, s2, -8
	s_cmp_lt_u32 s3, s13
	s_cbranch_scc0 .LBB146_18
.LBB146_16:                             ; =>This Inner Loop Header: Depth=1
	s_and_saveexec_b32 s10, s1
	s_cbranch_execz .LBB146_15
; %bb.17:                               ;   in Loop: Header=BB146_16 Depth=1
	v_lshrrev_b64 v[10:11], s3, v[1:2]
	s_min_u32 s11, s2, 8
	s_delay_alu instid0(VALU_DEP_1) | instid1(SALU_CYCLE_1)
	v_bfe_u32 v10, v10, 0, s11
	s_delay_alu instid0(VALU_DEP_1)
	v_lshl_add_u32 v10, v10, 4, v4
	ds_add_u32 v10, v3
	s_branch .LBB146_15
.LBB146_18:
	v_cmp_gt_i64_e64 s1, 0, v[5:6]
	v_ashrrev_i32_e32 v1, 31, v6
	s_mov_b32 s2, 0
	s_brev_b32 s3, 1
	v_dual_mov_b32 v3, 1 :: v_dual_mov_b32 v4, v9
	s_delay_alu instid0(VALU_DEP_3) | instskip(SKIP_1) | instid1(VALU_DEP_2)
	v_cndmask_b32_e64 v2, 0x7fffffff, 0, s1
	v_not_b32_e32 v1, v1
	v_xor_b32_e32 v2, v2, v6
	s_delay_alu instid0(VALU_DEP_2) | instskip(NEXT) | instid1(VALU_DEP_1)
	v_xor_b32_e32 v1, v1, v5
	v_cmp_ne_u64_e64 s1, s[2:3], v[1:2]
	s_mov_b32 s2, s12
	s_delay_alu instid0(VALU_DEP_1)
	v_cndmask_b32_e64 v2, 0x7fffffff, v2, s1
	v_cndmask_b32_e64 v1, -1, v1, s1
	s_mov_b32 s1, s9
	s_branch .LBB146_20
	.p2align	6
.LBB146_19:                             ;   in Loop: Header=BB146_20 Depth=1
	s_or_b32 exec_lo, exec_lo, s3
	v_add_nc_u32_e32 v4, 0x1000, v4
	s_add_i32 s2, s2, 8
	s_add_i32 s1, s1, -8
	s_cmp_lt_u32 s2, s13
	s_cbranch_scc0 .LBB146_22
.LBB146_20:                             ; =>This Inner Loop Header: Depth=1
	s_and_saveexec_b32 s3, s0
	s_cbranch_execz .LBB146_19
; %bb.21:                               ;   in Loop: Header=BB146_20 Depth=1
	v_lshrrev_b64 v[5:6], s2, v[1:2]
	s_min_u32 s10, s1, 8
	s_delay_alu instid0(VALU_DEP_1) | instid1(SALU_CYCLE_1)
	v_bfe_u32 v5, v5, 0, s10
	s_delay_alu instid0(VALU_DEP_1)
	v_lshl_add_u32 v5, v5, 4, v4
	ds_add_u32 v5, v3
	s_branch .LBB146_19
.LBB146_22:
	v_cmp_gt_i64_e64 s0, 0, v[7:8]
	v_ashrrev_i32_e32 v1, 31, v8
	v_mov_b32_e32 v3, 1
	s_delay_alu instid0(VALU_DEP_2) | instskip(NEXT) | instid1(VALU_DEP_4)
	v_not_b32_e32 v1, v1
	v_cndmask_b32_e64 v2, 0x7fffffff, 0, s0
	s_mov_b32 s0, 0
	s_brev_b32 s1, 1
	s_delay_alu instid0(VALU_DEP_2) | instskip(NEXT) | instid1(VALU_DEP_2)
	v_xor_b32_e32 v1, v1, v7
	v_xor_b32_e32 v2, v2, v8
	s_delay_alu instid0(VALU_DEP_1) | instskip(NEXT) | instid1(VALU_DEP_1)
	v_cmp_ne_u64_e64 s0, s[0:1], v[1:2]
	v_cndmask_b32_e64 v2, 0x7fffffff, v2, s0
	v_cndmask_b32_e64 v1, -1, v1, s0
	s_mov_b32 s0, s12
	s_branch .LBB146_24
	.p2align	6
.LBB146_23:                             ;   in Loop: Header=BB146_24 Depth=1
	s_or_b32 exec_lo, exec_lo, s1
	v_add_nc_u32_e32 v9, 0x1000, v9
	s_add_i32 s0, s0, 8
	s_add_i32 s9, s9, -8
	s_cmp_lt_u32 s0, s13
	s_cbranch_scc0 .LBB146_26
.LBB146_24:                             ; =>This Inner Loop Header: Depth=1
	s_and_saveexec_b32 s1, vcc_lo
	s_cbranch_execz .LBB146_23
; %bb.25:                               ;   in Loop: Header=BB146_24 Depth=1
	v_lshrrev_b64 v[4:5], s0, v[1:2]
	s_min_u32 s2, s9, 8
	s_delay_alu instid0(VALU_DEP_1) | instid1(SALU_CYCLE_1)
	v_bfe_u32 v4, v4, 0, s2
	s_delay_alu instid0(VALU_DEP_1)
	v_lshl_add_u32 v4, v4, 4, v9
	ds_add_u32 v4, v3
	s_branch .LBB146_23
.LBB146_26:
	s_and_b32 vcc_lo, exec_lo, s8
	s_waitcnt lgkmcnt(0)
	s_barrier
	buffer_gl0_inv
	s_cbranch_vccz .LBB146_31
; %bb.27:
	v_cmp_gt_u32_e32 vcc_lo, 0x100, v0
	v_dual_mov_b32 v2, 0 :: v_dual_lshlrev_b32 v3, 4, v0
	v_mov_b32_e32 v1, v0
	s_mov_b32 s1, s12
	s_set_inst_prefetch_distance 0x1
	s_branch .LBB146_29
	.p2align	6
.LBB146_28:                             ;   in Loop: Header=BB146_29 Depth=1
	s_or_b32 exec_lo, exec_lo, s2
	v_add_nc_u32_e32 v1, 0x100, v1
	v_add_nc_u32_e32 v3, 0x1000, v3
	s_add_i32 s1, s1, 8
	s_delay_alu instid0(SALU_CYCLE_1)
	s_cmp_lt_u32 s1, s13
	s_cbranch_scc0 .LBB146_31
.LBB146_29:                             ; =>This Inner Loop Header: Depth=1
	s_and_saveexec_b32 s2, vcc_lo
	s_cbranch_execz .LBB146_28
; %bb.30:                               ;   in Loop: Header=BB146_29 Depth=1
	ds_load_2addr_b32 v[4:5], v3 offset1:1
	ds_load_2addr_b32 v[6:7], v3 offset0:2 offset1:3
	v_lshlrev_b64 v[8:9], 3, v[1:2]
	s_waitcnt lgkmcnt(1)
	v_add_nc_u32_e32 v10, v5, v4
	s_delay_alu instid0(VALU_DEP_2) | instskip(NEXT) | instid1(VALU_DEP_1)
	v_add_co_u32 v4, s0, s6, v8
	v_add_co_ci_u32_e64 v5, s0, s7, v9, s0
	s_waitcnt lgkmcnt(0)
	s_delay_alu instid0(VALU_DEP_3)
	v_add3_u32 v6, v10, v6, v7
	v_mov_b32_e32 v7, v2
	global_atomic_add_u64 v[4:5], v[6:7], off
	s_branch .LBB146_28
.LBB146_31:
	s_set_inst_prefetch_distance 0x2
	s_mov_b32 s0, 0
.LBB146_32:
	s_delay_alu instid0(SALU_CYCLE_1)
	s_and_b32 vcc_lo, exec_lo, s0
	s_cbranch_vccz .LBB146_52
; %bb.33:
	v_add_co_u32 v5, s0, s4, v12
	s_delay_alu instid0(VALU_DEP_1) | instskip(SKIP_1) | instid1(VALU_DEP_2)
	v_add_co_ci_u32_e64 v6, null, s5, 0, s0
	s_cmp_lg_u32 s12, 0
	v_add_co_u32 v1, vcc_lo, 0x2000, v5
	s_delay_alu instid0(VALU_DEP_2)
	v_add_co_ci_u32_e32 v2, vcc_lo, 0, v6, vcc_lo
	v_add_co_u32 v3, vcc_lo, 0x4000, v5
	v_add_co_ci_u32_e32 v4, vcc_lo, 0, v6, vcc_lo
	v_add_co_u32 v10, vcc_lo, 0x6000, v5
	v_add_co_ci_u32_e32 v11, vcc_lo, 0, v6, vcc_lo
	s_clause 0x3
	global_load_b64 v[6:7], v[1:2], off
	global_load_b64 v[4:5], v[3:4], off
	global_load_b64 v[8:9], v12, s[4:5]
	global_load_b64 v[2:3], v[10:11], off
	s_cselect_b32 s0, -1, 0
	s_cmp_lg_u32 s13, 64
	v_lshlrev_b32_e32 v13, 2, v0
	s_cselect_b32 s1, -1, 0
	s_delay_alu instid0(SALU_CYCLE_1) | instskip(NEXT) | instid1(SALU_CYCLE_1)
	s_or_b32 s0, s0, s1
	s_and_b32 vcc_lo, exec_lo, s0
	s_mov_b32 s0, -1
	s_cbranch_vccz .LBB146_49
; %bb.34:
	v_mov_b32_e32 v1, 0
	s_cmp_gt_u32 s13, s12
	ds_store_2addr_stride64_b32 v13, v1, v1 offset1:16
	ds_store_2addr_stride64_b32 v13, v1, v1 offset0:32 offset1:48
	ds_store_2addr_stride64_b32 v13, v1, v1 offset0:64 offset1:80
	;; [unrolled: 1-line block ×3, first 2 shown]
	s_cselect_b32 s0, -1, 0
	s_cmp_le_u32 s13, s12
	s_waitcnt vmcnt(0) lgkmcnt(0)
	s_waitcnt_vscnt null, 0x0
	s_barrier
	buffer_gl0_inv
	s_cbranch_scc1 .LBB146_43
; %bb.35:
	v_cmp_gt_i64_e32 vcc_lo, 0, v[8:9]
	v_ashrrev_i32_e32 v1, 31, v9
	s_mov_b32 s2, 0
	s_brev_b32 s3, 1
	s_sub_i32 s1, s13, s12
	v_mov_b32_e32 v14, 1
	v_cndmask_b32_e64 v10, 0x7fffffff, 0, vcc_lo
	v_not_b32_e32 v1, v1
	s_delay_alu instid0(VALU_DEP_2) | instskip(NEXT) | instid1(VALU_DEP_2)
	v_xor_b32_e32 v11, v10, v9
	v_xor_b32_e32 v10, v1, v8
	v_and_b32_e32 v1, 3, v0
	s_delay_alu instid0(VALU_DEP_2) | instskip(NEXT) | instid1(VALU_DEP_2)
	v_cmp_ne_u64_e32 vcc_lo, s[2:3], v[10:11]
	v_lshlrev_b32_e32 v1, 2, v1
	s_mov_b32 s2, s1
	s_mov_b32 s3, s12
	v_cndmask_b32_e32 v10, -1, v10, vcc_lo
	v_cndmask_b32_e32 v11, 0x7fffffff, v11, vcc_lo
	v_mov_b32_e32 v15, v1
.LBB146_36:                             ; =>This Inner Loop Header: Depth=1
	s_delay_alu instid0(VALU_DEP_2) | instskip(SKIP_4) | instid1(VALU_DEP_1)
	v_lshrrev_b64 v[16:17], s3, v[10:11]
	s_min_u32 s4, s2, 8
	s_add_i32 s3, s3, 8
	s_add_i32 s2, s2, -8
	s_cmp_ge_u32 s3, s13
	v_bfe_u32 v16, v16, 0, s4
	s_delay_alu instid0(VALU_DEP_1)
	v_lshl_add_u32 v16, v16, 4, v15
	v_add_nc_u32_e32 v15, 0x1000, v15
	ds_add_u32 v16, v14
	s_cbranch_scc0 .LBB146_36
; %bb.37:
	v_cmp_gt_i64_e32 vcc_lo, 0, v[6:7]
	v_ashrrev_i32_e32 v10, 31, v7
	s_mov_b32 s2, 0
	s_brev_b32 s3, 1
	v_mov_b32_e32 v15, v1
	v_cndmask_b32_e64 v11, 0x7fffffff, 0, vcc_lo
	v_not_b32_e32 v10, v10
	s_delay_alu instid0(VALU_DEP_2) | instskip(NEXT) | instid1(VALU_DEP_2)
	v_xor_b32_e32 v11, v11, v7
	v_xor_b32_e32 v10, v10, v6
	s_delay_alu instid0(VALU_DEP_1)
	v_cmp_ne_u64_e32 vcc_lo, s[2:3], v[10:11]
	v_mov_b32_e32 v14, 1
	s_mov_b32 s2, s1
	s_mov_b32 s3, s12
	v_cndmask_b32_e32 v11, 0x7fffffff, v11, vcc_lo
	v_cndmask_b32_e32 v10, -1, v10, vcc_lo
.LBB146_38:                             ; =>This Inner Loop Header: Depth=1
	s_delay_alu instid0(VALU_DEP_1) | instskip(SKIP_4) | instid1(VALU_DEP_1)
	v_lshrrev_b64 v[16:17], s3, v[10:11]
	s_min_u32 s4, s2, 8
	s_add_i32 s3, s3, 8
	s_add_i32 s2, s2, -8
	s_cmp_lt_u32 s3, s13
	v_bfe_u32 v16, v16, 0, s4
	s_delay_alu instid0(VALU_DEP_1)
	v_lshl_add_u32 v16, v16, 4, v15
	v_add_nc_u32_e32 v15, 0x1000, v15
	ds_add_u32 v16, v14
	s_cbranch_scc1 .LBB146_38
; %bb.39:
	v_cmp_gt_i64_e32 vcc_lo, 0, v[4:5]
	v_ashrrev_i32_e32 v10, 31, v5
	s_mov_b32 s2, 0
	s_brev_b32 s3, 1
	v_mov_b32_e32 v15, v1
	v_cndmask_b32_e64 v11, 0x7fffffff, 0, vcc_lo
	v_not_b32_e32 v10, v10
	s_delay_alu instid0(VALU_DEP_2) | instskip(NEXT) | instid1(VALU_DEP_2)
	v_xor_b32_e32 v11, v11, v5
	v_xor_b32_e32 v10, v10, v4
	s_delay_alu instid0(VALU_DEP_1)
	v_cmp_ne_u64_e32 vcc_lo, s[2:3], v[10:11]
	v_mov_b32_e32 v14, 1
	s_mov_b32 s2, s1
	s_mov_b32 s3, s12
	v_cndmask_b32_e32 v11, 0x7fffffff, v11, vcc_lo
	v_cndmask_b32_e32 v10, -1, v10, vcc_lo
.LBB146_40:                             ; =>This Inner Loop Header: Depth=1
	s_delay_alu instid0(VALU_DEP_1) | instskip(SKIP_4) | instid1(VALU_DEP_1)
	v_lshrrev_b64 v[16:17], s3, v[10:11]
	s_min_u32 s4, s2, 8
	s_add_i32 s3, s3, 8
	s_add_i32 s2, s2, -8
	s_cmp_lt_u32 s3, s13
	v_bfe_u32 v16, v16, 0, s4
	s_delay_alu instid0(VALU_DEP_1)
	v_lshl_add_u32 v16, v16, 4, v15
	v_add_nc_u32_e32 v15, 0x1000, v15
	ds_add_u32 v16, v14
	s_cbranch_scc1 .LBB146_40
; %bb.41:
	v_cmp_gt_i64_e32 vcc_lo, 0, v[2:3]
	v_ashrrev_i32_e32 v10, 31, v3
	s_mov_b32 s2, 0
	s_brev_b32 s3, 1
	v_mov_b32_e32 v14, 1
	v_cndmask_b32_e64 v11, 0x7fffffff, 0, vcc_lo
	v_not_b32_e32 v10, v10
	s_delay_alu instid0(VALU_DEP_2) | instskip(NEXT) | instid1(VALU_DEP_2)
	v_xor_b32_e32 v11, v11, v3
	v_xor_b32_e32 v10, v10, v2
	s_delay_alu instid0(VALU_DEP_1)
	v_cmp_ne_u64_e32 vcc_lo, s[2:3], v[10:11]
	s_mov_b32 s2, s12
	v_cndmask_b32_e32 v11, 0x7fffffff, v11, vcc_lo
	v_cndmask_b32_e32 v10, -1, v10, vcc_lo
.LBB146_42:                             ; =>This Inner Loop Header: Depth=1
	s_delay_alu instid0(VALU_DEP_1) | instskip(SKIP_4) | instid1(VALU_DEP_1)
	v_lshrrev_b64 v[15:16], s2, v[10:11]
	s_min_u32 s3, s1, 8
	s_add_i32 s2, s2, 8
	s_add_i32 s1, s1, -8
	s_cmp_lt_u32 s2, s13
	v_bfe_u32 v15, v15, 0, s3
	s_delay_alu instid0(VALU_DEP_1)
	v_lshl_add_u32 v15, v15, 4, v1
	v_add_nc_u32_e32 v1, 0x1000, v1
	ds_add_u32 v15, v14
	s_cbranch_scc1 .LBB146_42
.LBB146_43:
	s_and_b32 vcc_lo, exec_lo, s0
	s_waitcnt lgkmcnt(0)
	s_barrier
	buffer_gl0_inv
	s_cbranch_vccz .LBB146_48
; %bb.44:
	v_cmp_gt_u32_e32 vcc_lo, 0x100, v0
	v_dual_mov_b32 v10, v0 :: v_dual_lshlrev_b32 v1, 4, v0
	v_mov_b32_e32 v11, 0
	s_set_inst_prefetch_distance 0x1
	s_branch .LBB146_46
	.p2align	6
.LBB146_45:                             ;   in Loop: Header=BB146_46 Depth=1
	s_or_b32 exec_lo, exec_lo, s1
	v_add_nc_u32_e32 v10, 0x100, v10
	v_add_nc_u32_e32 v1, 0x1000, v1
	s_add_i32 s12, s12, 8
	s_delay_alu instid0(SALU_CYCLE_1)
	s_cmp_ge_u32 s12, s13
	s_cbranch_scc1 .LBB146_48
.LBB146_46:                             ; =>This Inner Loop Header: Depth=1
	s_and_saveexec_b32 s1, vcc_lo
	s_cbranch_execz .LBB146_45
; %bb.47:                               ;   in Loop: Header=BB146_46 Depth=1
	ds_load_2addr_b32 v[14:15], v1 offset1:1
	ds_load_2addr_b32 v[16:17], v1 offset0:2 offset1:3
	v_lshlrev_b64 v[18:19], 3, v[10:11]
	s_waitcnt lgkmcnt(1)
	v_add_nc_u32_e32 v20, v15, v14
	s_delay_alu instid0(VALU_DEP_2) | instskip(NEXT) | instid1(VALU_DEP_1)
	v_add_co_u32 v14, s0, s6, v18
	v_add_co_ci_u32_e64 v15, s0, s7, v19, s0
	s_waitcnt lgkmcnt(0)
	s_delay_alu instid0(VALU_DEP_3)
	v_add3_u32 v16, v20, v16, v17
	v_mov_b32_e32 v17, v11
	global_atomic_add_u64 v[14:15], v[16:17], off
	s_branch .LBB146_45
.LBB146_48:
	s_set_inst_prefetch_distance 0x2
	s_mov_b32 s0, 0
.LBB146_49:
	s_delay_alu instid0(SALU_CYCLE_1)
	s_and_b32 vcc_lo, exec_lo, s0
	s_cbranch_vccz .LBB146_52
; %bb.50:
	s_waitcnt vmcnt(1)
	v_cmp_gt_i64_e32 vcc_lo, 0, v[8:9]
	v_ashrrev_i32_e32 v10, 31, v9
	s_mov_b32 s2, 0
	s_brev_b32 s3, 1
	v_cmp_gt_i64_e64 s0, 0, v[4:5]
	s_delay_alu instid0(VALU_DEP_2) | instskip(SKIP_2) | instid1(VALU_DEP_3)
	v_not_b32_e32 v10, v10
	v_cndmask_b32_e64 v11, 0x7fffffff, 0, vcc_lo
	v_cmp_gt_i64_e32 vcc_lo, 0, v[6:7]
	v_xor_b32_e32 v8, v10, v8
	s_delay_alu instid0(VALU_DEP_3) | instskip(SKIP_1) | instid1(VALU_DEP_2)
	v_xor_b32_e32 v9, v11, v9
	v_cndmask_b32_e64 v10, 0x7fffffff, 0, vcc_lo
	v_cmp_ne_u64_e32 vcc_lo, s[2:3], v[8:9]
	v_dual_mov_b32 v1, 0 :: v_dual_cndmask_b32 v8, -1, v8
	ds_store_2addr_stride64_b32 v13, v1, v1 offset1:16
	ds_store_2addr_stride64_b32 v13, v1, v1 offset0:32 offset1:48
	ds_store_2addr_stride64_b32 v13, v1, v1 offset0:64 offset1:80
	;; [unrolled: 1-line block ×3, first 2 shown]
	v_ashrrev_i32_e32 v13, 31, v7
	v_cndmask_b32_e32 v9, 0x7fffffff, v9, vcc_lo
	s_waitcnt vmcnt(0)
	v_cmp_gt_i64_e32 vcc_lo, 0, v[2:3]
	v_xor_b32_e32 v7, v10, v7
	v_cndmask_b32_e64 v10, 0x7fffffff, 0, s0
	v_not_b32_e32 v11, v13
	v_ashrrev_i32_e32 v13, 31, v5
	v_lshrrev_b32_e32 v15, 6, v8
	v_cndmask_b32_e64 v14, 0x7fffffff, 0, vcc_lo
	v_xor_b32_e32 v5, v10, v5
	v_and_b32_e32 v10, 3, v0
	v_not_b32_e32 v13, v13
	v_xor_b32_e32 v6, v11, v6
	v_lshrrev_b32_e32 v16, 14, v8
	s_waitcnt lgkmcnt(0)
	s_waitcnt_vscnt null, 0x0
	s_barrier
	v_xor_b32_e32 v4, v13, v4
	v_ashrrev_i32_e32 v13, 31, v3
	v_xor_b32_e32 v3, v14, v3
	v_and_or_b32 v14, 0x3fc, v15, v10
	v_and_or_b32 v15, 0x3fc, v16, v10
	v_lshrrev_b32_e32 v16, 22, v8
	v_cmp_ne_u64_e32 vcc_lo, s[2:3], v[6:7]
	v_lshlrev_b32_e32 v11, 2, v8
	v_alignbit_b32 v8, v9, v8, 30
	v_not_b32_e32 v13, v13
	v_dual_mov_b32 v17, 1 :: v_dual_lshlrev_b32 v14, 2, v14
	v_cndmask_b32_e32 v7, 0x7fffffff, v7, vcc_lo
	s_delay_alu instid0(VALU_DEP_4)
	v_and_or_b32 v8, 0x3fc, v8, v10
	v_cndmask_b32_e32 v6, -1, v6, vcc_lo
	v_cmp_ne_u64_e32 vcc_lo, s[2:3], v[4:5]
	v_and_or_b32 v11, 0x3fc, v11, v10
	v_xor_b32_e32 v2, v13, v2
	v_lshlrev_b32_e32 v8, 2, v8
	buffer_gl0_inv
	s_mov_b32 s0, exec_lo
	v_dual_cndmask_b32 v4, -1, v4 :: v_dual_lshlrev_b32 v11, 2, v11
	v_cndmask_b32_e32 v5, 0x7fffffff, v5, vcc_lo
	v_cmp_ne_u64_e32 vcc_lo, s[2:3], v[2:3]
	v_lshlrev_b32_e32 v13, 2, v15
	v_and_or_b32 v15, 0x3fc, v16, v10
	ds_add_u32 v11, v17
	ds_add_u32 v14, v17 offset:4096
	v_lshrrev_b32_e32 v14, 14, v9
	v_cndmask_b32_e32 v2, -1, v2, vcc_lo
	ds_add_u32 v13, v17 offset:8192
	v_lshlrev_b32_e32 v11, 2, v15
	v_lshrrev_b32_e32 v13, 6, v9
	v_lshrrev_b32_e32 v9, 22, v9
	v_cndmask_b32_e32 v3, 0x7fffffff, v3, vcc_lo
	ds_add_u32 v11, v17 offset:12288
	v_and_or_b32 v11, 0x3fc, v13, v10
	v_and_or_b32 v13, 0x3fc, v14, v10
	ds_add_u32 v8, v17 offset:16384
	v_lshlrev_b32_e32 v8, 2, v6
	v_and_or_b32 v9, 0x3fc, v9, v10
	v_lshlrev_b32_e32 v11, 2, v11
	v_lshlrev_b32_e32 v13, 2, v13
	ds_add_u32 v11, v17 offset:20480
	ds_add_u32 v13, v17 offset:24576
	v_lshrrev_b32_e32 v11, 6, v6
	v_and_or_b32 v8, 0x3fc, v8, v10
	v_lshrrev_b32_e32 v13, 14, v6
	v_lshrrev_b32_e32 v14, 22, v6
	v_lshlrev_b32_e32 v9, 2, v9
	v_and_or_b32 v11, 0x3fc, v11, v10
	v_lshlrev_b32_e32 v8, 2, v8
	v_and_or_b32 v13, 0x3fc, v13, v10
	v_and_or_b32 v14, 0x3fc, v14, v10
	ds_add_u32 v9, v17 offset:28672
	v_lshlrev_b32_e32 v9, 2, v11
	ds_add_u32 v8, v17
	v_lshlrev_b32_e32 v8, 2, v13
	v_alignbit_b32 v6, v7, v6, 30
	v_lshlrev_b32_e32 v11, 2, v14
	ds_add_u32 v9, v17 offset:4096
	ds_add_u32 v8, v17 offset:8192
	;; [unrolled: 1-line block ×3, first 2 shown]
	v_and_or_b32 v6, 0x3fc, v6, v10
	v_lshrrev_b32_e32 v8, 6, v7
	v_lshrrev_b32_e32 v9, 14, v7
	;; [unrolled: 1-line block ×3, first 2 shown]
	v_lshlrev_b32_e32 v11, 2, v4
	v_lshlrev_b32_e32 v6, 2, v6
	v_and_or_b32 v8, 0x3fc, v8, v10
	v_and_or_b32 v9, 0x3fc, v9, v10
	v_and_or_b32 v7, 0x3fc, v7, v10
	ds_add_u32 v6, v17 offset:16384
	v_lshlrev_b32_e32 v6, 2, v8
	v_and_or_b32 v8, 0x3fc, v11, v10
	v_lshlrev_b32_e32 v9, 2, v9
	v_lshrrev_b32_e32 v11, 6, v4
	ds_add_u32 v6, v17 offset:20480
	v_lshlrev_b32_e32 v6, 2, v7
	v_lshlrev_b32_e32 v7, 2, v8
	ds_add_u32 v9, v17 offset:24576
	v_and_or_b32 v8, 0x3fc, v11, v10
	v_lshrrev_b32_e32 v9, 14, v4
	ds_add_u32 v6, v17 offset:28672
	ds_add_u32 v7, v17
	v_lshrrev_b32_e32 v6, 22, v4
	v_alignbit_b32 v4, v5, v4, 30
	v_lshlrev_b32_e32 v7, 2, v8
	v_and_or_b32 v8, 0x3fc, v9, v10
	v_lshrrev_b32_e32 v9, 6, v5
	v_and_or_b32 v6, 0x3fc, v6, v10
	v_and_or_b32 v4, 0x3fc, v4, v10
	ds_add_u32 v7, v17 offset:4096
	v_lshlrev_b32_e32 v7, 2, v8
	v_and_or_b32 v8, 0x3fc, v9, v10
	v_lshlrev_b32_e32 v6, 2, v6
	v_lshlrev_b32_e32 v4, 2, v4
	ds_add_u32 v7, v17 offset:8192
	v_lshlrev_b32_e32 v7, 2, v8
	ds_add_u32 v6, v17 offset:12288
	ds_add_u32 v4, v17 offset:16384
	;; [unrolled: 1-line block ×3, first 2 shown]
	v_lshrrev_b32_e32 v4, 14, v5
	v_lshrrev_b32_e32 v5, 22, v5
	v_lshlrev_b32_e32 v6, 2, v2
	v_lshrrev_b32_e32 v7, 6, v2
	v_lshrrev_b32_e32 v8, 14, v2
	v_and_or_b32 v4, 0x3fc, v4, v10
	v_and_or_b32 v5, 0x3fc, v5, v10
	;; [unrolled: 1-line block ×5, first 2 shown]
	v_lshlrev_b32_e32 v4, 2, v4
	v_lshlrev_b32_e32 v5, 2, v5
	;; [unrolled: 1-line block ×5, first 2 shown]
	ds_add_u32 v4, v17 offset:24576
	ds_add_u32 v5, v17 offset:28672
	ds_add_u32 v6, v17
	ds_add_u32 v7, v17 offset:4096
	ds_add_u32 v8, v17 offset:8192
	v_lshrrev_b32_e32 v4, 22, v2
	v_alignbit_b32 v2, v3, v2, 30
	v_lshrrev_b32_e32 v5, 6, v3
	v_lshrrev_b32_e32 v6, 14, v3
	;; [unrolled: 1-line block ×3, first 2 shown]
	v_and_or_b32 v4, 0x3fc, v4, v10
	v_and_or_b32 v2, 0x3fc, v2, v10
	;; [unrolled: 1-line block ×5, first 2 shown]
	v_lshlrev_b32_e32 v4, 2, v4
	v_lshlrev_b32_e32 v2, 2, v2
	;; [unrolled: 1-line block ×5, first 2 shown]
	ds_add_u32 v4, v17 offset:12288
	ds_add_u32 v2, v17 offset:16384
	;; [unrolled: 1-line block ×5, first 2 shown]
	s_waitcnt lgkmcnt(0)
	s_barrier
	buffer_gl0_inv
	v_cmpx_gt_u32_e32 0x100, v0
	s_cbranch_execz .LBB146_52
; %bb.51:
	v_lshlrev_b32_e32 v6, 4, v0
	ds_load_2addr_b32 v[2:3], v6 offset1:1
	ds_load_2addr_b32 v[4:5], v6 offset0:2 offset1:3
	s_waitcnt lgkmcnt(1)
	v_add_nc_u32_e32 v0, v3, v2
	v_add_nc_u32_e32 v2, 0x1000, v6
	s_waitcnt lgkmcnt(0)
	s_delay_alu instid0(VALU_DEP_2)
	v_add3_u32 v0, v0, v4, v5
	v_add_nc_u32_e32 v4, 0x1008, v6
	global_atomic_add_u64 v12, v[0:1], s[6:7]
	ds_load_2addr_b32 v[2:3], v2 offset1:1
	ds_load_2addr_b32 v[4:5], v4 offset1:1
	s_waitcnt lgkmcnt(1)
	v_add_nc_u32_e32 v0, v3, v2
	v_add_nc_u32_e32 v2, 0x2000, v6
	s_waitcnt lgkmcnt(0)
	s_delay_alu instid0(VALU_DEP_2)
	v_add3_u32 v0, v0, v4, v5
	v_add_nc_u32_e32 v4, 0x2008, v6
	global_atomic_add_u64 v12, v[0:1], s[6:7] offset:2048
	ds_load_2addr_b32 v[2:3], v2 offset1:1
	ds_load_2addr_b32 v[4:5], v4 offset1:1
	s_waitcnt lgkmcnt(1)
	v_add_nc_u32_e32 v0, v3, v2
	v_or_b32_e32 v2, 0x1000, v12
	v_add_nc_u32_e32 v3, 0x3000, v6
	s_waitcnt lgkmcnt(0)
	s_delay_alu instid0(VALU_DEP_3)
	v_add3_u32 v0, v0, v4, v5
	v_add_nc_u32_e32 v4, 0x3008, v6
	global_atomic_add_u64 v2, v[0:1], s[6:7]
	ds_load_2addr_b32 v[2:3], v3 offset1:1
	ds_load_2addr_b32 v[4:5], v4 offset1:1
	s_waitcnt lgkmcnt(1)
	v_add_nc_u32_e32 v0, v3, v2
	v_or_b32_e32 v2, 0x1800, v12
	v_or_b32_e32 v3, 0x4000, v6
	s_waitcnt lgkmcnt(0)
	s_delay_alu instid0(VALU_DEP_3)
	v_add3_u32 v0, v0, v4, v5
	v_or_b32_e32 v4, 0x4008, v6
	global_atomic_add_u64 v2, v[0:1], s[6:7]
	ds_load_2addr_b32 v[2:3], v3 offset1:1
	ds_load_2addr_b32 v[4:5], v4 offset1:1
	s_waitcnt lgkmcnt(1)
	v_add_nc_u32_e32 v0, v3, v2
	v_or_b32_e32 v2, 0x2000, v12
	v_add_nc_u32_e32 v3, 0x5000, v6
	s_waitcnt lgkmcnt(0)
	s_delay_alu instid0(VALU_DEP_3)
	v_add3_u32 v0, v0, v4, v5
	v_add_nc_u32_e32 v4, 0x5008, v6
	global_atomic_add_u64 v2, v[0:1], s[6:7]
	ds_load_2addr_b32 v[2:3], v3 offset1:1
	ds_load_2addr_b32 v[4:5], v4 offset1:1
	s_waitcnt lgkmcnt(1)
	v_add_nc_u32_e32 v0, v3, v2
	v_or_b32_e32 v2, 0x2800, v12
	v_add_nc_u32_e32 v3, 0x6000, v6
	s_waitcnt lgkmcnt(0)
	s_delay_alu instid0(VALU_DEP_3)
	v_add3_u32 v0, v0, v4, v5
	v_add_nc_u32_e32 v4, 0x6008, v6
	;; [unrolled: 11-line block ×3, first 2 shown]
	global_atomic_add_u64 v2, v[0:1], s[6:7]
	ds_load_2addr_b32 v[2:3], v3 offset1:1
	ds_load_2addr_b32 v[4:5], v4 offset1:1
	s_waitcnt lgkmcnt(1)
	v_add_nc_u32_e32 v0, v3, v2
	v_or_b32_e32 v2, 0x3800, v12
	s_waitcnt lgkmcnt(0)
	s_delay_alu instid0(VALU_DEP_2)
	v_add3_u32 v0, v0, v4, v5
	global_atomic_add_u64 v2, v[0:1], s[6:7]
.LBB146_52:
	s_nop 0
	s_sendmsg sendmsg(MSG_DEALLOC_VGPRS)
	s_endpgm
	.section	.rodata,"a",@progbits
	.p2align	6, 0x0
	.amdhsa_kernel _ZN7rocprim17ROCPRIM_304000_NS6detail26onesweep_histograms_kernelINS1_34wrapped_radix_sort_onesweep_configINS0_14default_configEdN2at4cuda3cub6detail10OpaqueTypeILi8EEEEELb1EPKdmNS0_19identity_decomposerEEEvT1_PT2_SG_SG_T3_jj
		.amdhsa_group_segment_fixed_size 32768
		.amdhsa_private_segment_fixed_size 0
		.amdhsa_kernarg_size 44
		.amdhsa_user_sgpr_count 15
		.amdhsa_user_sgpr_dispatch_ptr 0
		.amdhsa_user_sgpr_queue_ptr 0
		.amdhsa_user_sgpr_kernarg_segment_ptr 1
		.amdhsa_user_sgpr_dispatch_id 0
		.amdhsa_user_sgpr_private_segment_size 0
		.amdhsa_wavefront_size32 1
		.amdhsa_uses_dynamic_stack 0
		.amdhsa_enable_private_segment 0
		.amdhsa_system_sgpr_workgroup_id_x 1
		.amdhsa_system_sgpr_workgroup_id_y 0
		.amdhsa_system_sgpr_workgroup_id_z 0
		.amdhsa_system_sgpr_workgroup_info 0
		.amdhsa_system_vgpr_workitem_id 0
		.amdhsa_next_free_vgpr 21
		.amdhsa_next_free_sgpr 16
		.amdhsa_reserve_vcc 1
		.amdhsa_float_round_mode_32 0
		.amdhsa_float_round_mode_16_64 0
		.amdhsa_float_denorm_mode_32 3
		.amdhsa_float_denorm_mode_16_64 3
		.amdhsa_dx10_clamp 1
		.amdhsa_ieee_mode 1
		.amdhsa_fp16_overflow 0
		.amdhsa_workgroup_processor_mode 1
		.amdhsa_memory_ordered 1
		.amdhsa_forward_progress 0
		.amdhsa_shared_vgpr_count 0
		.amdhsa_exception_fp_ieee_invalid_op 0
		.amdhsa_exception_fp_denorm_src 0
		.amdhsa_exception_fp_ieee_div_zero 0
		.amdhsa_exception_fp_ieee_overflow 0
		.amdhsa_exception_fp_ieee_underflow 0
		.amdhsa_exception_fp_ieee_inexact 0
		.amdhsa_exception_int_div_zero 0
	.end_amdhsa_kernel
	.section	.text._ZN7rocprim17ROCPRIM_304000_NS6detail26onesweep_histograms_kernelINS1_34wrapped_radix_sort_onesweep_configINS0_14default_configEdN2at4cuda3cub6detail10OpaqueTypeILi8EEEEELb1EPKdmNS0_19identity_decomposerEEEvT1_PT2_SG_SG_T3_jj,"axG",@progbits,_ZN7rocprim17ROCPRIM_304000_NS6detail26onesweep_histograms_kernelINS1_34wrapped_radix_sort_onesweep_configINS0_14default_configEdN2at4cuda3cub6detail10OpaqueTypeILi8EEEEELb1EPKdmNS0_19identity_decomposerEEEvT1_PT2_SG_SG_T3_jj,comdat
.Lfunc_end146:
	.size	_ZN7rocprim17ROCPRIM_304000_NS6detail26onesweep_histograms_kernelINS1_34wrapped_radix_sort_onesweep_configINS0_14default_configEdN2at4cuda3cub6detail10OpaqueTypeILi8EEEEELb1EPKdmNS0_19identity_decomposerEEEvT1_PT2_SG_SG_T3_jj, .Lfunc_end146-_ZN7rocprim17ROCPRIM_304000_NS6detail26onesweep_histograms_kernelINS1_34wrapped_radix_sort_onesweep_configINS0_14default_configEdN2at4cuda3cub6detail10OpaqueTypeILi8EEEEELb1EPKdmNS0_19identity_decomposerEEEvT1_PT2_SG_SG_T3_jj
                                        ; -- End function
	.section	.AMDGPU.csdata,"",@progbits
; Kernel info:
; codeLenInByte = 4148
; NumSgprs: 18
; NumVgprs: 21
; ScratchSize: 0
; MemoryBound: 1
; FloatMode: 240
; IeeeMode: 1
; LDSByteSize: 32768 bytes/workgroup (compile time only)
; SGPRBlocks: 2
; VGPRBlocks: 2
; NumSGPRsForWavesPerEU: 18
; NumVGPRsForWavesPerEU: 21
; Occupancy: 16
; WaveLimiterHint : 1
; COMPUTE_PGM_RSRC2:SCRATCH_EN: 0
; COMPUTE_PGM_RSRC2:USER_SGPR: 15
; COMPUTE_PGM_RSRC2:TRAP_HANDLER: 0
; COMPUTE_PGM_RSRC2:TGID_X_EN: 1
; COMPUTE_PGM_RSRC2:TGID_Y_EN: 0
; COMPUTE_PGM_RSRC2:TGID_Z_EN: 0
; COMPUTE_PGM_RSRC2:TIDIG_COMP_CNT: 0
	.section	.text._ZN7rocprim17ROCPRIM_304000_NS6detail31onesweep_scan_histograms_kernelINS1_34wrapped_radix_sort_onesweep_configINS0_14default_configEdN2at4cuda3cub6detail10OpaqueTypeILi8EEEEEmEEvPT0_,"axG",@progbits,_ZN7rocprim17ROCPRIM_304000_NS6detail31onesweep_scan_histograms_kernelINS1_34wrapped_radix_sort_onesweep_configINS0_14default_configEdN2at4cuda3cub6detail10OpaqueTypeILi8EEEEEmEEvPT0_,comdat
	.protected	_ZN7rocprim17ROCPRIM_304000_NS6detail31onesweep_scan_histograms_kernelINS1_34wrapped_radix_sort_onesweep_configINS0_14default_configEdN2at4cuda3cub6detail10OpaqueTypeILi8EEEEEmEEvPT0_ ; -- Begin function _ZN7rocprim17ROCPRIM_304000_NS6detail31onesweep_scan_histograms_kernelINS1_34wrapped_radix_sort_onesweep_configINS0_14default_configEdN2at4cuda3cub6detail10OpaqueTypeILi8EEEEEmEEvPT0_
	.globl	_ZN7rocprim17ROCPRIM_304000_NS6detail31onesweep_scan_histograms_kernelINS1_34wrapped_radix_sort_onesweep_configINS0_14default_configEdN2at4cuda3cub6detail10OpaqueTypeILi8EEEEEmEEvPT0_
	.p2align	8
	.type	_ZN7rocprim17ROCPRIM_304000_NS6detail31onesweep_scan_histograms_kernelINS1_34wrapped_radix_sort_onesweep_configINS0_14default_configEdN2at4cuda3cub6detail10OpaqueTypeILi8EEEEEmEEvPT0_,@function
_ZN7rocprim17ROCPRIM_304000_NS6detail31onesweep_scan_histograms_kernelINS1_34wrapped_radix_sort_onesweep_configINS0_14default_configEdN2at4cuda3cub6detail10OpaqueTypeILi8EEEEEmEEvPT0_: ; @_ZN7rocprim17ROCPRIM_304000_NS6detail31onesweep_scan_histograms_kernelINS1_34wrapped_radix_sort_onesweep_configINS0_14default_configEdN2at4cuda3cub6detail10OpaqueTypeILi8EEEEEmEEvPT0_
; %bb.0:
	s_load_b64 s[0:1], s[0:1], 0x0
	s_lshl_b32 s2, s15, 8
	s_mov_b32 s3, 0
	v_cmp_gt_u32_e32 vcc_lo, 0x100, v0
	s_lshl_b64 s[2:3], s[2:3], 3
	v_lshlrev_b32_e32 v5, 3, v0
                                        ; implicit-def: $vgpr1_vgpr2
	s_waitcnt lgkmcnt(0)
	s_add_u32 s8, s0, s2
	s_addc_u32 s9, s1, s3
	s_and_saveexec_b32 s0, vcc_lo
	s_cbranch_execz .LBB147_2
; %bb.1:
	global_load_b64 v[1:2], v5, s[8:9]
.LBB147_2:
	s_or_b32 exec_lo, exec_lo, s0
	v_mbcnt_lo_u32_b32 v6, -1, 0
	s_waitcnt vmcnt(0)
	v_mov_b32_dpp v8, v1 row_shr:1 row_mask:0xf bank_mask:0xf
	v_mov_b32_dpp v7, v2 row_shr:1 row_mask:0xf bank_mask:0xf
	s_delay_alu instid0(VALU_DEP_3) | instskip(NEXT) | instid1(VALU_DEP_1)
	v_dual_mov_b32 v3, v1 :: v_dual_and_b32 v4, 15, v6
	v_cmp_ne_u32_e64 s0, 0, v4
	s_delay_alu instid0(VALU_DEP_1)
	s_and_saveexec_b32 s2, s0
; %bb.3:
	v_add_co_u32 v3, s1, v1, v8
	s_delay_alu instid0(VALU_DEP_1) | instskip(NEXT) | instid1(VALU_DEP_2)
	v_add_co_ci_u32_e64 v2, s1, 0, v2, s1
	v_add_co_u32 v1, s1, 0, v3
	s_delay_alu instid0(VALU_DEP_1)
	v_add_co_ci_u32_e64 v2, s1, v7, v2, s1
; %bb.4:
	s_or_b32 exec_lo, exec_lo, s2
	v_mov_b32_dpp v8, v3 row_shr:2 row_mask:0xf bank_mask:0xf
	s_delay_alu instid0(VALU_DEP_2) | instskip(SKIP_1) | instid1(VALU_DEP_1)
	v_mov_b32_dpp v7, v2 row_shr:2 row_mask:0xf bank_mask:0xf
	v_cmp_lt_u32_e64 s1, 1, v4
	s_and_saveexec_b32 s3, s1
; %bb.5:
	s_delay_alu instid0(VALU_DEP_3) | instskip(NEXT) | instid1(VALU_DEP_1)
	v_add_co_u32 v3, s2, v1, v8
	v_add_co_ci_u32_e64 v2, s2, 0, v2, s2
	s_delay_alu instid0(VALU_DEP_2) | instskip(NEXT) | instid1(VALU_DEP_1)
	v_add_co_u32 v1, s2, 0, v3
	v_add_co_ci_u32_e64 v2, s2, v7, v2, s2
; %bb.6:
	s_or_b32 exec_lo, exec_lo, s3
	v_mov_b32_dpp v8, v3 row_shr:4 row_mask:0xf bank_mask:0xf
	s_delay_alu instid0(VALU_DEP_2) | instskip(SKIP_1) | instid1(VALU_DEP_1)
	v_mov_b32_dpp v7, v2 row_shr:4 row_mask:0xf bank_mask:0xf
	v_cmp_lt_u32_e64 s2, 3, v4
	s_and_saveexec_b32 s4, s2
; %bb.7:
	s_delay_alu instid0(VALU_DEP_3) | instskip(NEXT) | instid1(VALU_DEP_1)
	v_add_co_u32 v3, s3, v1, v8
	v_add_co_ci_u32_e64 v2, s3, 0, v2, s3
	s_delay_alu instid0(VALU_DEP_2) | instskip(NEXT) | instid1(VALU_DEP_1)
	v_add_co_u32 v1, s3, 0, v3
	;; [unrolled: 14-line block ×3, first 2 shown]
	v_add_co_ci_u32_e64 v2, s4, v7, v2, s4
; %bb.10:
	s_or_b32 exec_lo, exec_lo, s5
	ds_swizzle_b32 v4, v3 offset:swizzle(BROADCAST,32,15)
	ds_swizzle_b32 v3, v2 offset:swizzle(BROADCAST,32,15)
	v_and_b32_e32 v7, 16, v6
	s_delay_alu instid0(VALU_DEP_1) | instskip(NEXT) | instid1(VALU_DEP_1)
	v_cmp_ne_u32_e64 s4, 0, v7
	s_and_saveexec_b32 s6, s4
	s_cbranch_execz .LBB147_12
; %bb.11:
	s_waitcnt lgkmcnt(1)
	v_add_co_u32 v1, s5, v1, v4
	s_delay_alu instid0(VALU_DEP_1) | instskip(NEXT) | instid1(VALU_DEP_2)
	v_add_co_ci_u32_e64 v2, s5, 0, v2, s5
	v_add_co_u32 v1, s5, v1, 0
	s_waitcnt lgkmcnt(0)
	s_delay_alu instid0(VALU_DEP_2)
	v_add_co_ci_u32_e64 v2, s5, v2, v3, s5
.LBB147_12:
	s_or_b32 exec_lo, exec_lo, s6
	s_waitcnt lgkmcnt(0)
	v_and_b32_e32 v3, 31, v0
	v_lshrrev_b32_e32 v7, 5, v0
	s_mov_b32 s6, exec_lo
	s_delay_alu instid0(VALU_DEP_2)
	v_cmpx_eq_u32_e32 31, v3
	s_cbranch_execz .LBB147_14
; %bb.13:
	s_delay_alu instid0(VALU_DEP_2)
	v_lshlrev_b32_e32 v3, 3, v7
	ds_store_b64 v3, v[1:2]
.LBB147_14:
	s_or_b32 exec_lo, exec_lo, s6
	v_cmp_lt_u32_e64 s5, 31, v0
	s_mov_b32 s7, exec_lo
	s_waitcnt lgkmcnt(0)
	s_barrier
	buffer_gl0_inv
	v_cmpx_gt_u32_e32 32, v0
	s_cbranch_execz .LBB147_26
; %bb.15:
	ds_load_b64 v[3:4], v5
	s_waitcnt lgkmcnt(0)
	v_mov_b32_dpp v9, v3 row_shr:1 row_mask:0xf bank_mask:0xf
	v_mov_b32_dpp v8, v4 row_shr:1 row_mask:0xf bank_mask:0xf
	v_mov_b32_e32 v0, v3
	s_and_saveexec_b32 s6, s0
; %bb.16:
	s_delay_alu instid0(VALU_DEP_3) | instskip(NEXT) | instid1(VALU_DEP_1)
	v_add_co_u32 v0, s0, v3, v9
	v_add_co_ci_u32_e64 v4, s0, 0, v4, s0
	s_delay_alu instid0(VALU_DEP_2) | instskip(NEXT) | instid1(VALU_DEP_1)
	v_add_co_u32 v3, s0, 0, v0
	v_add_co_ci_u32_e64 v4, s0, v8, v4, s0
; %bb.17:
	s_or_b32 exec_lo, exec_lo, s6
	v_mov_b32_dpp v9, v0 row_shr:2 row_mask:0xf bank_mask:0xf
	s_delay_alu instid0(VALU_DEP_2)
	v_mov_b32_dpp v8, v4 row_shr:2 row_mask:0xf bank_mask:0xf
	s_and_saveexec_b32 s6, s1
; %bb.18:
	s_delay_alu instid0(VALU_DEP_2) | instskip(NEXT) | instid1(VALU_DEP_1)
	v_add_co_u32 v0, s0, v3, v9
	v_add_co_ci_u32_e64 v4, s0, 0, v4, s0
	s_delay_alu instid0(VALU_DEP_2) | instskip(NEXT) | instid1(VALU_DEP_1)
	v_add_co_u32 v3, s0, 0, v0
	v_add_co_ci_u32_e64 v4, s0, v8, v4, s0
; %bb.19:
	s_or_b32 exec_lo, exec_lo, s6
	v_mov_b32_dpp v9, v0 row_shr:4 row_mask:0xf bank_mask:0xf
	s_delay_alu instid0(VALU_DEP_2)
	v_mov_b32_dpp v8, v4 row_shr:4 row_mask:0xf bank_mask:0xf
	s_and_saveexec_b32 s1, s2
; %bb.20:
	s_delay_alu instid0(VALU_DEP_2) | instskip(NEXT) | instid1(VALU_DEP_1)
	;; [unrolled: 13-line block ×3, first 2 shown]
	v_add_co_u32 v0, s0, v3, v9
	v_add_co_ci_u32_e64 v4, s0, 0, v4, s0
	s_delay_alu instid0(VALU_DEP_2) | instskip(NEXT) | instid1(VALU_DEP_1)
	v_add_co_u32 v3, s0, 0, v0
	v_add_co_ci_u32_e64 v4, s0, v8, v4, s0
; %bb.23:
	s_or_b32 exec_lo, exec_lo, s1
	ds_swizzle_b32 v8, v0 offset:swizzle(BROADCAST,32,15)
	ds_swizzle_b32 v0, v4 offset:swizzle(BROADCAST,32,15)
	s_and_saveexec_b32 s1, s4
	s_cbranch_execz .LBB147_25
; %bb.24:
	s_waitcnt lgkmcnt(1)
	v_add_co_u32 v3, s0, v3, v8
	s_delay_alu instid0(VALU_DEP_1) | instskip(NEXT) | instid1(VALU_DEP_2)
	v_add_co_ci_u32_e64 v4, s0, 0, v4, s0
	v_add_co_u32 v3, s0, v3, 0
	s_waitcnt lgkmcnt(0)
	s_delay_alu instid0(VALU_DEP_2)
	v_add_co_ci_u32_e64 v4, s0, v4, v0, s0
.LBB147_25:
	s_or_b32 exec_lo, exec_lo, s1
	ds_store_b64 v5, v[3:4]
.LBB147_26:
	s_or_b32 exec_lo, exec_lo, s7
	v_mov_b32_e32 v3, 0
	v_mov_b32_e32 v4, 0
	s_waitcnt lgkmcnt(0)
	s_barrier
	buffer_gl0_inv
	s_and_saveexec_b32 s0, s5
	s_cbranch_execz .LBB147_28
; %bb.27:
	v_lshl_add_u32 v0, v7, 3, -8
	ds_load_b64 v[3:4], v0
.LBB147_28:
	s_or_b32 exec_lo, exec_lo, s0
	v_add_nc_u32_e32 v0, -1, v6
	s_delay_alu instid0(VALU_DEP_1) | instskip(NEXT) | instid1(VALU_DEP_1)
	v_cmp_gt_i32_e64 s0, 0, v0
	v_cndmask_b32_e64 v0, v0, v6, s0
	s_delay_alu instid0(VALU_DEP_1) | instskip(SKIP_2) | instid1(VALU_DEP_1)
	v_lshlrev_b32_e32 v7, 2, v0
	s_waitcnt lgkmcnt(0)
	v_add_co_u32 v0, s0, v3, v1
	v_add_co_ci_u32_e64 v1, s0, v4, v2, s0
	ds_bpermute_b32 v0, v7, v0
	ds_bpermute_b32 v1, v7, v1
	s_and_saveexec_b32 s0, vcc_lo
	s_cbranch_execz .LBB147_30
; %bb.29:
	v_cmp_eq_u32_e32 vcc_lo, 0, v6
	s_waitcnt lgkmcnt(0)
	v_dual_cndmask_b32 v1, v1, v4 :: v_dual_cndmask_b32 v0, v0, v3
	global_store_b64 v5, v[0:1], s[8:9]
.LBB147_30:
	s_nop 0
	s_sendmsg sendmsg(MSG_DEALLOC_VGPRS)
	s_endpgm
	.section	.rodata,"a",@progbits
	.p2align	6, 0x0
	.amdhsa_kernel _ZN7rocprim17ROCPRIM_304000_NS6detail31onesweep_scan_histograms_kernelINS1_34wrapped_radix_sort_onesweep_configINS0_14default_configEdN2at4cuda3cub6detail10OpaqueTypeILi8EEEEEmEEvPT0_
		.amdhsa_group_segment_fixed_size 256
		.amdhsa_private_segment_fixed_size 0
		.amdhsa_kernarg_size 8
		.amdhsa_user_sgpr_count 15
		.amdhsa_user_sgpr_dispatch_ptr 0
		.amdhsa_user_sgpr_queue_ptr 0
		.amdhsa_user_sgpr_kernarg_segment_ptr 1
		.amdhsa_user_sgpr_dispatch_id 0
		.amdhsa_user_sgpr_private_segment_size 0
		.amdhsa_wavefront_size32 1
		.amdhsa_uses_dynamic_stack 0
		.amdhsa_enable_private_segment 0
		.amdhsa_system_sgpr_workgroup_id_x 1
		.amdhsa_system_sgpr_workgroup_id_y 0
		.amdhsa_system_sgpr_workgroup_id_z 0
		.amdhsa_system_sgpr_workgroup_info 0
		.amdhsa_system_vgpr_workitem_id 0
		.amdhsa_next_free_vgpr 10
		.amdhsa_next_free_sgpr 16
		.amdhsa_reserve_vcc 1
		.amdhsa_float_round_mode_32 0
		.amdhsa_float_round_mode_16_64 0
		.amdhsa_float_denorm_mode_32 3
		.amdhsa_float_denorm_mode_16_64 3
		.amdhsa_dx10_clamp 1
		.amdhsa_ieee_mode 1
		.amdhsa_fp16_overflow 0
		.amdhsa_workgroup_processor_mode 1
		.amdhsa_memory_ordered 1
		.amdhsa_forward_progress 0
		.amdhsa_shared_vgpr_count 0
		.amdhsa_exception_fp_ieee_invalid_op 0
		.amdhsa_exception_fp_denorm_src 0
		.amdhsa_exception_fp_ieee_div_zero 0
		.amdhsa_exception_fp_ieee_overflow 0
		.amdhsa_exception_fp_ieee_underflow 0
		.amdhsa_exception_fp_ieee_inexact 0
		.amdhsa_exception_int_div_zero 0
	.end_amdhsa_kernel
	.section	.text._ZN7rocprim17ROCPRIM_304000_NS6detail31onesweep_scan_histograms_kernelINS1_34wrapped_radix_sort_onesweep_configINS0_14default_configEdN2at4cuda3cub6detail10OpaqueTypeILi8EEEEEmEEvPT0_,"axG",@progbits,_ZN7rocprim17ROCPRIM_304000_NS6detail31onesweep_scan_histograms_kernelINS1_34wrapped_radix_sort_onesweep_configINS0_14default_configEdN2at4cuda3cub6detail10OpaqueTypeILi8EEEEEmEEvPT0_,comdat
.Lfunc_end147:
	.size	_ZN7rocprim17ROCPRIM_304000_NS6detail31onesweep_scan_histograms_kernelINS1_34wrapped_radix_sort_onesweep_configINS0_14default_configEdN2at4cuda3cub6detail10OpaqueTypeILi8EEEEEmEEvPT0_, .Lfunc_end147-_ZN7rocprim17ROCPRIM_304000_NS6detail31onesweep_scan_histograms_kernelINS1_34wrapped_radix_sort_onesweep_configINS0_14default_configEdN2at4cuda3cub6detail10OpaqueTypeILi8EEEEEmEEvPT0_
                                        ; -- End function
	.section	.AMDGPU.csdata,"",@progbits
; Kernel info:
; codeLenInByte = 1104
; NumSgprs: 18
; NumVgprs: 10
; ScratchSize: 0
; MemoryBound: 0
; FloatMode: 240
; IeeeMode: 1
; LDSByteSize: 256 bytes/workgroup (compile time only)
; SGPRBlocks: 2
; VGPRBlocks: 1
; NumSGPRsForWavesPerEU: 18
; NumVGPRsForWavesPerEU: 10
; Occupancy: 16
; WaveLimiterHint : 0
; COMPUTE_PGM_RSRC2:SCRATCH_EN: 0
; COMPUTE_PGM_RSRC2:USER_SGPR: 15
; COMPUTE_PGM_RSRC2:TRAP_HANDLER: 0
; COMPUTE_PGM_RSRC2:TGID_X_EN: 1
; COMPUTE_PGM_RSRC2:TGID_Y_EN: 0
; COMPUTE_PGM_RSRC2:TGID_Z_EN: 0
; COMPUTE_PGM_RSRC2:TIDIG_COMP_CNT: 0
	.section	.text._ZN7rocprim17ROCPRIM_304000_NS6detail16transform_kernelINS1_24wrapped_transform_configINS0_14default_configEdEEdPKdPdNS0_8identityIdEEEEvT1_mT2_T3_,"axG",@progbits,_ZN7rocprim17ROCPRIM_304000_NS6detail16transform_kernelINS1_24wrapped_transform_configINS0_14default_configEdEEdPKdPdNS0_8identityIdEEEEvT1_mT2_T3_,comdat
	.protected	_ZN7rocprim17ROCPRIM_304000_NS6detail16transform_kernelINS1_24wrapped_transform_configINS0_14default_configEdEEdPKdPdNS0_8identityIdEEEEvT1_mT2_T3_ ; -- Begin function _ZN7rocprim17ROCPRIM_304000_NS6detail16transform_kernelINS1_24wrapped_transform_configINS0_14default_configEdEEdPKdPdNS0_8identityIdEEEEvT1_mT2_T3_
	.globl	_ZN7rocprim17ROCPRIM_304000_NS6detail16transform_kernelINS1_24wrapped_transform_configINS0_14default_configEdEEdPKdPdNS0_8identityIdEEEEvT1_mT2_T3_
	.p2align	8
	.type	_ZN7rocprim17ROCPRIM_304000_NS6detail16transform_kernelINS1_24wrapped_transform_configINS0_14default_configEdEEdPKdPdNS0_8identityIdEEEEvT1_mT2_T3_,@function
_ZN7rocprim17ROCPRIM_304000_NS6detail16transform_kernelINS1_24wrapped_transform_configINS0_14default_configEdEEdPKdPdNS0_8identityIdEEEEvT1_mT2_T3_: ; @_ZN7rocprim17ROCPRIM_304000_NS6detail16transform_kernelINS1_24wrapped_transform_configINS0_14default_configEdEEdPKdPdNS0_8identityIdEEEEvT1_mT2_T3_
; %bb.0:
	s_clause 0x2
	s_load_b32 s3, s[0:1], 0x20
	s_load_b128 s[4:7], s[0:1], 0x0
	s_load_b64 s[0:1], s[0:1], 0x10
	v_lshlrev_b32_e32 v2, 3, v0
	s_lshl_b32 s2, s15, 9
	s_waitcnt lgkmcnt(0)
	s_add_i32 s7, s3, -1
	s_mov_b32 s3, 0
	s_cmp_lg_u32 s15, s7
	s_mov_b32 s7, -1
	s_cbranch_scc0 .LBB148_2
; %bb.1:
	s_lshl_b64 s[8:9], s[2:3], 3
	s_mov_b32 s7, s3
	s_add_u32 s10, s4, s8
	s_addc_u32 s11, s5, s9
	s_add_u32 s8, s0, s8
	global_load_b64 v[3:4], v2, s[10:11]
	s_addc_u32 s9, s1, s9
	s_waitcnt vmcnt(0)
	global_store_b64 v2, v[3:4], s[8:9]
.LBB148_2:
	s_and_not1_b32 vcc_lo, exec_lo, s7
	s_cbranch_vccnz .LBB148_7
; %bb.3:
	s_sub_i32 s6, s6, s2
	s_delay_alu instid0(SALU_CYCLE_1)
	v_cmp_gt_u32_e32 vcc_lo, s6, v0
                                        ; implicit-def: $vgpr0_vgpr1
	s_and_saveexec_b32 s6, vcc_lo
	s_cbranch_execz .LBB148_5
; %bb.4:
	s_lshl_b64 s[8:9], s[2:3], 3
	s_delay_alu instid0(SALU_CYCLE_1)
	s_add_u32 s4, s4, s8
	s_addc_u32 s5, s5, s9
	global_load_b64 v[0:1], v2, s[4:5]
.LBB148_5:
	s_or_b32 exec_lo, exec_lo, s6
	s_and_saveexec_b32 s4, vcc_lo
	s_cbranch_execz .LBB148_7
; %bb.6:
	s_lshl_b64 s[2:3], s[2:3], 3
	s_delay_alu instid0(SALU_CYCLE_1)
	s_add_u32 s0, s0, s2
	s_addc_u32 s1, s1, s3
	s_waitcnt vmcnt(0)
	global_store_b64 v2, v[0:1], s[0:1]
.LBB148_7:
	s_nop 0
	s_sendmsg sendmsg(MSG_DEALLOC_VGPRS)
	s_endpgm
	.section	.rodata,"a",@progbits
	.p2align	6, 0x0
	.amdhsa_kernel _ZN7rocprim17ROCPRIM_304000_NS6detail16transform_kernelINS1_24wrapped_transform_configINS0_14default_configEdEEdPKdPdNS0_8identityIdEEEEvT1_mT2_T3_
		.amdhsa_group_segment_fixed_size 0
		.amdhsa_private_segment_fixed_size 0
		.amdhsa_kernarg_size 288
		.amdhsa_user_sgpr_count 15
		.amdhsa_user_sgpr_dispatch_ptr 0
		.amdhsa_user_sgpr_queue_ptr 0
		.amdhsa_user_sgpr_kernarg_segment_ptr 1
		.amdhsa_user_sgpr_dispatch_id 0
		.amdhsa_user_sgpr_private_segment_size 0
		.amdhsa_wavefront_size32 1
		.amdhsa_uses_dynamic_stack 0
		.amdhsa_enable_private_segment 0
		.amdhsa_system_sgpr_workgroup_id_x 1
		.amdhsa_system_sgpr_workgroup_id_y 0
		.amdhsa_system_sgpr_workgroup_id_z 0
		.amdhsa_system_sgpr_workgroup_info 0
		.amdhsa_system_vgpr_workitem_id 0
		.amdhsa_next_free_vgpr 5
		.amdhsa_next_free_sgpr 16
		.amdhsa_reserve_vcc 1
		.amdhsa_float_round_mode_32 0
		.amdhsa_float_round_mode_16_64 0
		.amdhsa_float_denorm_mode_32 3
		.amdhsa_float_denorm_mode_16_64 3
		.amdhsa_dx10_clamp 1
		.amdhsa_ieee_mode 1
		.amdhsa_fp16_overflow 0
		.amdhsa_workgroup_processor_mode 1
		.amdhsa_memory_ordered 1
		.amdhsa_forward_progress 0
		.amdhsa_shared_vgpr_count 0
		.amdhsa_exception_fp_ieee_invalid_op 0
		.amdhsa_exception_fp_denorm_src 0
		.amdhsa_exception_fp_ieee_div_zero 0
		.amdhsa_exception_fp_ieee_overflow 0
		.amdhsa_exception_fp_ieee_underflow 0
		.amdhsa_exception_fp_ieee_inexact 0
		.amdhsa_exception_int_div_zero 0
	.end_amdhsa_kernel
	.section	.text._ZN7rocprim17ROCPRIM_304000_NS6detail16transform_kernelINS1_24wrapped_transform_configINS0_14default_configEdEEdPKdPdNS0_8identityIdEEEEvT1_mT2_T3_,"axG",@progbits,_ZN7rocprim17ROCPRIM_304000_NS6detail16transform_kernelINS1_24wrapped_transform_configINS0_14default_configEdEEdPKdPdNS0_8identityIdEEEEvT1_mT2_T3_,comdat
.Lfunc_end148:
	.size	_ZN7rocprim17ROCPRIM_304000_NS6detail16transform_kernelINS1_24wrapped_transform_configINS0_14default_configEdEEdPKdPdNS0_8identityIdEEEEvT1_mT2_T3_, .Lfunc_end148-_ZN7rocprim17ROCPRIM_304000_NS6detail16transform_kernelINS1_24wrapped_transform_configINS0_14default_configEdEEdPKdPdNS0_8identityIdEEEEvT1_mT2_T3_
                                        ; -- End function
	.section	.AMDGPU.csdata,"",@progbits
; Kernel info:
; codeLenInByte = 208
; NumSgprs: 18
; NumVgprs: 5
; ScratchSize: 0
; MemoryBound: 0
; FloatMode: 240
; IeeeMode: 1
; LDSByteSize: 0 bytes/workgroup (compile time only)
; SGPRBlocks: 2
; VGPRBlocks: 0
; NumSGPRsForWavesPerEU: 18
; NumVGPRsForWavesPerEU: 5
; Occupancy: 16
; WaveLimiterHint : 0
; COMPUTE_PGM_RSRC2:SCRATCH_EN: 0
; COMPUTE_PGM_RSRC2:USER_SGPR: 15
; COMPUTE_PGM_RSRC2:TRAP_HANDLER: 0
; COMPUTE_PGM_RSRC2:TGID_X_EN: 1
; COMPUTE_PGM_RSRC2:TGID_Y_EN: 0
; COMPUTE_PGM_RSRC2:TGID_Z_EN: 0
; COMPUTE_PGM_RSRC2:TIDIG_COMP_CNT: 0
	.section	.text._ZN7rocprim17ROCPRIM_304000_NS6detail25onesweep_iteration_kernelINS1_34wrapped_radix_sort_onesweep_configINS0_14default_configEdN2at4cuda3cub6detail10OpaqueTypeILi8EEEEELb1EPKdPdPKSA_PSA_mNS0_19identity_decomposerEEEvT1_T2_T3_T4_jPT5_SO_PNS1_23onesweep_lookback_stateET6_jjj,"axG",@progbits,_ZN7rocprim17ROCPRIM_304000_NS6detail25onesweep_iteration_kernelINS1_34wrapped_radix_sort_onesweep_configINS0_14default_configEdN2at4cuda3cub6detail10OpaqueTypeILi8EEEEELb1EPKdPdPKSA_PSA_mNS0_19identity_decomposerEEEvT1_T2_T3_T4_jPT5_SO_PNS1_23onesweep_lookback_stateET6_jjj,comdat
	.protected	_ZN7rocprim17ROCPRIM_304000_NS6detail25onesweep_iteration_kernelINS1_34wrapped_radix_sort_onesweep_configINS0_14default_configEdN2at4cuda3cub6detail10OpaqueTypeILi8EEEEELb1EPKdPdPKSA_PSA_mNS0_19identity_decomposerEEEvT1_T2_T3_T4_jPT5_SO_PNS1_23onesweep_lookback_stateET6_jjj ; -- Begin function _ZN7rocprim17ROCPRIM_304000_NS6detail25onesweep_iteration_kernelINS1_34wrapped_radix_sort_onesweep_configINS0_14default_configEdN2at4cuda3cub6detail10OpaqueTypeILi8EEEEELb1EPKdPdPKSA_PSA_mNS0_19identity_decomposerEEEvT1_T2_T3_T4_jPT5_SO_PNS1_23onesweep_lookback_stateET6_jjj
	.globl	_ZN7rocprim17ROCPRIM_304000_NS6detail25onesweep_iteration_kernelINS1_34wrapped_radix_sort_onesweep_configINS0_14default_configEdN2at4cuda3cub6detail10OpaqueTypeILi8EEEEELb1EPKdPdPKSA_PSA_mNS0_19identity_decomposerEEEvT1_T2_T3_T4_jPT5_SO_PNS1_23onesweep_lookback_stateET6_jjj
	.p2align	8
	.type	_ZN7rocprim17ROCPRIM_304000_NS6detail25onesweep_iteration_kernelINS1_34wrapped_radix_sort_onesweep_configINS0_14default_configEdN2at4cuda3cub6detail10OpaqueTypeILi8EEEEELb1EPKdPdPKSA_PSA_mNS0_19identity_decomposerEEEvT1_T2_T3_T4_jPT5_SO_PNS1_23onesweep_lookback_stateET6_jjj,@function
_ZN7rocprim17ROCPRIM_304000_NS6detail25onesweep_iteration_kernelINS1_34wrapped_radix_sort_onesweep_configINS0_14default_configEdN2at4cuda3cub6detail10OpaqueTypeILi8EEEEELb1EPKdPdPKSA_PSA_mNS0_19identity_decomposerEEEvT1_T2_T3_T4_jPT5_SO_PNS1_23onesweep_lookback_stateET6_jjj: ; @_ZN7rocprim17ROCPRIM_304000_NS6detail25onesweep_iteration_kernelINS1_34wrapped_radix_sort_onesweep_configINS0_14default_configEdN2at4cuda3cub6detail10OpaqueTypeILi8EEEEELb1EPKdPdPKSA_PSA_mNS0_19identity_decomposerEEEvT1_T2_T3_T4_jPT5_SO_PNS1_23onesweep_lookback_stateET6_jjj
; %bb.0:
	s_clause 0x3
	s_load_b128 s[28:31], s[0:1], 0x44
	s_load_b256 s[16:23], s[0:1], 0x0
	s_load_b128 s[24:27], s[0:1], 0x28
	s_load_b64 s[12:13], s[0:1], 0x38
	v_and_b32_e32 v9, 0x3ff, v0
	v_mbcnt_lo_u32_b32 v18, -1, 0
	s_waitcnt lgkmcnt(0)
	s_cmp_ge_u32 s15, s30
	s_cbranch_scc0 .LBB149_66
; %bb.1:
	s_load_b32 s14, s[0:1], 0x20
	s_mov_b32 s4, -1
	s_lshl_b32 s2, s15, 12
	s_mov_b32 s5, s4
	s_mov_b32 s6, s4
	;; [unrolled: 1-line block ×7, first 2 shown]
	v_lshlrev_b32_e32 v21, 2, v9
	s_mov_b32 s3, 0
	s_lshl_b32 s33, s30, 12
	v_lshlrev_b32_e32 v19, 3, v18
	s_lshl_b64 s[30:31], s[2:3], 3
	v_and_b32_e32 v1, 0xf80, v21
	s_delay_alu instid0(VALU_DEP_1)
	v_lshlrev_b32_e32 v20, 3, v1
	s_waitcnt lgkmcnt(0)
	s_sub_i32 s34, s14, s33
	s_add_u32 s2, s16, s30
	v_or_b32_e32 v12, v18, v1
	s_addc_u32 s3, s17, s31
	v_add_co_u32 v1, s2, s2, v19
	s_delay_alu instid0(VALU_DEP_1) | instskip(NEXT) | instid1(VALU_DEP_3)
	v_add_co_ci_u32_e64 v2, null, s3, 0, s2
	v_cmp_gt_u32_e32 vcc_lo, s34, v12
	s_delay_alu instid0(VALU_DEP_3) | instskip(NEXT) | instid1(VALU_DEP_1)
	v_add_co_u32 v10, s2, v1, v20
	v_add_co_ci_u32_e64 v11, s2, 0, v2, s2
	v_dual_mov_b32 v1, s4 :: v_dual_mov_b32 v2, s5
	v_dual_mov_b32 v3, s6 :: v_dual_mov_b32 v8, s11
	v_dual_mov_b32 v4, s7 :: v_dual_mov_b32 v5, s8
	v_dual_mov_b32 v6, s9 :: v_dual_mov_b32 v7, s10
	s_and_saveexec_b32 s2, vcc_lo
	s_cbranch_execz .LBB149_3
; %bb.2:
	global_load_b64 v[1:2], v[10:11], off
	v_mov_b32_e32 v3, -1
	s_delay_alu instid0(VALU_DEP_1)
	v_mov_b32_e32 v4, v3
	v_mov_b32_e32 v5, v3
	;; [unrolled: 1-line block ×5, first 2 shown]
.LBB149_3:
	s_or_b32 exec_lo, exec_lo, s2
	v_add_nc_u32_e32 v13, 32, v12
	s_delay_alu instid0(VALU_DEP_1) | instskip(NEXT) | instid1(VALU_DEP_1)
	v_cmp_gt_u32_e64 s2, s34, v13
	s_and_saveexec_b32 s3, s2
	s_cbranch_execz .LBB149_5
; %bb.4:
	global_load_b64 v[3:4], v[10:11], off offset:256
.LBB149_5:
	s_or_b32 exec_lo, exec_lo, s3
	v_add_nc_u32_e32 v13, 64, v12
	s_delay_alu instid0(VALU_DEP_1) | instskip(NEXT) | instid1(VALU_DEP_1)
	v_cmp_gt_u32_e64 s3, s34, v13
	s_and_saveexec_b32 s4, s3
	s_cbranch_execz .LBB149_7
; %bb.6:
	global_load_b64 v[5:6], v[10:11], off offset:512
.LBB149_7:
	;; [unrolled: 9-line block ×3, first 2 shown]
	s_or_b32 exec_lo, exec_lo, s5
	s_clause 0x1
	s_load_b32 s5, s[0:1], 0x5c
	s_load_b32 s14, s[0:1], 0x50
	s_add_u32 s6, s0, 0x50
	s_addc_u32 s7, s1, 0
	s_waitcnt vmcnt(0)
	v_ashrrev_i32_e32 v10, 31, v2
	s_mov_b32 s8, 0
	s_brev_b32 s9, 1
	s_delay_alu instid0(VALU_DEP_1) | instskip(SKIP_4) | instid1(SALU_CYCLE_1)
	v_not_b32_e32 v10, v10
	s_waitcnt lgkmcnt(0)
	s_lshr_b32 s10, s5, 16
	s_cmp_lt_u32 s15, s14
	s_cselect_b32 s5, 12, 18
	s_add_u32 s6, s6, s5
	v_cmp_gt_i64_e64 s5, 0, v[1:2]
	v_xor_b32_e32 v1, v10, v1
	s_addc_u32 s7, s7, 0
	s_delay_alu instid0(VALU_DEP_2) | instskip(NEXT) | instid1(VALU_DEP_1)
	v_cndmask_b32_e64 v11, 0x7fffffff, 0, s5
	v_xor_b32_e32 v2, v11, v2
	s_delay_alu instid0(VALU_DEP_1) | instskip(NEXT) | instid1(VALU_DEP_1)
	v_cmp_ne_u64_e64 s5, s[8:9], v[1:2]
	v_cndmask_b32_e64 v11, 0x7fffffff, v2, s5
	v_cndmask_b32_e64 v10, -1, v1, s5
	s_lshl_b32 s5, -1, s29
	s_delay_alu instid0(SALU_CYCLE_1) | instskip(NEXT) | instid1(VALU_DEP_1)
	s_not_b32 s33, s5
	v_lshrrev_b64 v[10:11], s28, v[10:11]
	s_delay_alu instid0(VALU_DEP_1) | instskip(SKIP_2) | instid1(VALU_DEP_3)
	v_and_b32_e32 v14, s33, v10
	v_mov_b32_e32 v12, 0
	v_bfe_u32 v10, v0, 10, 10
	v_and_b32_e32 v11, 1, v14
	global_load_u16 v13, v12, s[6:7]
	v_lshlrev_b32_e32 v15, 30, v14
	v_lshlrev_b32_e32 v16, 29, v14
	;; [unrolled: 1-line block ×3, first 2 shown]
	v_add_co_u32 v11, s5, v11, -1
	s_delay_alu instid0(VALU_DEP_1)
	v_cndmask_b32_e64 v22, 0, 1, s5
	v_not_b32_e32 v26, v15
	v_cmp_gt_i32_e64 s6, 0, v15
	v_not_b32_e32 v15, v16
	v_lshlrev_b32_e32 v23, 27, v14
	v_cmp_ne_u32_e64 s5, 0, v22
	v_ashrrev_i32_e32 v26, 31, v26
	v_lshlrev_b32_e32 v24, 26, v14
	v_ashrrev_i32_e32 v15, 31, v15
	v_lshlrev_b32_e32 v25, 25, v14
	v_xor_b32_e32 v11, s5, v11
	v_cmp_gt_i32_e64 s5, 0, v16
	v_not_b32_e32 v16, v17
	v_xor_b32_e32 v26, s6, v26
	v_cmp_gt_i32_e64 s6, 0, v17
	v_and_b32_e32 v11, exec_lo, v11
	v_not_b32_e32 v17, v23
	v_ashrrev_i32_e32 v16, 31, v16
	v_xor_b32_e32 v15, s5, v15
	v_cmp_gt_i32_e64 s5, 0, v23
	v_and_b32_e32 v11, v11, v26
	v_not_b32_e32 v23, v24
	v_ashrrev_i32_e32 v17, 31, v17
	v_xor_b32_e32 v16, s6, v16
	v_lshlrev_b32_e32 v22, 24, v14
	v_and_b32_e32 v11, v11, v15
	v_cmp_gt_i32_e64 s6, 0, v24
	v_not_b32_e32 v15, v25
	v_ashrrev_i32_e32 v23, 31, v23
	v_xor_b32_e32 v17, s5, v17
	v_and_b32_e32 v11, v11, v16
	v_cmp_gt_i32_e64 s5, 0, v25
	v_not_b32_e32 v16, v22
	v_ashrrev_i32_e32 v15, 31, v15
	v_xor_b32_e32 v23, s6, v23
	v_and_b32_e32 v11, v11, v17
	v_bfe_u32 v17, v0, 20, 10
	v_cmp_gt_i32_e64 s6, 0, v22
	v_ashrrev_i32_e32 v16, 31, v16
	v_xor_b32_e32 v15, s5, v15
	v_and_b32_e32 v11, v11, v23
	v_mad_u32_u24 v17, v17, s10, v10
	v_mul_u32_u24_e32 v22, 9, v9
	v_xor_b32_e32 v16, s6, v16
	s_delay_alu instid0(VALU_DEP_4) | instskip(NEXT) | instid1(VALU_DEP_3)
	v_and_b32_e32 v15, v11, v15
	v_lshlrev_b32_e32 v23, 2, v22
	ds_store_2addr_b32 v23, v12, v12 offset0:32 offset1:33
	ds_store_2addr_b32 v23, v12, v12 offset0:34 offset1:35
	;; [unrolled: 1-line block ×4, first 2 shown]
	ds_store_b32 v23, v12 offset:160
	v_lshl_add_u32 v12, v14, 5, v14
	s_waitcnt vmcnt(0) lgkmcnt(0)
	s_barrier
	buffer_gl0_inv
	; wave barrier
	v_mad_u64_u32 v[10:11], null, v17, v13, v[9:10]
	v_and_b32_e32 v11, v15, v16
	s_delay_alu instid0(VALU_DEP_1) | instskip(NEXT) | instid1(VALU_DEP_3)
	v_mbcnt_lo_u32_b32 v22, v11, 0
	v_lshrrev_b32_e32 v10, 5, v10
	v_cmp_ne_u32_e64 s6, 0, v11
	s_delay_alu instid0(VALU_DEP_3) | instskip(NEXT) | instid1(VALU_DEP_3)
	v_cmp_eq_u32_e64 s5, 0, v22
	v_add_lshl_u32 v24, v12, v10, 2
	s_delay_alu instid0(VALU_DEP_2) | instskip(NEXT) | instid1(SALU_CYCLE_1)
	s_and_b32 s6, s6, s5
	s_and_saveexec_b32 s5, s6
	s_cbranch_execz .LBB149_11
; %bb.10:
	v_bcnt_u32_b32 v11, v11, 0
	ds_store_b32 v24, v11 offset:128
.LBB149_11:
	s_or_b32 exec_lo, exec_lo, s5
	v_cmp_gt_i64_e64 s5, 0, v[3:4]
	v_ashrrev_i32_e32 v11, 31, v4
	; wave barrier
	s_delay_alu instid0(VALU_DEP_1) | instskip(NEXT) | instid1(VALU_DEP_3)
	v_not_b32_e32 v11, v11
	v_cndmask_b32_e64 v12, 0x7fffffff, 0, s5
	s_delay_alu instid0(VALU_DEP_2) | instskip(NEXT) | instid1(VALU_DEP_2)
	v_xor_b32_e32 v3, v11, v3
	v_xor_b32_e32 v4, v12, v4
	s_delay_alu instid0(VALU_DEP_1) | instskip(NEXT) | instid1(VALU_DEP_1)
	v_cmp_ne_u64_e64 s5, s[8:9], v[3:4]
	v_cndmask_b32_e64 v12, 0x7fffffff, v4, s5
	v_cndmask_b32_e64 v11, -1, v3, s5
	s_delay_alu instid0(VALU_DEP_1) | instskip(NEXT) | instid1(VALU_DEP_1)
	v_lshrrev_b64 v[11:12], s28, v[11:12]
	v_and_b32_e32 v11, s33, v11
	s_delay_alu instid0(VALU_DEP_1)
	v_and_b32_e32 v12, 1, v11
	v_lshlrev_b32_e32 v13, 30, v11
	v_lshlrev_b32_e32 v14, 29, v11
	;; [unrolled: 1-line block ×4, first 2 shown]
	v_add_co_u32 v12, s5, v12, -1
	s_delay_alu instid0(VALU_DEP_1)
	v_cndmask_b32_e64 v16, 0, 1, s5
	v_not_b32_e32 v27, v13
	v_cmp_gt_i32_e64 s6, 0, v13
	v_not_b32_e32 v13, v14
	v_lshlrev_b32_e32 v25, 26, v11
	v_cmp_ne_u32_e64 s5, 0, v16
	v_ashrrev_i32_e32 v27, 31, v27
	v_lshlrev_b32_e32 v26, 25, v11
	v_ashrrev_i32_e32 v13, 31, v13
	v_lshlrev_b32_e32 v16, 24, v11
	v_xor_b32_e32 v12, s5, v12
	v_cmp_gt_i32_e64 s5, 0, v14
	v_not_b32_e32 v14, v15
	v_xor_b32_e32 v27, s6, v27
	v_cmp_gt_i32_e64 s6, 0, v15
	v_and_b32_e32 v12, exec_lo, v12
	v_not_b32_e32 v15, v17
	v_ashrrev_i32_e32 v14, 31, v14
	v_xor_b32_e32 v13, s5, v13
	v_cmp_gt_i32_e64 s5, 0, v17
	v_and_b32_e32 v12, v12, v27
	v_not_b32_e32 v17, v25
	v_ashrrev_i32_e32 v15, 31, v15
	v_xor_b32_e32 v14, s6, v14
	v_cmp_gt_i32_e64 s6, 0, v25
	v_and_b32_e32 v12, v12, v13
	v_not_b32_e32 v13, v26
	v_ashrrev_i32_e32 v17, 31, v17
	v_xor_b32_e32 v15, s5, v15
	v_cmp_gt_i32_e64 s5, 0, v26
	v_and_b32_e32 v12, v12, v14
	v_not_b32_e32 v14, v16
	v_ashrrev_i32_e32 v13, 31, v13
	v_xor_b32_e32 v17, s6, v17
	v_lshl_add_u32 v11, v11, 5, v11
	v_and_b32_e32 v12, v12, v15
	v_cmp_gt_i32_e64 s6, 0, v16
	v_ashrrev_i32_e32 v14, 31, v14
	v_xor_b32_e32 v13, s5, v13
	v_add_lshl_u32 v27, v11, v10, 2
	v_and_b32_e32 v12, v12, v17
	s_delay_alu instid0(VALU_DEP_4) | instskip(SKIP_2) | instid1(VALU_DEP_1)
	v_xor_b32_e32 v11, s6, v14
	ds_load_b32 v25, v27 offset:128
	v_and_b32_e32 v12, v12, v13
	; wave barrier
	v_and_b32_e32 v11, v12, v11
	s_delay_alu instid0(VALU_DEP_1) | instskip(SKIP_1) | instid1(VALU_DEP_2)
	v_mbcnt_lo_u32_b32 v26, v11, 0
	v_cmp_ne_u32_e64 s6, 0, v11
	v_cmp_eq_u32_e64 s5, 0, v26
	s_delay_alu instid0(VALU_DEP_1) | instskip(NEXT) | instid1(SALU_CYCLE_1)
	s_and_b32 s6, s6, s5
	s_and_saveexec_b32 s5, s6
	s_cbranch_execz .LBB149_13
; %bb.12:
	s_waitcnt lgkmcnt(0)
	v_bcnt_u32_b32 v11, v11, v25
	ds_store_b32 v27, v11 offset:128
.LBB149_13:
	s_or_b32 exec_lo, exec_lo, s5
	v_cmp_gt_i64_e64 s5, 0, v[5:6]
	v_ashrrev_i32_e32 v11, 31, v6
	; wave barrier
	s_delay_alu instid0(VALU_DEP_1) | instskip(NEXT) | instid1(VALU_DEP_3)
	v_not_b32_e32 v11, v11
	v_cndmask_b32_e64 v12, 0x7fffffff, 0, s5
	s_delay_alu instid0(VALU_DEP_2) | instskip(NEXT) | instid1(VALU_DEP_2)
	v_xor_b32_e32 v5, v11, v5
	v_xor_b32_e32 v6, v12, v6
	s_delay_alu instid0(VALU_DEP_1) | instskip(NEXT) | instid1(VALU_DEP_1)
	v_cmp_ne_u64_e64 s5, s[8:9], v[5:6]
	v_cndmask_b32_e64 v12, 0x7fffffff, v6, s5
	v_cndmask_b32_e64 v11, -1, v5, s5
	s_delay_alu instid0(VALU_DEP_1) | instskip(NEXT) | instid1(VALU_DEP_1)
	v_lshrrev_b64 v[11:12], s28, v[11:12]
	v_and_b32_e32 v11, s33, v11
	s_delay_alu instid0(VALU_DEP_1)
	v_and_b32_e32 v12, 1, v11
	v_lshlrev_b32_e32 v13, 30, v11
	v_lshlrev_b32_e32 v14, 29, v11
	;; [unrolled: 1-line block ×4, first 2 shown]
	v_add_co_u32 v12, s5, v12, -1
	s_delay_alu instid0(VALU_DEP_1)
	v_cndmask_b32_e64 v16, 0, 1, s5
	v_not_b32_e32 v30, v13
	v_cmp_gt_i32_e64 s6, 0, v13
	v_not_b32_e32 v13, v14
	v_lshlrev_b32_e32 v28, 26, v11
	v_cmp_ne_u32_e64 s5, 0, v16
	v_ashrrev_i32_e32 v30, 31, v30
	v_lshlrev_b32_e32 v29, 25, v11
	v_ashrrev_i32_e32 v13, 31, v13
	v_lshlrev_b32_e32 v16, 24, v11
	v_xor_b32_e32 v12, s5, v12
	v_cmp_gt_i32_e64 s5, 0, v14
	v_not_b32_e32 v14, v15
	v_xor_b32_e32 v30, s6, v30
	v_cmp_gt_i32_e64 s6, 0, v15
	v_and_b32_e32 v12, exec_lo, v12
	v_not_b32_e32 v15, v17
	v_ashrrev_i32_e32 v14, 31, v14
	v_xor_b32_e32 v13, s5, v13
	v_cmp_gt_i32_e64 s5, 0, v17
	v_and_b32_e32 v12, v12, v30
	v_not_b32_e32 v17, v28
	v_ashrrev_i32_e32 v15, 31, v15
	v_xor_b32_e32 v14, s6, v14
	v_cmp_gt_i32_e64 s6, 0, v28
	v_and_b32_e32 v12, v12, v13
	;; [unrolled: 5-line block ×3, first 2 shown]
	v_not_b32_e32 v14, v16
	v_ashrrev_i32_e32 v13, 31, v13
	v_xor_b32_e32 v17, s6, v17
	v_lshl_add_u32 v11, v11, 5, v11
	v_and_b32_e32 v12, v12, v15
	v_cmp_gt_i32_e64 s6, 0, v16
	v_ashrrev_i32_e32 v14, 31, v14
	v_xor_b32_e32 v13, s5, v13
	v_add_lshl_u32 v30, v11, v10, 2
	v_and_b32_e32 v12, v12, v17
	s_delay_alu instid0(VALU_DEP_4) | instskip(SKIP_2) | instid1(VALU_DEP_1)
	v_xor_b32_e32 v11, s6, v14
	ds_load_b32 v28, v30 offset:128
	v_and_b32_e32 v12, v12, v13
	; wave barrier
	v_and_b32_e32 v11, v12, v11
	s_delay_alu instid0(VALU_DEP_1) | instskip(SKIP_1) | instid1(VALU_DEP_2)
	v_mbcnt_lo_u32_b32 v29, v11, 0
	v_cmp_ne_u32_e64 s6, 0, v11
	v_cmp_eq_u32_e64 s5, 0, v29
	s_delay_alu instid0(VALU_DEP_1) | instskip(NEXT) | instid1(SALU_CYCLE_1)
	s_and_b32 s6, s6, s5
	s_and_saveexec_b32 s5, s6
	s_cbranch_execz .LBB149_15
; %bb.14:
	s_waitcnt lgkmcnt(0)
	v_bcnt_u32_b32 v11, v11, v28
	ds_store_b32 v30, v11 offset:128
.LBB149_15:
	s_or_b32 exec_lo, exec_lo, s5
	v_cmp_gt_i64_e64 s5, 0, v[7:8]
	v_ashrrev_i32_e32 v11, 31, v8
	; wave barrier
	v_add_nc_u32_e32 v34, 0x80, v23
	s_delay_alu instid0(VALU_DEP_2) | instskip(NEXT) | instid1(VALU_DEP_4)
	v_not_b32_e32 v11, v11
	v_cndmask_b32_e64 v12, 0x7fffffff, 0, s5
	s_delay_alu instid0(VALU_DEP_2) | instskip(NEXT) | instid1(VALU_DEP_2)
	v_xor_b32_e32 v7, v11, v7
	v_xor_b32_e32 v8, v12, v8
	s_delay_alu instid0(VALU_DEP_1) | instskip(NEXT) | instid1(VALU_DEP_1)
	v_cmp_ne_u64_e64 s5, s[8:9], v[7:8]
	v_cndmask_b32_e64 v12, 0x7fffffff, v8, s5
	v_cndmask_b32_e64 v11, -1, v7, s5
	s_delay_alu instid0(VALU_DEP_1) | instskip(NEXT) | instid1(VALU_DEP_1)
	v_lshrrev_b64 v[11:12], s28, v[11:12]
	v_and_b32_e32 v11, s33, v11
	s_delay_alu instid0(VALU_DEP_1)
	v_and_b32_e32 v12, 1, v11
	v_lshlrev_b32_e32 v13, 30, v11
	v_lshlrev_b32_e32 v14, 29, v11
	;; [unrolled: 1-line block ×4, first 2 shown]
	v_add_co_u32 v12, s5, v12, -1
	s_delay_alu instid0(VALU_DEP_1)
	v_cndmask_b32_e64 v16, 0, 1, s5
	v_not_b32_e32 v33, v13
	v_cmp_gt_i32_e64 s6, 0, v13
	v_not_b32_e32 v13, v14
	v_lshlrev_b32_e32 v31, 26, v11
	v_cmp_ne_u32_e64 s5, 0, v16
	v_ashrrev_i32_e32 v33, 31, v33
	v_lshlrev_b32_e32 v32, 25, v11
	v_ashrrev_i32_e32 v13, 31, v13
	v_lshlrev_b32_e32 v16, 24, v11
	v_xor_b32_e32 v12, s5, v12
	v_cmp_gt_i32_e64 s5, 0, v14
	v_not_b32_e32 v14, v15
	v_xor_b32_e32 v33, s6, v33
	v_cmp_gt_i32_e64 s6, 0, v15
	v_and_b32_e32 v12, exec_lo, v12
	v_not_b32_e32 v15, v17
	v_ashrrev_i32_e32 v14, 31, v14
	v_xor_b32_e32 v13, s5, v13
	v_cmp_gt_i32_e64 s5, 0, v17
	v_and_b32_e32 v12, v12, v33
	v_not_b32_e32 v17, v31
	v_ashrrev_i32_e32 v15, 31, v15
	v_xor_b32_e32 v14, s6, v14
	v_cmp_gt_i32_e64 s6, 0, v31
	v_and_b32_e32 v12, v12, v13
	;; [unrolled: 5-line block ×3, first 2 shown]
	v_not_b32_e32 v14, v16
	v_ashrrev_i32_e32 v13, 31, v13
	v_xor_b32_e32 v17, s6, v17
	v_lshl_add_u32 v11, v11, 5, v11
	v_and_b32_e32 v12, v12, v15
	v_cmp_gt_i32_e64 s6, 0, v16
	v_ashrrev_i32_e32 v14, 31, v14
	v_xor_b32_e32 v13, s5, v13
	v_add_lshl_u32 v33, v11, v10, 2
	v_and_b32_e32 v12, v12, v17
	s_delay_alu instid0(VALU_DEP_4) | instskip(SKIP_2) | instid1(VALU_DEP_1)
	v_xor_b32_e32 v10, s6, v14
	ds_load_b32 v31, v33 offset:128
	v_and_b32_e32 v11, v12, v13
	; wave barrier
	v_and_b32_e32 v10, v11, v10
	s_delay_alu instid0(VALU_DEP_1) | instskip(SKIP_1) | instid1(VALU_DEP_2)
	v_mbcnt_lo_u32_b32 v32, v10, 0
	v_cmp_ne_u32_e64 s6, 0, v10
	v_cmp_eq_u32_e64 s5, 0, v32
	s_delay_alu instid0(VALU_DEP_1) | instskip(NEXT) | instid1(SALU_CYCLE_1)
	s_and_b32 s6, s6, s5
	s_and_saveexec_b32 s5, s6
	s_cbranch_execz .LBB149_17
; %bb.16:
	s_waitcnt lgkmcnt(0)
	v_bcnt_u32_b32 v10, v10, v31
	ds_store_b32 v33, v10 offset:128
.LBB149_17:
	s_or_b32 exec_lo, exec_lo, s5
	; wave barrier
	s_waitcnt lgkmcnt(0)
	s_barrier
	buffer_gl0_inv
	ds_load_2addr_b32 v[16:17], v23 offset0:32 offset1:33
	ds_load_2addr_b32 v[14:15], v34 offset0:2 offset1:3
	;; [unrolled: 1-line block ×4, first 2 shown]
	ds_load_b32 v35, v34 offset:32
	v_and_b32_e32 v38, 16, v18
	v_and_b32_e32 v39, 31, v9
	s_mov_b32 s11, exec_lo
	s_delay_alu instid0(VALU_DEP_2) | instskip(SKIP_3) | instid1(VALU_DEP_1)
	v_cmp_eq_u32_e64 s9, 0, v38
	s_waitcnt lgkmcnt(3)
	v_add3_u32 v36, v17, v16, v14
	s_waitcnt lgkmcnt(2)
	v_add3_u32 v36, v36, v15, v12
	s_waitcnt lgkmcnt(1)
	s_delay_alu instid0(VALU_DEP_1) | instskip(SKIP_1) | instid1(VALU_DEP_1)
	v_add3_u32 v36, v36, v13, v10
	s_waitcnt lgkmcnt(0)
	v_add3_u32 v35, v36, v11, v35
	v_and_b32_e32 v36, 15, v18
	s_delay_alu instid0(VALU_DEP_2) | instskip(NEXT) | instid1(VALU_DEP_2)
	v_mov_b32_dpp v37, v35 row_shr:1 row_mask:0xf bank_mask:0xf
	v_cmp_eq_u32_e64 s5, 0, v36
	v_cmp_lt_u32_e64 s6, 1, v36
	v_cmp_lt_u32_e64 s7, 3, v36
	;; [unrolled: 1-line block ×3, first 2 shown]
	s_delay_alu instid0(VALU_DEP_4) | instskip(NEXT) | instid1(VALU_DEP_1)
	v_cndmask_b32_e64 v37, v37, 0, s5
	v_add_nc_u32_e32 v35, v37, v35
	s_delay_alu instid0(VALU_DEP_1) | instskip(NEXT) | instid1(VALU_DEP_1)
	v_mov_b32_dpp v37, v35 row_shr:2 row_mask:0xf bank_mask:0xf
	v_cndmask_b32_e64 v37, 0, v37, s6
	s_delay_alu instid0(VALU_DEP_1) | instskip(NEXT) | instid1(VALU_DEP_1)
	v_add_nc_u32_e32 v35, v35, v37
	v_mov_b32_dpp v37, v35 row_shr:4 row_mask:0xf bank_mask:0xf
	s_delay_alu instid0(VALU_DEP_1) | instskip(NEXT) | instid1(VALU_DEP_1)
	v_cndmask_b32_e64 v37, 0, v37, s7
	v_add_nc_u32_e32 v35, v35, v37
	s_delay_alu instid0(VALU_DEP_1) | instskip(NEXT) | instid1(VALU_DEP_1)
	v_mov_b32_dpp v37, v35 row_shr:8 row_mask:0xf bank_mask:0xf
	v_cndmask_b32_e64 v36, 0, v37, s8
	v_bfe_i32 v37, v18, 4, 1
	s_delay_alu instid0(VALU_DEP_2) | instskip(SKIP_4) | instid1(VALU_DEP_2)
	v_add_nc_u32_e32 v35, v35, v36
	ds_swizzle_b32 v36, v35 offset:swizzle(BROADCAST,32,15)
	s_waitcnt lgkmcnt(0)
	v_and_b32_e32 v37, v37, v36
	v_lshrrev_b32_e32 v36, 5, v9
	v_add_nc_u32_e32 v35, v35, v37
	v_cmpx_eq_u32_e32 31, v39
	s_cbranch_execz .LBB149_19
; %bb.18:
	s_delay_alu instid0(VALU_DEP_3)
	v_lshlrev_b32_e32 v37, 2, v36
	ds_store_b32 v37, v35
.LBB149_19:
	s_or_b32 exec_lo, exec_lo, s11
	v_cmp_lt_u32_e64 s10, 31, v9
	s_mov_b32 s35, exec_lo
	s_waitcnt lgkmcnt(0)
	s_barrier
	buffer_gl0_inv
	v_cmpx_gt_u32_e32 32, v9
	s_cbranch_execz .LBB149_21
; %bb.20:
	ds_load_b32 v37, v21
	s_waitcnt lgkmcnt(0)
	v_mov_b32_dpp v38, v37 row_shr:1 row_mask:0xf bank_mask:0xf
	s_delay_alu instid0(VALU_DEP_1) | instskip(NEXT) | instid1(VALU_DEP_1)
	v_cndmask_b32_e64 v38, v38, 0, s5
	v_add_nc_u32_e32 v37, v38, v37
	s_delay_alu instid0(VALU_DEP_1) | instskip(NEXT) | instid1(VALU_DEP_1)
	v_mov_b32_dpp v38, v37 row_shr:2 row_mask:0xf bank_mask:0xf
	v_cndmask_b32_e64 v38, 0, v38, s6
	s_delay_alu instid0(VALU_DEP_1) | instskip(NEXT) | instid1(VALU_DEP_1)
	v_add_nc_u32_e32 v37, v37, v38
	v_mov_b32_dpp v38, v37 row_shr:4 row_mask:0xf bank_mask:0xf
	s_delay_alu instid0(VALU_DEP_1) | instskip(NEXT) | instid1(VALU_DEP_1)
	v_cndmask_b32_e64 v38, 0, v38, s7
	v_add_nc_u32_e32 v37, v37, v38
	s_delay_alu instid0(VALU_DEP_1) | instskip(NEXT) | instid1(VALU_DEP_1)
	v_mov_b32_dpp v38, v37 row_shr:8 row_mask:0xf bank_mask:0xf
	v_cndmask_b32_e64 v38, 0, v38, s8
	s_delay_alu instid0(VALU_DEP_1) | instskip(SKIP_3) | instid1(VALU_DEP_1)
	v_add_nc_u32_e32 v37, v37, v38
	ds_swizzle_b32 v38, v37 offset:swizzle(BROADCAST,32,15)
	s_waitcnt lgkmcnt(0)
	v_cndmask_b32_e64 v38, v38, 0, s9
	v_add_nc_u32_e32 v37, v37, v38
	ds_store_b32 v21, v37
.LBB149_21:
	s_or_b32 exec_lo, exec_lo, s35
	v_mov_b32_e32 v21, 0
	s_waitcnt lgkmcnt(0)
	s_barrier
	buffer_gl0_inv
	s_and_saveexec_b32 s5, s10
	s_cbranch_execz .LBB149_23
; %bb.22:
	v_lshl_add_u32 v21, v36, 2, -4
	ds_load_b32 v21, v21
.LBB149_23:
	s_or_b32 exec_lo, exec_lo, s5
	v_add_nc_u32_e32 v36, -1, v18
	s_waitcnt lgkmcnt(0)
	v_add_nc_u32_e32 v35, v21, v35
	s_delay_alu instid0(VALU_DEP_2) | instskip(NEXT) | instid1(VALU_DEP_1)
	v_cmp_gt_i32_e64 s5, 0, v36
	v_cndmask_b32_e64 v36, v36, v18, s5
	v_cmp_eq_u32_e64 s5, 0, v18
	s_delay_alu instid0(VALU_DEP_2) | instskip(SKIP_4) | instid1(VALU_DEP_1)
	v_lshlrev_b32_e32 v36, 2, v36
	ds_bpermute_b32 v35, v36, v35
	s_waitcnt lgkmcnt(0)
	v_cndmask_b32_e64 v21, v35, v21, s5
	v_cmp_ne_u32_e64 s5, 0, v9
	v_cndmask_b32_e64 v21, 0, v21, s5
	v_cmp_gt_u32_e64 s5, 0x100, v9
	s_delay_alu instid0(VALU_DEP_2) | instskip(NEXT) | instid1(VALU_DEP_1)
	v_add_nc_u32_e32 v16, v21, v16
	v_add_nc_u32_e32 v17, v16, v17
	s_delay_alu instid0(VALU_DEP_1) | instskip(NEXT) | instid1(VALU_DEP_1)
	v_add_nc_u32_e32 v14, v17, v14
	v_add_nc_u32_e32 v15, v14, v15
	s_delay_alu instid0(VALU_DEP_1) | instskip(NEXT) | instid1(VALU_DEP_1)
	;; [unrolled: 3-line block ×3, first 2 shown]
	v_add_nc_u32_e32 v10, v13, v10
	v_add_nc_u32_e32 v11, v10, v11
	ds_store_2addr_b32 v23, v21, v16 offset0:32 offset1:33
	ds_store_2addr_b32 v34, v17, v14 offset0:2 offset1:3
	;; [unrolled: 1-line block ×4, first 2 shown]
	ds_store_b32 v34, v11 offset:32
	s_waitcnt lgkmcnt(0)
	s_barrier
	buffer_gl0_inv
	ds_load_b32 v14, v24 offset:128
	ds_load_b32 v15, v27 offset:128
	;; [unrolled: 1-line block ×4, first 2 shown]
                                        ; implicit-def: $vgpr12
                                        ; implicit-def: $vgpr13
	s_and_saveexec_b32 s7, s5
	s_cbranch_execz .LBB149_27
; %bb.24:
	v_mul_u32_u24_e32 v12, 33, v9
	s_mov_b32 s8, exec_lo
	s_delay_alu instid0(VALU_DEP_1)
	v_dual_mov_b32 v13, 0x1000 :: v_dual_lshlrev_b32 v16, 2, v12
	ds_load_b32 v12, v16 offset:128
	v_cmpx_ne_u32_e32 0xff, v9
	s_cbranch_execz .LBB149_26
; %bb.25:
	ds_load_b32 v13, v16 offset:260
.LBB149_26:
	s_or_b32 exec_lo, exec_lo, s8
	s_waitcnt lgkmcnt(0)
	v_sub_nc_u32_e32 v13, v13, v12
.LBB149_27:
	s_or_b32 exec_lo, exec_lo, s7
	v_add_nc_u32_e32 v17, v32, v31
	v_add_nc_u32_e32 v16, v26, v25
	;; [unrolled: 1-line block ×3, first 2 shown]
	s_waitcnt lgkmcnt(3)
	v_add_lshl_u32 v14, v14, v22, 3
	s_waitcnt lgkmcnt(0)
	v_add_lshl_u32 v17, v17, v10, 3
	v_add_lshl_u32 v15, v16, v15, 3
	;; [unrolled: 1-line block ×3, first 2 shown]
	s_barrier
	buffer_gl0_inv
	ds_store_b64 v14, v[1:2] offset:2048
	ds_store_b64 v15, v[3:4] offset:2048
	;; [unrolled: 1-line block ×4, first 2 shown]
	s_waitcnt lgkmcnt(0)
	s_barrier
	buffer_gl0_inv
	s_and_saveexec_b32 s7, s5
	s_cbranch_execz .LBB149_37
; %bb.28:
	v_lshl_or_b32 v3, s15, 8, v9
	v_dual_mov_b32 v4, 0 :: v_dual_mov_b32 v7, 0
	s_mov_b32 s8, 0
	s_mov_b32 s9, s15
	s_delay_alu instid0(VALU_DEP_1) | instskip(SKIP_1) | instid1(VALU_DEP_2)
	v_lshlrev_b64 v[1:2], 2, v[3:4]
	v_or_b32_e32 v3, 2.0, v13
	v_add_co_u32 v1, s6, s12, v1
	s_delay_alu instid0(VALU_DEP_1)
	v_add_co_ci_u32_e64 v2, s6, s13, v2, s6
                                        ; implicit-def: $sgpr6
	global_store_b32 v[1:2], v3, off
	s_branch .LBB149_30
	.p2align	6
.LBB149_29:                             ;   in Loop: Header=BB149_30 Depth=1
	s_or_b32 exec_lo, exec_lo, s10
	v_and_b32_e32 v5, 0x3fffffff, v8
	v_cmp_eq_u32_e64 s6, 0x80000000, v3
	s_delay_alu instid0(VALU_DEP_2) | instskip(NEXT) | instid1(VALU_DEP_2)
	v_add_nc_u32_e32 v7, v5, v7
	s_and_b32 s10, exec_lo, s6
	s_delay_alu instid0(SALU_CYCLE_1) | instskip(NEXT) | instid1(SALU_CYCLE_1)
	s_or_b32 s8, s10, s8
	s_and_not1_b32 exec_lo, exec_lo, s8
	s_cbranch_execz .LBB149_36
.LBB149_30:                             ; =>This Loop Header: Depth=1
                                        ;     Child Loop BB149_33 Depth 2
	s_or_b32 s6, s6, exec_lo
	s_cmp_eq_u32 s9, 0
	s_cbranch_scc1 .LBB149_35
; %bb.31:                               ;   in Loop: Header=BB149_30 Depth=1
	s_add_i32 s9, s9, -1
	s_mov_b32 s10, exec_lo
	v_lshl_or_b32 v3, s9, 8, v9
	s_delay_alu instid0(VALU_DEP_1) | instskip(NEXT) | instid1(VALU_DEP_1)
	v_lshlrev_b64 v[5:6], 2, v[3:4]
	v_add_co_u32 v5, s6, s12, v5
	s_delay_alu instid0(VALU_DEP_1) | instskip(SKIP_3) | instid1(VALU_DEP_1)
	v_add_co_ci_u32_e64 v6, s6, s13, v6, s6
	global_load_b32 v8, v[5:6], off glc
	s_waitcnt vmcnt(0)
	v_and_b32_e32 v3, -2.0, v8
	v_cmpx_eq_u32_e32 0, v3
	s_cbranch_execz .LBB149_29
; %bb.32:                               ;   in Loop: Header=BB149_30 Depth=1
	s_mov_b32 s11, 0
.LBB149_33:                             ;   Parent Loop BB149_30 Depth=1
                                        ; =>  This Inner Loop Header: Depth=2
	global_load_b32 v8, v[5:6], off glc
	s_waitcnt vmcnt(0)
	v_and_b32_e32 v3, -2.0, v8
	s_delay_alu instid0(VALU_DEP_1) | instskip(NEXT) | instid1(VALU_DEP_1)
	v_cmp_ne_u32_e64 s6, 0, v3
	s_or_b32 s11, s6, s11
	s_delay_alu instid0(SALU_CYCLE_1)
	s_and_not1_b32 exec_lo, exec_lo, s11
	s_cbranch_execnz .LBB149_33
; %bb.34:                               ;   in Loop: Header=BB149_30 Depth=1
	s_or_b32 exec_lo, exec_lo, s11
	s_branch .LBB149_29
.LBB149_35:                             ;   in Loop: Header=BB149_30 Depth=1
                                        ; implicit-def: $sgpr9
	s_and_b32 s10, exec_lo, s6
	s_delay_alu instid0(SALU_CYCLE_1) | instskip(NEXT) | instid1(SALU_CYCLE_1)
	s_or_b32 s8, s10, s8
	s_and_not1_b32 exec_lo, exec_lo, s8
	s_cbranch_execnz .LBB149_30
.LBB149_36:
	s_or_b32 exec_lo, exec_lo, s8
	v_add_nc_u32_e32 v3, v7, v13
	v_lshlrev_b32_e32 v4, 3, v9
	s_delay_alu instid0(VALU_DEP_2) | instskip(SKIP_3) | instid1(VALU_DEP_1)
	v_or_b32_e32 v3, 0x80000000, v3
	global_store_b32 v[1:2], v3, off
	global_load_b64 v[1:2], v4, s[24:25]
	v_sub_co_u32 v3, s6, v7, v12
	v_sub_co_ci_u32_e64 v5, null, 0, 0, s6
	s_waitcnt vmcnt(0)
	s_delay_alu instid0(VALU_DEP_2) | instskip(NEXT) | instid1(VALU_DEP_1)
	v_add_co_u32 v1, s6, v3, v1
	v_add_co_ci_u32_e64 v2, s6, v5, v2, s6
	ds_store_b64 v4, v[1:2]
.LBB149_37:
	s_or_b32 exec_lo, exec_lo, s7
	v_cmp_gt_u32_e64 s6, s34, v9
	v_lshlrev_b32_e32 v21, 3, v9
	s_waitcnt lgkmcnt(0)
	s_waitcnt_vscnt null, 0x0
	s_barrier
	buffer_gl0_inv
	s_and_saveexec_b32 s8, s6
	s_cbranch_execz .LBB149_39
; %bb.38:
	ds_load_b64 v[1:2], v21 offset:2048
	s_mov_b32 s10, 0
	s_brev_b32 s11, 1
	s_waitcnt lgkmcnt(0)
	v_cmp_ne_u64_e64 s7, s[10:11], v[1:2]
	v_ashrrev_i32_e32 v5, 31, v2
	s_delay_alu instid0(VALU_DEP_1) | instskip(NEXT) | instid1(VALU_DEP_3)
	v_not_b32_e32 v5, v5
	v_cndmask_b32_e64 v4, 0x7fffffff, v2, s7
	v_cndmask_b32_e64 v3, -1, v1, s7
	v_cmp_gt_i64_e64 s7, 0, v[1:2]
	s_delay_alu instid0(VALU_DEP_4) | instskip(NEXT) | instid1(VALU_DEP_3)
	v_xor_b32_e32 v1, v5, v1
	v_lshrrev_b64 v[3:4], s28, v[3:4]
	s_delay_alu instid0(VALU_DEP_3) | instskip(NEXT) | instid1(VALU_DEP_2)
	v_cndmask_b32_e64 v6, 0x7fffffff, 0, s7
	v_and_b32_e32 v3, s33, v3
	s_delay_alu instid0(VALU_DEP_2) | instskip(NEXT) | instid1(VALU_DEP_2)
	v_xor_b32_e32 v2, v6, v2
	v_lshlrev_b32_e32 v3, 3, v3
	ds_load_b64 v[3:4], v3
	s_waitcnt lgkmcnt(0)
	v_lshlrev_b64 v[3:4], 3, v[3:4]
	s_delay_alu instid0(VALU_DEP_1) | instskip(NEXT) | instid1(VALU_DEP_1)
	v_add_co_u32 v3, s7, s18, v3
	v_add_co_ci_u32_e64 v4, s7, s19, v4, s7
	s_delay_alu instid0(VALU_DEP_2) | instskip(NEXT) | instid1(VALU_DEP_1)
	v_add_co_u32 v3, s7, v3, v21
	v_add_co_ci_u32_e64 v4, s7, 0, v4, s7
	global_store_b64 v[3:4], v[1:2], off
.LBB149_39:
	s_or_b32 exec_lo, exec_lo, s8
	v_or_b32_e32 v1, 0x400, v9
	s_delay_alu instid0(VALU_DEP_1) | instskip(SKIP_1) | instid1(VALU_DEP_2)
	v_cmp_gt_u32_e64 s7, s34, v1
	v_lshlrev_b32_e32 v22, 3, v1
	s_and_saveexec_b32 s9, s7
	s_cbranch_execz .LBB149_41
; %bb.40:
	ds_load_b64 v[1:2], v21 offset:10240
	s_mov_b32 s10, 0
	s_brev_b32 s11, 1
	s_waitcnt lgkmcnt(0)
	v_cmp_ne_u64_e64 s8, s[10:11], v[1:2]
	v_ashrrev_i32_e32 v5, 31, v2
	s_delay_alu instid0(VALU_DEP_1) | instskip(NEXT) | instid1(VALU_DEP_3)
	v_not_b32_e32 v5, v5
	v_cndmask_b32_e64 v4, 0x7fffffff, v2, s8
	v_cndmask_b32_e64 v3, -1, v1, s8
	v_cmp_gt_i64_e64 s8, 0, v[1:2]
	s_delay_alu instid0(VALU_DEP_4) | instskip(NEXT) | instid1(VALU_DEP_3)
	v_xor_b32_e32 v1, v5, v1
	v_lshrrev_b64 v[3:4], s28, v[3:4]
	s_delay_alu instid0(VALU_DEP_3) | instskip(NEXT) | instid1(VALU_DEP_2)
	v_cndmask_b32_e64 v6, 0x7fffffff, 0, s8
	v_and_b32_e32 v3, s33, v3
	s_delay_alu instid0(VALU_DEP_2) | instskip(NEXT) | instid1(VALU_DEP_2)
	v_xor_b32_e32 v2, v6, v2
	v_lshlrev_b32_e32 v3, 3, v3
	ds_load_b64 v[3:4], v3
	s_waitcnt lgkmcnt(0)
	v_lshlrev_b64 v[3:4], 3, v[3:4]
	s_delay_alu instid0(VALU_DEP_1) | instskip(NEXT) | instid1(VALU_DEP_1)
	v_add_co_u32 v3, s8, s18, v3
	v_add_co_ci_u32_e64 v4, s8, s19, v4, s8
	s_delay_alu instid0(VALU_DEP_2) | instskip(NEXT) | instid1(VALU_DEP_1)
	v_add_co_u32 v3, s8, v3, v22
	v_add_co_ci_u32_e64 v4, s8, 0, v4, s8
	global_store_b64 v[3:4], v[1:2], off
.LBB149_41:
	s_or_b32 exec_lo, exec_lo, s9
	v_or_b32_e32 v1, 0x800, v9
	s_delay_alu instid0(VALU_DEP_1) | instskip(SKIP_1) | instid1(VALU_DEP_2)
	v_cmp_gt_u32_e64 s8, s34, v1
	v_lshlrev_b32_e32 v23, 3, v1
	;; [unrolled: 39-line block ×3, first 2 shown]
	s_and_saveexec_b32 s11, s9
	s_cbranch_execz .LBB149_45
; %bb.44:
	ds_load_b64 v[1:2], v21 offset:26624
	s_mov_b32 s34, 0
	s_brev_b32 s35, 1
	s_waitcnt lgkmcnt(0)
	v_cmp_ne_u64_e64 s10, s[34:35], v[1:2]
	v_ashrrev_i32_e32 v5, 31, v2
	s_delay_alu instid0(VALU_DEP_1) | instskip(NEXT) | instid1(VALU_DEP_3)
	v_not_b32_e32 v5, v5
	v_cndmask_b32_e64 v4, 0x7fffffff, v2, s10
	v_cndmask_b32_e64 v3, -1, v1, s10
	v_cmp_gt_i64_e64 s10, 0, v[1:2]
	s_delay_alu instid0(VALU_DEP_4) | instskip(NEXT) | instid1(VALU_DEP_3)
	v_xor_b32_e32 v1, v5, v1
	v_lshrrev_b64 v[3:4], s28, v[3:4]
	s_delay_alu instid0(VALU_DEP_3) | instskip(NEXT) | instid1(VALU_DEP_2)
	v_cndmask_b32_e64 v6, 0x7fffffff, 0, s10
	v_and_b32_e32 v3, s33, v3
	s_delay_alu instid0(VALU_DEP_2) | instskip(NEXT) | instid1(VALU_DEP_2)
	v_xor_b32_e32 v2, v6, v2
	v_lshlrev_b32_e32 v3, 3, v3
	ds_load_b64 v[3:4], v3
	s_waitcnt lgkmcnt(0)
	v_lshlrev_b64 v[3:4], 3, v[3:4]
	s_delay_alu instid0(VALU_DEP_1) | instskip(NEXT) | instid1(VALU_DEP_1)
	v_add_co_u32 v3, s10, s18, v3
	v_add_co_ci_u32_e64 v4, s10, s19, v4, s10
	s_delay_alu instid0(VALU_DEP_2) | instskip(NEXT) | instid1(VALU_DEP_1)
	v_add_co_u32 v3, s10, v3, v24
	v_add_co_ci_u32_e64 v4, s10, 0, v4, s10
	global_store_b64 v[3:4], v[1:2], off
.LBB149_45:
	s_or_b32 exec_lo, exec_lo, s11
	s_add_u32 s10, s20, s30
	s_addc_u32 s11, s21, s31
	v_add_co_u32 v1, s10, s10, v19
	s_delay_alu instid0(VALU_DEP_1) | instskip(NEXT) | instid1(VALU_DEP_2)
	v_add_co_ci_u32_e64 v2, null, s11, 0, s10
	v_add_co_u32 v10, s10, v1, v20
	s_delay_alu instid0(VALU_DEP_1) | instskip(SKIP_1) | instid1(SALU_CYCLE_1)
	v_add_co_ci_u32_e64 v11, s10, 0, v2, s10
                                        ; implicit-def: $vgpr1_vgpr2
	s_and_saveexec_b32 s10, vcc_lo
	s_xor_b32 s10, exec_lo, s10
	s_cbranch_execnz .LBB149_103
; %bb.46:
	s_or_b32 exec_lo, exec_lo, s10
                                        ; implicit-def: $vgpr3_vgpr4
	s_and_saveexec_b32 s10, s2
	s_cbranch_execnz .LBB149_104
.LBB149_47:
	s_or_b32 exec_lo, exec_lo, s10
                                        ; implicit-def: $vgpr5_vgpr6
	s_and_saveexec_b32 s2, s3
	s_cbranch_execnz .LBB149_105
.LBB149_48:
	s_or_b32 exec_lo, exec_lo, s2
                                        ; implicit-def: $vgpr7_vgpr8
	s_and_saveexec_b32 s2, s4
	s_cbranch_execz .LBB149_50
.LBB149_49:
	global_load_b64 v[7:8], v[10:11], off offset:768
.LBB149_50:
	s_or_b32 exec_lo, exec_lo, s2
	v_dual_mov_b32 v10, 0 :: v_dual_mov_b32 v19, 0
	s_and_saveexec_b32 s2, s6
	s_cbranch_execz .LBB149_52
; %bb.51:
	ds_load_b64 v[19:20], v21 offset:2048
	s_mov_b32 s10, 0
	s_brev_b32 s11, 1
	s_waitcnt lgkmcnt(0)
	v_cmp_ne_u64_e32 vcc_lo, s[10:11], v[19:20]
	v_cndmask_b32_e32 v20, 0x7fffffff, v20, vcc_lo
	v_cndmask_b32_e32 v19, -1, v19, vcc_lo
	s_delay_alu instid0(VALU_DEP_1) | instskip(NEXT) | instid1(VALU_DEP_1)
	v_lshrrev_b64 v[19:20], s28, v[19:20]
	v_and_b32_e32 v19, s33, v19
.LBB149_52:
	s_or_b32 exec_lo, exec_lo, s2
	s_and_saveexec_b32 s2, s7
	s_cbranch_execz .LBB149_54
; %bb.53:
	ds_load_b64 v[10:11], v21 offset:10240
	s_mov_b32 s10, 0
	s_brev_b32 s11, 1
	s_waitcnt lgkmcnt(0)
	v_cmp_ne_u64_e32 vcc_lo, s[10:11], v[10:11]
	v_cndmask_b32_e32 v11, 0x7fffffff, v11, vcc_lo
	v_cndmask_b32_e32 v10, -1, v10, vcc_lo
	s_delay_alu instid0(VALU_DEP_1) | instskip(NEXT) | instid1(VALU_DEP_1)
	v_lshrrev_b64 v[10:11], s28, v[10:11]
	v_and_b32_e32 v10, s33, v10
.LBB149_54:
	s_or_b32 exec_lo, exec_lo, s2
	v_dual_mov_b32 v11, 0 :: v_dual_mov_b32 v20, 0
	s_and_saveexec_b32 s2, s8
	s_cbranch_execz .LBB149_56
; %bb.55:
	ds_load_b64 v[25:26], v21 offset:18432
	s_mov_b32 s10, 0
	s_brev_b32 s11, 1
	s_waitcnt lgkmcnt(0)
	v_cmp_ne_u64_e32 vcc_lo, s[10:11], v[25:26]
	v_cndmask_b32_e32 v26, 0x7fffffff, v26, vcc_lo
	v_cndmask_b32_e32 v25, -1, v25, vcc_lo
	s_delay_alu instid0(VALU_DEP_1) | instskip(NEXT) | instid1(VALU_DEP_1)
	v_lshrrev_b64 v[25:26], s28, v[25:26]
	v_and_b32_e32 v20, s33, v25
.LBB149_56:
	s_or_b32 exec_lo, exec_lo, s2
	s_and_saveexec_b32 s2, s9
	s_cbranch_execz .LBB149_58
; %bb.57:
	ds_load_b64 v[25:26], v21 offset:26624
	s_mov_b32 s10, 0
	s_brev_b32 s11, 1
	s_waitcnt lgkmcnt(0)
	v_cmp_ne_u64_e32 vcc_lo, s[10:11], v[25:26]
	v_cndmask_b32_e32 v26, 0x7fffffff, v26, vcc_lo
	v_cndmask_b32_e32 v25, -1, v25, vcc_lo
	s_delay_alu instid0(VALU_DEP_1) | instskip(NEXT) | instid1(VALU_DEP_1)
	v_lshrrev_b64 v[25:26], s28, v[25:26]
	v_and_b32_e32 v11, s33, v25
.LBB149_58:
	s_or_b32 exec_lo, exec_lo, s2
	s_waitcnt vmcnt(0)
	s_waitcnt_vscnt null, 0x0
	s_barrier
	buffer_gl0_inv
	ds_store_b64 v14, v[1:2] offset:2048
	ds_store_b64 v15, v[3:4] offset:2048
	;; [unrolled: 1-line block ×4, first 2 shown]
	s_waitcnt lgkmcnt(0)
	s_barrier
	buffer_gl0_inv
	s_and_saveexec_b32 s2, s6
	s_cbranch_execnz .LBB149_106
; %bb.59:
	s_or_b32 exec_lo, exec_lo, s2
	s_and_saveexec_b32 s2, s7
	s_cbranch_execnz .LBB149_107
.LBB149_60:
	s_or_b32 exec_lo, exec_lo, s2
	s_and_saveexec_b32 s2, s8
	s_cbranch_execnz .LBB149_108
.LBB149_61:
	s_or_b32 exec_lo, exec_lo, s2
	s_and_saveexec_b32 s2, s9
	s_cbranch_execz .LBB149_63
.LBB149_62:
	v_lshlrev_b32_e32 v1, 3, v11
	ds_load_b64 v[1:2], v1
	ds_load_b64 v[3:4], v21 offset:26624
	s_waitcnt lgkmcnt(1)
	v_lshlrev_b64 v[1:2], 3, v[1:2]
	s_delay_alu instid0(VALU_DEP_1) | instskip(NEXT) | instid1(VALU_DEP_2)
	v_add_co_u32 v1, vcc_lo, s22, v1
	v_add_co_ci_u32_e32 v2, vcc_lo, s23, v2, vcc_lo
	s_delay_alu instid0(VALU_DEP_2) | instskip(NEXT) | instid1(VALU_DEP_2)
	v_add_co_u32 v1, vcc_lo, v1, v24
	v_add_co_ci_u32_e32 v2, vcc_lo, 0, v2, vcc_lo
	s_waitcnt lgkmcnt(0)
	global_store_b64 v[1:2], v[3:4], off
.LBB149_63:
	s_or_b32 exec_lo, exec_lo, s2
	s_add_i32 s14, s14, -1
	s_mov_b32 s2, 0
	s_cmp_eq_u32 s15, s14
	s_mov_b32 s8, 0
	s_cselect_b32 s3, -1, 0
                                        ; implicit-def: $vgpr1_vgpr2
	s_delay_alu instid0(SALU_CYCLE_1) | instskip(NEXT) | instid1(SALU_CYCLE_1)
	s_and_b32 s3, s5, s3
	s_and_saveexec_b32 s4, s3
	s_delay_alu instid0(SALU_CYCLE_1)
	s_xor_b32 s3, exec_lo, s4
; %bb.64:
	v_add_co_u32 v1, s4, v12, v13
	v_mov_b32_e32 v10, 0
	v_add_co_ci_u32_e64 v2, null, 0, 0, s4
	s_mov_b32 s8, exec_lo
; %bb.65:
	s_or_b32 exec_lo, exec_lo, s3
	s_delay_alu instid0(SALU_CYCLE_1)
	s_and_b32 vcc_lo, exec_lo, s2
	s_cbranch_vccnz .LBB149_67
	s_branch .LBB149_100
.LBB149_66:
	s_mov_b32 s8, 0
                                        ; implicit-def: $vgpr1_vgpr2
	s_cbranch_execz .LBB149_100
.LBB149_67:
	v_lshlrev_b32_e32 v21, 2, v9
	s_lshl_b32 s4, s15, 12
	s_mov_b32 s5, 0
	v_lshlrev_b32_e32 v19, 3, v18
	s_lshl_b64 s[6:7], s[4:5], 3
	v_and_b32_e32 v1, 0xf80, v21
	s_add_u32 s2, s16, s6
	s_addc_u32 s3, s17, s7
	s_delay_alu instid0(VALU_DEP_1) | instskip(SKIP_1) | instid1(VALU_DEP_1)
	v_dual_mov_b32 v13, 0 :: v_dual_lshlrev_b32 v20, 3, v1
	v_add_co_u32 v1, s2, s2, v19
	v_add_co_ci_u32_e64 v2, null, s3, 0, s2
	s_brev_b32 s3, 1
	s_delay_alu instid0(VALU_DEP_2) | instskip(NEXT) | instid1(VALU_DEP_2)
	v_add_co_u32 v1, vcc_lo, v1, v20
	v_add_co_ci_u32_e32 v2, vcc_lo, 0, v2, vcc_lo
	global_load_b64 v[10:11], v[1:2], off
	s_clause 0x1
	s_load_b32 s2, s[0:1], 0x5c
	s_load_b32 s9, s[0:1], 0x50
	s_add_u32 s0, s0, 0x50
	s_addc_u32 s1, s1, 0
	s_waitcnt lgkmcnt(0)
	s_lshr_b32 s4, s2, 16
	s_cmp_lt_u32 s15, s9
	s_cselect_b32 s2, 12, 18
	s_delay_alu instid0(SALU_CYCLE_1)
	s_add_u32 s0, s0, s2
	s_addc_u32 s1, s1, 0
	global_load_u16 v14, v13, s[0:1]
	s_clause 0x2
	global_load_b64 v[3:4], v[1:2], off offset:256
	global_load_b64 v[7:8], v[1:2], off offset:512
	;; [unrolled: 1-line block ×3, first 2 shown]
	s_mov_b32 s2, s5
	s_lshl_b32 s0, -1, s29
	s_delay_alu instid0(SALU_CYCLE_1) | instskip(SKIP_3) | instid1(VALU_DEP_1)
	s_not_b32 s10, s0
	s_waitcnt vmcnt(4)
	v_cmp_gt_i64_e32 vcc_lo, 0, v[10:11]
	v_ashrrev_i32_e32 v1, 31, v11
	v_not_b32_e32 v1, v1
	v_cndmask_b32_e64 v2, 0x7fffffff, 0, vcc_lo
	s_delay_alu instid0(VALU_DEP_2) | instskip(NEXT) | instid1(VALU_DEP_2)
	v_xor_b32_e32 v1, v1, v10
	v_xor_b32_e32 v2, v2, v11
	s_delay_alu instid0(VALU_DEP_1) | instskip(SKIP_2) | instid1(VALU_DEP_1)
	v_cmp_ne_u64_e32 vcc_lo, s[2:3], v[1:2]
	v_cndmask_b32_e32 v11, 0x7fffffff, v2, vcc_lo
	v_cndmask_b32_e32 v10, -1, v1, vcc_lo
	v_lshrrev_b64 v[10:11], s28, v[10:11]
	s_delay_alu instid0(VALU_DEP_1) | instskip(SKIP_2) | instid1(VALU_DEP_3)
	v_and_b32_e32 v15, s10, v10
	v_bfe_u32 v10, v0, 10, 10
	v_bfe_u32 v0, v0, 20, 10
	v_lshlrev_b32_e32 v12, 30, v15
	v_and_b32_e32 v11, 1, v15
	v_lshlrev_b32_e32 v16, 29, v15
	v_lshlrev_b32_e32 v17, 28, v15
	;; [unrolled: 1-line block ×3, first 2 shown]
	v_not_b32_e32 v26, v12
	v_add_co_u32 v11, s0, v11, -1
	s_delay_alu instid0(VALU_DEP_1)
	v_cndmask_b32_e64 v22, 0, 1, s0
	v_cmp_gt_i32_e64 s0, 0, v12
	v_not_b32_e32 v12, v16
	v_ashrrev_i32_e32 v26, 31, v26
	v_lshlrev_b32_e32 v24, 26, v15
	v_cmp_ne_u32_e32 vcc_lo, 0, v22
	v_lshlrev_b32_e32 v25, 25, v15
	v_ashrrev_i32_e32 v12, 31, v12
	v_xor_b32_e32 v26, s0, v26
	v_cmp_gt_i32_e64 s0, 0, v17
	v_xor_b32_e32 v11, vcc_lo, v11
	v_cmp_gt_i32_e32 vcc_lo, 0, v16
	v_not_b32_e32 v16, v17
	v_not_b32_e32 v17, v23
	v_lshlrev_b32_e32 v22, 24, v15
	v_and_b32_e32 v11, exec_lo, v11
	v_xor_b32_e32 v12, vcc_lo, v12
	v_ashrrev_i32_e32 v16, 31, v16
	v_cmp_gt_i32_e32 vcc_lo, 0, v23
	v_not_b32_e32 v23, v24
	v_and_b32_e32 v11, v11, v26
	v_ashrrev_i32_e32 v17, 31, v17
	v_xor_b32_e32 v16, s0, v16
	v_cmp_gt_i32_e64 s0, 0, v24
	v_ashrrev_i32_e32 v23, 31, v23
	v_and_b32_e32 v11, v11, v12
	v_not_b32_e32 v12, v25
	v_xor_b32_e32 v17, vcc_lo, v17
	v_cmp_gt_i32_e32 vcc_lo, 0, v25
	v_xor_b32_e32 v23, s0, v23
	v_and_b32_e32 v11, v11, v16
	v_not_b32_e32 v16, v22
	v_ashrrev_i32_e32 v12, 31, v12
	v_cmp_gt_i32_e64 s0, 0, v22
	v_mad_u32_u24 v0, v0, s4, v10
	v_and_b32_e32 v11, v11, v17
	v_ashrrev_i32_e32 v16, 31, v16
	v_xor_b32_e32 v12, vcc_lo, v12
	v_mul_u32_u24_e32 v17, 9, v9
	s_delay_alu instid0(VALU_DEP_4) | instskip(NEXT) | instid1(VALU_DEP_4)
	v_and_b32_e32 v11, v11, v23
	v_xor_b32_e32 v10, s0, v16
	s_delay_alu instid0(VALU_DEP_3)
	v_lshlrev_b32_e32 v22, 2, v17
	ds_store_2addr_b32 v22, v13, v13 offset0:32 offset1:33
	ds_store_2addr_b32 v22, v13, v13 offset0:34 offset1:35
	;; [unrolled: 1-line block ×4, first 2 shown]
	v_and_b32_e32 v16, v11, v12
	s_waitcnt vmcnt(3)
	v_mad_u64_u32 v[11:12], null, v0, v14, v[9:10]
	ds_store_b32 v22, v13 offset:160
	s_waitcnt vmcnt(0) lgkmcnt(0)
	s_waitcnt_vscnt null, 0x0
	v_and_b32_e32 v10, v16, v10
	s_barrier
	buffer_gl0_inv
	v_lshrrev_b32_e32 v12, 5, v11
	v_mbcnt_lo_u32_b32 v0, v10, 0
	v_lshl_add_u32 v11, v15, 5, v15
	v_cmp_ne_u32_e64 s0, 0, v10
	; wave barrier
	s_delay_alu instid0(VALU_DEP_3) | instskip(NEXT) | instid1(VALU_DEP_3)
	v_cmp_eq_u32_e32 vcc_lo, 0, v0
	v_add_lshl_u32 v23, v12, v11, 2
	s_delay_alu instid0(VALU_DEP_3) | instskip(NEXT) | instid1(SALU_CYCLE_1)
	s_and_b32 s1, s0, vcc_lo
	s_and_saveexec_b32 s0, s1
	s_cbranch_execz .LBB149_69
; %bb.68:
	v_bcnt_u32_b32 v10, v10, 0
	ds_store_b32 v23, v10 offset:128
.LBB149_69:
	s_or_b32 exec_lo, exec_lo, s0
	v_cmp_gt_i64_e32 vcc_lo, 0, v[3:4]
	v_ashrrev_i32_e32 v10, 31, v4
	; wave barrier
	s_delay_alu instid0(VALU_DEP_1) | instskip(SKIP_1) | instid1(VALU_DEP_2)
	v_not_b32_e32 v10, v10
	v_cndmask_b32_e64 v11, 0x7fffffff, 0, vcc_lo
	v_xor_b32_e32 v3, v10, v3
	s_delay_alu instid0(VALU_DEP_2) | instskip(NEXT) | instid1(VALU_DEP_1)
	v_xor_b32_e32 v4, v11, v4
	v_cmp_ne_u64_e32 vcc_lo, s[2:3], v[3:4]
	v_cndmask_b32_e32 v11, 0x7fffffff, v4, vcc_lo
	v_cndmask_b32_e32 v10, -1, v3, vcc_lo
	s_delay_alu instid0(VALU_DEP_1) | instskip(NEXT) | instid1(VALU_DEP_1)
	v_lshrrev_b64 v[10:11], s28, v[10:11]
	v_and_b32_e32 v10, s10, v10
	s_delay_alu instid0(VALU_DEP_1)
	v_and_b32_e32 v11, 1, v10
	v_lshlrev_b32_e32 v13, 30, v10
	v_lshlrev_b32_e32 v14, 29, v10
	v_lshlrev_b32_e32 v15, 28, v10
	v_lshlrev_b32_e32 v17, 27, v10
	v_add_co_u32 v11, s0, v11, -1
	s_delay_alu instid0(VALU_DEP_1)
	v_cndmask_b32_e64 v16, 0, 1, s0
	v_not_b32_e32 v26, v13
	v_cmp_gt_i32_e64 s0, 0, v13
	v_not_b32_e32 v13, v14
	v_lshlrev_b32_e32 v24, 26, v10
	v_cmp_ne_u32_e32 vcc_lo, 0, v16
	v_ashrrev_i32_e32 v26, 31, v26
	v_lshlrev_b32_e32 v25, 25, v10
	v_ashrrev_i32_e32 v13, 31, v13
	v_lshlrev_b32_e32 v16, 24, v10
	v_xor_b32_e32 v11, vcc_lo, v11
	v_cmp_gt_i32_e32 vcc_lo, 0, v14
	v_not_b32_e32 v14, v15
	v_xor_b32_e32 v26, s0, v26
	v_cmp_gt_i32_e64 s0, 0, v15
	v_and_b32_e32 v11, exec_lo, v11
	v_not_b32_e32 v15, v17
	v_ashrrev_i32_e32 v14, 31, v14
	v_xor_b32_e32 v13, vcc_lo, v13
	v_cmp_gt_i32_e32 vcc_lo, 0, v17
	v_and_b32_e32 v11, v11, v26
	v_not_b32_e32 v17, v24
	v_ashrrev_i32_e32 v15, 31, v15
	v_xor_b32_e32 v14, s0, v14
	v_cmp_gt_i32_e64 s0, 0, v24
	v_and_b32_e32 v11, v11, v13
	v_not_b32_e32 v13, v25
	v_ashrrev_i32_e32 v17, 31, v17
	v_xor_b32_e32 v15, vcc_lo, v15
	v_cmp_gt_i32_e32 vcc_lo, 0, v25
	v_and_b32_e32 v11, v11, v14
	v_not_b32_e32 v14, v16
	v_ashrrev_i32_e32 v13, 31, v13
	v_xor_b32_e32 v17, s0, v17
	v_lshl_add_u32 v10, v10, 5, v10
	v_and_b32_e32 v11, v11, v15
	v_cmp_gt_i32_e64 s0, 0, v16
	v_ashrrev_i32_e32 v14, 31, v14
	v_xor_b32_e32 v13, vcc_lo, v13
	v_add_lshl_u32 v26, v12, v10, 2
	v_and_b32_e32 v11, v11, v17
	s_delay_alu instid0(VALU_DEP_4) | instskip(SKIP_2) | instid1(VALU_DEP_1)
	v_xor_b32_e32 v10, s0, v14
	ds_load_b32 v24, v26 offset:128
	v_and_b32_e32 v11, v11, v13
	; wave barrier
	v_and_b32_e32 v10, v11, v10
	s_delay_alu instid0(VALU_DEP_1) | instskip(SKIP_1) | instid1(VALU_DEP_2)
	v_mbcnt_lo_u32_b32 v25, v10, 0
	v_cmp_ne_u32_e64 s0, 0, v10
	v_cmp_eq_u32_e32 vcc_lo, 0, v25
	s_delay_alu instid0(VALU_DEP_2) | instskip(NEXT) | instid1(SALU_CYCLE_1)
	s_and_b32 s1, s0, vcc_lo
	s_and_saveexec_b32 s0, s1
	s_cbranch_execz .LBB149_71
; %bb.70:
	s_waitcnt lgkmcnt(0)
	v_bcnt_u32_b32 v10, v10, v24
	ds_store_b32 v26, v10 offset:128
.LBB149_71:
	s_or_b32 exec_lo, exec_lo, s0
	v_cmp_gt_i64_e32 vcc_lo, 0, v[7:8]
	v_ashrrev_i32_e32 v10, 31, v8
	s_mov_b32 s2, 0
	s_brev_b32 s3, 1
	; wave barrier
	v_cndmask_b32_e64 v11, 0x7fffffff, 0, vcc_lo
	s_delay_alu instid0(VALU_DEP_2) | instskip(NEXT) | instid1(VALU_DEP_2)
	v_not_b32_e32 v10, v10
	v_xor_b32_e32 v8, v11, v8
	s_delay_alu instid0(VALU_DEP_2) | instskip(NEXT) | instid1(VALU_DEP_1)
	v_xor_b32_e32 v7, v10, v7
	v_cmp_ne_u64_e32 vcc_lo, s[2:3], v[7:8]
	v_cndmask_b32_e32 v11, 0x7fffffff, v8, vcc_lo
	v_cndmask_b32_e32 v10, -1, v7, vcc_lo
	s_delay_alu instid0(VALU_DEP_1) | instskip(NEXT) | instid1(VALU_DEP_1)
	v_lshrrev_b64 v[10:11], s28, v[10:11]
	v_and_b32_e32 v10, s10, v10
	s_delay_alu instid0(VALU_DEP_1)
	v_and_b32_e32 v11, 1, v10
	v_lshlrev_b32_e32 v13, 30, v10
	v_lshlrev_b32_e32 v14, 29, v10
	;; [unrolled: 1-line block ×4, first 2 shown]
	v_add_co_u32 v11, s0, v11, -1
	s_delay_alu instid0(VALU_DEP_1)
	v_cndmask_b32_e64 v16, 0, 1, s0
	v_not_b32_e32 v29, v13
	v_cmp_gt_i32_e64 s0, 0, v13
	v_not_b32_e32 v13, v14
	v_lshlrev_b32_e32 v27, 26, v10
	v_cmp_ne_u32_e32 vcc_lo, 0, v16
	v_ashrrev_i32_e32 v29, 31, v29
	v_lshlrev_b32_e32 v28, 25, v10
	v_ashrrev_i32_e32 v13, 31, v13
	v_lshlrev_b32_e32 v16, 24, v10
	v_xor_b32_e32 v11, vcc_lo, v11
	v_cmp_gt_i32_e32 vcc_lo, 0, v14
	v_not_b32_e32 v14, v15
	v_xor_b32_e32 v29, s0, v29
	v_cmp_gt_i32_e64 s0, 0, v15
	v_and_b32_e32 v11, exec_lo, v11
	v_not_b32_e32 v15, v17
	v_ashrrev_i32_e32 v14, 31, v14
	v_xor_b32_e32 v13, vcc_lo, v13
	v_cmp_gt_i32_e32 vcc_lo, 0, v17
	v_and_b32_e32 v11, v11, v29
	v_not_b32_e32 v17, v27
	v_ashrrev_i32_e32 v15, 31, v15
	v_xor_b32_e32 v14, s0, v14
	v_cmp_gt_i32_e64 s0, 0, v27
	v_and_b32_e32 v11, v11, v13
	v_not_b32_e32 v13, v28
	v_ashrrev_i32_e32 v17, 31, v17
	v_xor_b32_e32 v15, vcc_lo, v15
	v_cmp_gt_i32_e32 vcc_lo, 0, v28
	v_and_b32_e32 v11, v11, v14
	v_not_b32_e32 v14, v16
	v_ashrrev_i32_e32 v13, 31, v13
	v_xor_b32_e32 v17, s0, v17
	v_lshl_add_u32 v10, v10, 5, v10
	v_and_b32_e32 v11, v11, v15
	v_cmp_gt_i32_e64 s0, 0, v16
	v_ashrrev_i32_e32 v14, 31, v14
	v_xor_b32_e32 v13, vcc_lo, v13
	v_add_lshl_u32 v29, v10, v12, 2
	v_and_b32_e32 v11, v11, v17
	s_delay_alu instid0(VALU_DEP_4) | instskip(SKIP_2) | instid1(VALU_DEP_1)
	v_xor_b32_e32 v10, s0, v14
	ds_load_b32 v27, v29 offset:128
	v_and_b32_e32 v11, v11, v13
	; wave barrier
	v_and_b32_e32 v10, v11, v10
	s_delay_alu instid0(VALU_DEP_1) | instskip(SKIP_1) | instid1(VALU_DEP_2)
	v_mbcnt_lo_u32_b32 v28, v10, 0
	v_cmp_ne_u32_e64 s0, 0, v10
	v_cmp_eq_u32_e32 vcc_lo, 0, v28
	s_delay_alu instid0(VALU_DEP_2) | instskip(NEXT) | instid1(SALU_CYCLE_1)
	s_and_b32 s1, s0, vcc_lo
	s_and_saveexec_b32 s0, s1
	s_cbranch_execz .LBB149_73
; %bb.72:
	s_waitcnt lgkmcnt(0)
	v_bcnt_u32_b32 v10, v10, v27
	ds_store_b32 v29, v10 offset:128
.LBB149_73:
	s_or_b32 exec_lo, exec_lo, s0
	v_cmp_gt_i64_e32 vcc_lo, 0, v[5:6]
	v_ashrrev_i32_e32 v10, 31, v6
	; wave barrier
	v_add_nc_u32_e32 v33, 0x80, v22
	s_delay_alu instid0(VALU_DEP_2) | instskip(SKIP_1) | instid1(VALU_DEP_2)
	v_not_b32_e32 v10, v10
	v_cndmask_b32_e64 v11, 0x7fffffff, 0, vcc_lo
	v_xor_b32_e32 v10, v10, v5
	s_delay_alu instid0(VALU_DEP_2) | instskip(NEXT) | instid1(VALU_DEP_1)
	v_xor_b32_e32 v11, v11, v6
	v_cmp_ne_u64_e32 vcc_lo, s[2:3], v[10:11]
	v_cndmask_b32_e32 v6, 0x7fffffff, v11, vcc_lo
	v_cndmask_b32_e32 v5, -1, v10, vcc_lo
	s_delay_alu instid0(VALU_DEP_1) | instskip(NEXT) | instid1(VALU_DEP_1)
	v_lshrrev_b64 v[5:6], s28, v[5:6]
	v_and_b32_e32 v5, s10, v5
	s_delay_alu instid0(VALU_DEP_1)
	v_and_b32_e32 v6, 1, v5
	v_lshlrev_b32_e32 v13, 30, v5
	v_lshlrev_b32_e32 v14, 29, v5
	;; [unrolled: 1-line block ×4, first 2 shown]
	v_add_co_u32 v6, s0, v6, -1
	s_delay_alu instid0(VALU_DEP_1)
	v_cndmask_b32_e64 v16, 0, 1, s0
	v_not_b32_e32 v32, v13
	v_cmp_gt_i32_e64 s0, 0, v13
	v_not_b32_e32 v13, v14
	v_lshlrev_b32_e32 v30, 26, v5
	v_cmp_ne_u32_e32 vcc_lo, 0, v16
	v_ashrrev_i32_e32 v32, 31, v32
	v_lshlrev_b32_e32 v31, 25, v5
	v_ashrrev_i32_e32 v13, 31, v13
	v_lshlrev_b32_e32 v16, 24, v5
	v_xor_b32_e32 v6, vcc_lo, v6
	v_cmp_gt_i32_e32 vcc_lo, 0, v14
	v_not_b32_e32 v14, v15
	v_xor_b32_e32 v32, s0, v32
	v_cmp_gt_i32_e64 s0, 0, v15
	v_and_b32_e32 v6, exec_lo, v6
	v_not_b32_e32 v15, v17
	v_ashrrev_i32_e32 v14, 31, v14
	v_xor_b32_e32 v13, vcc_lo, v13
	v_cmp_gt_i32_e32 vcc_lo, 0, v17
	v_and_b32_e32 v6, v6, v32
	v_not_b32_e32 v17, v30
	v_ashrrev_i32_e32 v15, 31, v15
	v_xor_b32_e32 v14, s0, v14
	v_cmp_gt_i32_e64 s0, 0, v30
	v_and_b32_e32 v6, v6, v13
	v_not_b32_e32 v13, v31
	v_ashrrev_i32_e32 v17, 31, v17
	v_xor_b32_e32 v15, vcc_lo, v15
	v_cmp_gt_i32_e32 vcc_lo, 0, v31
	v_and_b32_e32 v6, v6, v14
	v_not_b32_e32 v14, v16
	v_ashrrev_i32_e32 v13, 31, v13
	v_xor_b32_e32 v17, s0, v17
	v_lshl_add_u32 v5, v5, 5, v5
	v_and_b32_e32 v6, v6, v15
	v_cmp_gt_i32_e64 s0, 0, v16
	v_ashrrev_i32_e32 v14, 31, v14
	v_xor_b32_e32 v13, vcc_lo, v13
	v_add_lshl_u32 v32, v5, v12, 2
	v_and_b32_e32 v6, v6, v17
	s_delay_alu instid0(VALU_DEP_4) | instskip(SKIP_2) | instid1(VALU_DEP_1)
	v_xor_b32_e32 v5, s0, v14
	ds_load_b32 v30, v32 offset:128
	v_and_b32_e32 v6, v6, v13
	; wave barrier
	v_and_b32_e32 v5, v6, v5
	s_delay_alu instid0(VALU_DEP_1) | instskip(SKIP_1) | instid1(VALU_DEP_2)
	v_mbcnt_lo_u32_b32 v31, v5, 0
	v_cmp_ne_u32_e64 s0, 0, v5
	v_cmp_eq_u32_e32 vcc_lo, 0, v31
	s_delay_alu instid0(VALU_DEP_2) | instskip(NEXT) | instid1(SALU_CYCLE_1)
	s_and_b32 s1, s0, vcc_lo
	s_and_saveexec_b32 s0, s1
	s_cbranch_execz .LBB149_75
; %bb.74:
	s_waitcnt lgkmcnt(0)
	v_bcnt_u32_b32 v5, v5, v30
	ds_store_b32 v32, v5 offset:128
.LBB149_75:
	s_or_b32 exec_lo, exec_lo, s0
	; wave barrier
	s_waitcnt lgkmcnt(0)
	s_barrier
	buffer_gl0_inv
	ds_load_2addr_b32 v[16:17], v22 offset0:32 offset1:33
	ds_load_2addr_b32 v[14:15], v33 offset0:2 offset1:3
	;; [unrolled: 1-line block ×4, first 2 shown]
	ds_load_b32 v34, v33 offset:32
	v_and_b32_e32 v37, 16, v18
	v_and_b32_e32 v38, 31, v9
	s_mov_b32 s5, exec_lo
	s_delay_alu instid0(VALU_DEP_2) | instskip(SKIP_3) | instid1(VALU_DEP_1)
	v_cmp_eq_u32_e64 s3, 0, v37
	s_waitcnt lgkmcnt(3)
	v_add3_u32 v35, v17, v16, v14
	s_waitcnt lgkmcnt(2)
	v_add3_u32 v35, v35, v15, v12
	s_waitcnt lgkmcnt(1)
	s_delay_alu instid0(VALU_DEP_1) | instskip(SKIP_1) | instid1(VALU_DEP_1)
	v_add3_u32 v35, v35, v13, v5
	s_waitcnt lgkmcnt(0)
	v_add3_u32 v34, v35, v6, v34
	v_and_b32_e32 v35, 15, v18
	s_delay_alu instid0(VALU_DEP_2) | instskip(NEXT) | instid1(VALU_DEP_2)
	v_mov_b32_dpp v36, v34 row_shr:1 row_mask:0xf bank_mask:0xf
	v_cmp_eq_u32_e32 vcc_lo, 0, v35
	v_cmp_lt_u32_e64 s0, 1, v35
	v_cmp_lt_u32_e64 s1, 3, v35
	;; [unrolled: 1-line block ×3, first 2 shown]
	v_cndmask_b32_e64 v36, v36, 0, vcc_lo
	s_delay_alu instid0(VALU_DEP_1) | instskip(NEXT) | instid1(VALU_DEP_1)
	v_add_nc_u32_e32 v34, v36, v34
	v_mov_b32_dpp v36, v34 row_shr:2 row_mask:0xf bank_mask:0xf
	s_delay_alu instid0(VALU_DEP_1) | instskip(NEXT) | instid1(VALU_DEP_1)
	v_cndmask_b32_e64 v36, 0, v36, s0
	v_add_nc_u32_e32 v34, v34, v36
	s_delay_alu instid0(VALU_DEP_1) | instskip(NEXT) | instid1(VALU_DEP_1)
	v_mov_b32_dpp v36, v34 row_shr:4 row_mask:0xf bank_mask:0xf
	v_cndmask_b32_e64 v36, 0, v36, s1
	s_delay_alu instid0(VALU_DEP_1) | instskip(NEXT) | instid1(VALU_DEP_1)
	v_add_nc_u32_e32 v34, v34, v36
	v_mov_b32_dpp v36, v34 row_shr:8 row_mask:0xf bank_mask:0xf
	s_delay_alu instid0(VALU_DEP_1) | instskip(SKIP_1) | instid1(VALU_DEP_2)
	v_cndmask_b32_e64 v35, 0, v36, s2
	v_bfe_i32 v36, v18, 4, 1
	v_add_nc_u32_e32 v34, v34, v35
	ds_swizzle_b32 v35, v34 offset:swizzle(BROADCAST,32,15)
	s_waitcnt lgkmcnt(0)
	v_and_b32_e32 v36, v36, v35
	v_lshrrev_b32_e32 v35, 5, v9
	s_delay_alu instid0(VALU_DEP_2)
	v_add_nc_u32_e32 v34, v34, v36
	v_cmpx_eq_u32_e32 31, v38
	s_cbranch_execz .LBB149_77
; %bb.76:
	s_delay_alu instid0(VALU_DEP_3)
	v_lshlrev_b32_e32 v36, 2, v35
	ds_store_b32 v36, v34
.LBB149_77:
	s_or_b32 exec_lo, exec_lo, s5
	v_cmp_lt_u32_e64 s4, 31, v9
	s_mov_b32 s11, exec_lo
	s_waitcnt lgkmcnt(0)
	s_barrier
	buffer_gl0_inv
	v_cmpx_gt_u32_e32 32, v9
	s_cbranch_execz .LBB149_79
; %bb.78:
	ds_load_b32 v36, v21
	s_waitcnt lgkmcnt(0)
	v_mov_b32_dpp v37, v36 row_shr:1 row_mask:0xf bank_mask:0xf
	s_delay_alu instid0(VALU_DEP_1) | instskip(NEXT) | instid1(VALU_DEP_1)
	v_cndmask_b32_e64 v37, v37, 0, vcc_lo
	v_add_nc_u32_e32 v36, v37, v36
	s_delay_alu instid0(VALU_DEP_1) | instskip(NEXT) | instid1(VALU_DEP_1)
	v_mov_b32_dpp v37, v36 row_shr:2 row_mask:0xf bank_mask:0xf
	v_cndmask_b32_e64 v37, 0, v37, s0
	s_delay_alu instid0(VALU_DEP_1) | instskip(NEXT) | instid1(VALU_DEP_1)
	v_add_nc_u32_e32 v36, v36, v37
	v_mov_b32_dpp v37, v36 row_shr:4 row_mask:0xf bank_mask:0xf
	s_delay_alu instid0(VALU_DEP_1) | instskip(NEXT) | instid1(VALU_DEP_1)
	v_cndmask_b32_e64 v37, 0, v37, s1
	v_add_nc_u32_e32 v36, v36, v37
	s_delay_alu instid0(VALU_DEP_1) | instskip(NEXT) | instid1(VALU_DEP_1)
	v_mov_b32_dpp v37, v36 row_shr:8 row_mask:0xf bank_mask:0xf
	v_cndmask_b32_e64 v37, 0, v37, s2
	s_delay_alu instid0(VALU_DEP_1) | instskip(SKIP_3) | instid1(VALU_DEP_1)
	v_add_nc_u32_e32 v36, v36, v37
	ds_swizzle_b32 v37, v36 offset:swizzle(BROADCAST,32,15)
	s_waitcnt lgkmcnt(0)
	v_cndmask_b32_e64 v37, v37, 0, s3
	v_add_nc_u32_e32 v36, v36, v37
	ds_store_b32 v21, v36
.LBB149_79:
	s_or_b32 exec_lo, exec_lo, s11
	v_mov_b32_e32 v21, 0
	s_waitcnt lgkmcnt(0)
	s_barrier
	buffer_gl0_inv
	s_and_saveexec_b32 s0, s4
	s_cbranch_execz .LBB149_81
; %bb.80:
	v_lshl_add_u32 v21, v35, 2, -4
	ds_load_b32 v21, v21
.LBB149_81:
	s_or_b32 exec_lo, exec_lo, s0
	v_add_nc_u32_e32 v35, -1, v18
	s_waitcnt lgkmcnt(0)
	v_add_nc_u32_e32 v34, v21, v34
	v_cmp_lt_u32_e64 s0, 0xff, v9
	s_delay_alu instid0(VALU_DEP_3) | instskip(SKIP_2) | instid1(VALU_DEP_2)
	v_cmp_gt_i32_e32 vcc_lo, 0, v35
	v_cndmask_b32_e32 v35, v35, v18, vcc_lo
	v_cmp_eq_u32_e32 vcc_lo, 0, v18
	v_lshlrev_b32_e32 v35, 2, v35
	ds_bpermute_b32 v34, v35, v34
	s_waitcnt lgkmcnt(0)
	v_cndmask_b32_e32 v18, v34, v21, vcc_lo
	v_cmp_ne_u32_e32 vcc_lo, 0, v9
	s_delay_alu instid0(VALU_DEP_2) | instskip(SKIP_1) | instid1(VALU_DEP_2)
	v_cndmask_b32_e32 v18, 0, v18, vcc_lo
	v_cmp_gt_u32_e32 vcc_lo, 0x100, v9
	v_add_nc_u32_e32 v16, v18, v16
	s_delay_alu instid0(VALU_DEP_1) | instskip(NEXT) | instid1(VALU_DEP_1)
	v_add_nc_u32_e32 v17, v16, v17
	v_add_nc_u32_e32 v14, v17, v14
	s_delay_alu instid0(VALU_DEP_1) | instskip(NEXT) | instid1(VALU_DEP_1)
	v_add_nc_u32_e32 v15, v14, v15
	;; [unrolled: 3-line block ×3, first 2 shown]
	v_add_nc_u32_e32 v5, v13, v5
	s_delay_alu instid0(VALU_DEP_1)
	v_add_nc_u32_e32 v6, v5, v6
	ds_store_2addr_b32 v22, v18, v16 offset0:32 offset1:33
	ds_store_2addr_b32 v33, v17, v14 offset0:2 offset1:3
	;; [unrolled: 1-line block ×4, first 2 shown]
	ds_store_b32 v33, v6 offset:32
	s_waitcnt lgkmcnt(0)
	s_barrier
	buffer_gl0_inv
	ds_load_b32 v13, v23 offset:128
	ds_load_b32 v14, v26 offset:128
	;; [unrolled: 1-line block ×4, first 2 shown]
	v_mov_b32_e32 v5, 0
	v_mov_b32_e32 v6, 0
                                        ; implicit-def: $vgpr12
	s_and_saveexec_b32 s2, vcc_lo
	s_cbranch_execz .LBB149_85
; %bb.82:
	v_mul_u32_u24_e32 v5, 33, v9
	v_mov_b32_e32 v6, 0x1000
	s_mov_b32 s3, exec_lo
	s_delay_alu instid0(VALU_DEP_2)
	v_lshlrev_b32_e32 v12, 2, v5
	ds_load_b32 v5, v12 offset:128
	v_cmpx_ne_u32_e32 0xff, v9
	s_cbranch_execz .LBB149_84
; %bb.83:
	ds_load_b32 v6, v12 offset:260
.LBB149_84:
	s_or_b32 exec_lo, exec_lo, s3
	s_waitcnt lgkmcnt(0)
	v_sub_nc_u32_e32 v12, v6, v5
	v_mov_b32_e32 v6, 0
.LBB149_85:
	s_or_b32 exec_lo, exec_lo, s2
	v_add_nc_u32_e32 v17, v31, v30
	v_add_nc_u32_e32 v18, v25, v24
	;; [unrolled: 1-line block ×3, first 2 shown]
	s_waitcnt lgkmcnt(3)
	v_add_lshl_u32 v13, v13, v0, 3
	s_waitcnt lgkmcnt(0)
	v_add_lshl_u32 v16, v17, v16, 3
	v_add_lshl_u32 v14, v18, v14, 3
	;; [unrolled: 1-line block ×3, first 2 shown]
	s_barrier
	buffer_gl0_inv
	ds_store_b64 v13, v[1:2] offset:2048
	ds_store_b64 v14, v[3:4] offset:2048
	;; [unrolled: 1-line block ×4, first 2 shown]
	s_waitcnt lgkmcnt(0)
	s_barrier
	buffer_gl0_inv
	s_and_saveexec_b32 s1, s0
	s_delay_alu instid0(SALU_CYCLE_1)
	s_xor_b32 s0, exec_lo, s1
; %bb.86:
	v_mov_b32_e32 v10, 0
; %bb.87:
	s_and_not1_saveexec_b32 s1, s0
	s_cbranch_execz .LBB149_97
; %bb.88:
	v_lshl_or_b32 v2, s15, 8, v9
	v_dual_mov_b32 v3, 0 :: v_dual_mov_b32 v4, 0
	s_mov_b32 s2, 0
	s_mov_b32 s3, s15
	s_delay_alu instid0(VALU_DEP_1) | instskip(SKIP_1) | instid1(VALU_DEP_2)
	v_lshlrev_b64 v[0:1], 2, v[2:3]
	v_or_b32_e32 v2, 2.0, v12
	v_add_co_u32 v0, s0, s12, v0
	s_delay_alu instid0(VALU_DEP_1)
	v_add_co_ci_u32_e64 v1, s0, s13, v1, s0
                                        ; implicit-def: $sgpr0
	global_store_b32 v[0:1], v2, off
	s_branch .LBB149_91
	.p2align	6
.LBB149_89:                             ;   in Loop: Header=BB149_91 Depth=1
	s_or_b32 exec_lo, exec_lo, s5
.LBB149_90:                             ;   in Loop: Header=BB149_91 Depth=1
	s_delay_alu instid0(SALU_CYCLE_1) | instskip(SKIP_2) | instid1(VALU_DEP_2)
	s_or_b32 exec_lo, exec_lo, s4
	v_and_b32_e32 v7, 0x3fffffff, v10
	v_cmp_eq_u32_e64 s0, 0x80000000, v2
	v_add_nc_u32_e32 v4, v7, v4
	s_delay_alu instid0(VALU_DEP_2) | instskip(NEXT) | instid1(SALU_CYCLE_1)
	s_and_b32 s4, exec_lo, s0
	s_or_b32 s2, s4, s2
	s_delay_alu instid0(SALU_CYCLE_1)
	s_and_not1_b32 exec_lo, exec_lo, s2
	s_cbranch_execz .LBB149_96
.LBB149_91:                             ; =>This Loop Header: Depth=1
                                        ;     Child Loop BB149_94 Depth 2
	s_or_b32 s0, s0, exec_lo
	s_cmp_eq_u32 s3, 0
	s_cbranch_scc1 .LBB149_95
; %bb.92:                               ;   in Loop: Header=BB149_91 Depth=1
	s_add_i32 s3, s3, -1
	s_mov_b32 s4, exec_lo
	v_lshl_or_b32 v2, s3, 8, v9
	s_delay_alu instid0(VALU_DEP_1) | instskip(NEXT) | instid1(VALU_DEP_1)
	v_lshlrev_b64 v[7:8], 2, v[2:3]
	v_add_co_u32 v7, s0, s12, v7
	s_delay_alu instid0(VALU_DEP_1) | instskip(SKIP_3) | instid1(VALU_DEP_1)
	v_add_co_ci_u32_e64 v8, s0, s13, v8, s0
	global_load_b32 v10, v[7:8], off glc
	s_waitcnt vmcnt(0)
	v_and_b32_e32 v2, -2.0, v10
	v_cmpx_eq_u32_e32 0, v2
	s_cbranch_execz .LBB149_90
; %bb.93:                               ;   in Loop: Header=BB149_91 Depth=1
	s_mov_b32 s5, 0
.LBB149_94:                             ;   Parent Loop BB149_91 Depth=1
                                        ; =>  This Inner Loop Header: Depth=2
	global_load_b32 v10, v[7:8], off glc
	s_waitcnt vmcnt(0)
	v_and_b32_e32 v2, -2.0, v10
	s_delay_alu instid0(VALU_DEP_1) | instskip(NEXT) | instid1(VALU_DEP_1)
	v_cmp_ne_u32_e64 s0, 0, v2
	s_or_b32 s5, s0, s5
	s_delay_alu instid0(SALU_CYCLE_1)
	s_and_not1_b32 exec_lo, exec_lo, s5
	s_cbranch_execnz .LBB149_94
	s_branch .LBB149_89
.LBB149_95:                             ;   in Loop: Header=BB149_91 Depth=1
                                        ; implicit-def: $sgpr3
	s_and_b32 s4, exec_lo, s0
	s_delay_alu instid0(SALU_CYCLE_1) | instskip(NEXT) | instid1(SALU_CYCLE_1)
	s_or_b32 s2, s4, s2
	s_and_not1_b32 exec_lo, exec_lo, s2
	s_cbranch_execnz .LBB149_91
.LBB149_96:
	s_or_b32 exec_lo, exec_lo, s2
	v_add_nc_u32_e32 v2, v4, v12
	v_dual_mov_b32 v10, 0 :: v_dual_lshlrev_b32 v3, 3, v9
	s_delay_alu instid0(VALU_DEP_2) | instskip(SKIP_3) | instid1(VALU_DEP_1)
	v_or_b32_e32 v2, 0x80000000, v2
	global_store_b32 v[0:1], v2, off
	global_load_b64 v[0:1], v3, s[24:25]
	v_sub_co_u32 v2, s0, v4, v5
	v_sub_co_ci_u32_e64 v4, s0, 0, v6, s0
	s_waitcnt vmcnt(0)
	s_delay_alu instid0(VALU_DEP_2) | instskip(NEXT) | instid1(VALU_DEP_1)
	v_add_co_u32 v0, s0, v2, v0
	v_add_co_ci_u32_e64 v1, s0, v4, v1, s0
	ds_store_b64 v3, v[0:1]
.LBB149_97:
	s_or_b32 exec_lo, exec_lo, s1
	s_add_u32 s0, s20, s6
	s_addc_u32 s1, s21, s7
	v_add_co_u32 v0, s0, s0, v19
	s_delay_alu instid0(VALU_DEP_1) | instskip(SKIP_2) | instid1(VALU_DEP_2)
	v_add_co_ci_u32_e64 v1, null, s1, 0, s0
	s_waitcnt lgkmcnt(0)
	s_waitcnt_vscnt null, 0x0
	v_add_co_u32 v0, s0, v0, v20
	s_delay_alu instid0(VALU_DEP_1)
	v_add_co_ci_u32_e64 v1, s0, 0, v1, s0
	s_barrier
	buffer_gl0_inv
	v_lshlrev_b32_e32 v4, 3, v9
	s_clause 0x3
	global_load_b64 v[7:8], v[0:1], off
	global_load_b64 v[17:18], v[0:1], off offset:256
	global_load_b64 v[19:20], v[0:1], off offset:512
	;; [unrolled: 1-line block ×3, first 2 shown]
	s_mov_b32 s4, 0
	s_brev_b32 s5, 1
	v_lshlrev_b32_e32 v11, 3, v9
	ds_load_2addr_stride64_b64 v[0:3], v4 offset0:20 offset1:36
	v_or_b32_e32 v40, 0x4000, v4
	v_or_b32_e32 v39, 0x2000, v4
	;; [unrolled: 1-line block ×3, first 2 shown]
	ds_load_b64 v[25:26], v11 offset:2048
	s_add_i32 s9, s9, -1
	s_delay_alu instid0(SALU_CYCLE_1)
	s_cmp_eq_u32 s15, s9
	s_waitcnt lgkmcnt(1)
	v_cmp_ne_u64_e64 s0, s[4:5], v[2:3]
	v_cmp_ne_u64_e64 s1, s[4:5], v[0:1]
	v_cmp_gt_i64_e64 s2, 0, v[0:1]
	v_ashrrev_i32_e32 v36, 31, v1
	v_ashrrev_i32_e32 v42, 31, v3
	v_cndmask_b32_e64 v24, 0x7fffffff, v3, s0
	v_cndmask_b32_e64 v23, -1, v2, s0
	s_waitcnt lgkmcnt(0)
	v_cmp_ne_u64_e64 s0, s[4:5], v[25:26]
	v_cndmask_b32_e64 v32, 0x7fffffff, v1, s1
	v_cndmask_b32_e64 v31, -1, v0, s1
	v_cndmask_b32_e64 v35, 0x7fffffff, 0, s2
	v_lshrrev_b64 v[23:24], s28, v[23:24]
	v_not_b32_e32 v36, v36
	v_cndmask_b32_e64 v34, 0x7fffffff, v26, s0
	v_cndmask_b32_e64 v33, -1, v25, s0
	v_cmp_gt_i64_e64 s0, 0, v[2:3]
	v_lshrrev_b64 v[31:32], s28, v[31:32]
	v_and_b32_e32 v23, s10, v23
	v_xor_b32_e32 v1, v35, v1
	v_lshrrev_b64 v[33:34], s28, v[33:34]
	v_not_b32_e32 v34, v42
	v_cndmask_b32_e64 v37, 0x7fffffff, 0, s0
	v_lshlrev_b32_e32 v38, 3, v23
	ds_load_b64 v[27:28], v38
	ds_load_b64 v[29:30], v4 offset:26624
	v_and_b32_e32 v35, s10, v31
	v_and_b32_e32 v33, s10, v33
	v_xor_b32_e32 v3, v37, v3
	v_xor_b32_e32 v0, v36, v0
	v_ashrrev_i32_e32 v37, 31, v26
	v_lshlrev_b32_e32 v43, 3, v35
	v_lshlrev_b32_e32 v42, 3, v33
	v_xor_b32_e32 v2, v34, v2
	v_lshlrev_b64 v[23:24], 3, v[9:10]
	v_not_b32_e32 v37, v37
	s_cselect_b32 s1, -1, 0
	ds_load_b64 v[34:35], v43
	s_and_b32 s1, vcc_lo, s1
	s_waitcnt lgkmcnt(2)
	v_lshlrev_b64 v[27:28], 3, v[27:28]
	s_waitcnt lgkmcnt(1)
	v_cmp_ne_u64_e64 s0, s[4:5], v[29:30]
	s_delay_alu instid0(VALU_DEP_1) | instskip(SKIP_3) | instid1(VALU_DEP_3)
	v_cndmask_b32_e64 v32, 0x7fffffff, v30, s0
	v_cndmask_b32_e64 v31, -1, v29, s0
	v_cmp_gt_i64_e64 s0, 0, v[25:26]
	v_xor_b32_e32 v25, v37, v25
	v_lshrrev_b64 v[31:32], s28, v[31:32]
	ds_load_b64 v[32:33], v42
	v_cndmask_b32_e64 v36, 0x7fffffff, 0, s0
	v_cmp_gt_i64_e64 s0, 0, v[29:30]
	v_and_b32_e32 v31, s10, v31
	s_delay_alu instid0(VALU_DEP_3) | instskip(SKIP_1) | instid1(VALU_DEP_4)
	v_xor_b32_e32 v26, v36, v26
	v_ashrrev_i32_e32 v36, 31, v30
	v_cndmask_b32_e64 v44, 0x7fffffff, 0, s0
	s_delay_alu instid0(VALU_DEP_4) | instskip(NEXT) | instid1(VALU_DEP_3)
	v_lshlrev_b32_e32 v45, 3, v31
	v_not_b32_e32 v31, v36
	s_delay_alu instid0(VALU_DEP_3)
	v_xor_b32_e32 v30, v44, v30
	v_add_co_u32 v44, s0, s18, v27
	ds_load_b64 v[36:37], v45
	v_add_co_ci_u32_e64 v46, s0, s19, v28, s0
	v_xor_b32_e32 v29, v31, v29
	s_waitcnt lgkmcnt(1)
	v_lshlrev_b64 v[27:28], 3, v[32:33]
	v_add_co_u32 v31, s0, v44, v40
	v_lshlrev_b64 v[33:34], 3, v[34:35]
	v_add_co_ci_u32_e64 v32, s0, 0, v46, s0
	s_delay_alu instid0(VALU_DEP_4) | instskip(NEXT) | instid1(VALU_DEP_1)
	v_add_co_u32 v35, s0, s18, v27
	v_add_co_ci_u32_e64 v44, s0, s19, v28, s0
	s_delay_alu instid0(VALU_DEP_4) | instskip(NEXT) | instid1(VALU_DEP_1)
	v_add_co_u32 v46, s0, s18, v33
	v_add_co_ci_u32_e64 v47, s0, s19, v34, s0
	s_delay_alu instid0(VALU_DEP_4) | instskip(SKIP_3) | instid1(VALU_DEP_2)
	v_add_co_u32 v33, s0, v35, v23
	s_waitcnt lgkmcnt(0)
	v_lshlrev_b64 v[27:28], 3, v[36:37]
	v_add_co_ci_u32_e64 v34, s0, v44, v24, s0
	v_add_co_u32 v35, s0, s18, v27
	s_delay_alu instid0(VALU_DEP_1) | instskip(SKIP_1) | instid1(VALU_DEP_1)
	v_add_co_ci_u32_e64 v36, s0, s19, v28, s0
	v_add_co_u32 v27, s0, v46, v39
	v_add_co_ci_u32_e64 v28, s0, 0, v47, s0
	s_delay_alu instid0(VALU_DEP_4) | instskip(NEXT) | instid1(VALU_DEP_1)
	v_add_co_u32 v35, s0, v35, v41
	v_add_co_ci_u32_e64 v36, s0, 0, v36, s0
	s_clause 0x3
	global_store_b64 v[33:34], v[25:26], off
	global_store_b64 v[27:28], v[0:1], off
	;; [unrolled: 1-line block ×4, first 2 shown]
	s_waitcnt vmcnt(0)
	s_waitcnt_vscnt null, 0x0
	s_barrier
	buffer_gl0_inv
	ds_store_b64 v13, v[7:8] offset:2048
	ds_store_b64 v14, v[17:18] offset:2048
	;; [unrolled: 1-line block ×4, first 2 shown]
	s_waitcnt lgkmcnt(0)
	s_barrier
	buffer_gl0_inv
	ds_load_b64 v[0:1], v42
	ds_load_b64 v[7:8], v43
	ds_load_b64 v[13:14], v38
	ds_load_b64 v[15:16], v45
	ds_load_b64 v[17:18], v11 offset:2048
	ds_load_b64 v[19:20], v4 offset:26624
	s_waitcnt lgkmcnt(5)
	v_lshlrev_b64 v[21:22], 3, v[0:1]
	s_waitcnt lgkmcnt(4)
	v_lshlrev_b64 v[7:8], 3, v[7:8]
	ds_load_2addr_stride64_b64 v[0:3], v4 offset0:20 offset1:36
	s_waitcnt lgkmcnt(4)
	v_lshlrev_b64 v[13:14], 3, v[13:14]
	s_waitcnt lgkmcnt(3)
	v_lshlrev_b64 v[15:16], 3, v[15:16]
	v_add_co_u32 v4, s0, s22, v21
	s_delay_alu instid0(VALU_DEP_1) | instskip(SKIP_1) | instid1(VALU_DEP_1)
	v_add_co_ci_u32_e64 v11, s0, s23, v22, s0
	v_add_co_u32 v21, s0, s22, v7
	v_add_co_ci_u32_e64 v22, s0, s23, v8, s0
	v_add_co_u32 v25, s0, s22, v13
	s_delay_alu instid0(VALU_DEP_1) | instskip(SKIP_1) | instid1(VALU_DEP_1)
	v_add_co_ci_u32_e64 v26, s0, s23, v14, s0
	v_add_co_u32 v27, s0, s22, v15
	v_add_co_ci_u32_e64 v28, s0, s23, v16, s0
	;; [unrolled: 5-line block ×4, first 2 shown]
	s_waitcnt lgkmcnt(2)
	global_store_b64 v[7:8], v[17:18], off
	s_waitcnt lgkmcnt(0)
	s_clause 0x2
	global_store_b64 v[13:14], v[0:1], off
	global_store_b64 v[15:16], v[2:3], off
	;; [unrolled: 1-line block ×3, first 2 shown]
                                        ; implicit-def: $vgpr1_vgpr2
	s_and_saveexec_b32 s0, s1
; %bb.98:
	v_add_co_u32 v1, vcc_lo, v5, v12
	v_add_co_ci_u32_e32 v2, vcc_lo, 0, v6, vcc_lo
	s_or_b32 s8, s8, exec_lo
; %bb.99:
	s_or_b32 exec_lo, exec_lo, s0
.LBB149_100:
	s_and_saveexec_b32 s0, s8
	s_cbranch_execnz .LBB149_102
; %bb.101:
	s_nop 0
	s_sendmsg sendmsg(MSG_DEALLOC_VGPRS)
	s_endpgm
.LBB149_102:
	v_lshlrev_b32_e32 v0, 3, v9
	v_lshlrev_b64 v[5:6], 3, v[9:10]
	ds_load_b64 v[3:4], v0
	v_add_co_u32 v5, vcc_lo, s26, v5
	v_add_co_ci_u32_e32 v6, vcc_lo, s27, v6, vcc_lo
	s_waitcnt lgkmcnt(0)
	v_add_co_u32 v0, vcc_lo, v3, v1
	v_add_co_ci_u32_e32 v1, vcc_lo, v4, v2, vcc_lo
	global_store_b64 v[5:6], v[0:1], off
	s_nop 0
	s_sendmsg sendmsg(MSG_DEALLOC_VGPRS)
	s_endpgm
.LBB149_103:
	global_load_b64 v[1:2], v[10:11], off
	s_or_b32 exec_lo, exec_lo, s10
                                        ; implicit-def: $vgpr3_vgpr4
	s_and_saveexec_b32 s10, s2
	s_cbranch_execz .LBB149_47
.LBB149_104:
	global_load_b64 v[3:4], v[10:11], off offset:256
	s_or_b32 exec_lo, exec_lo, s10
                                        ; implicit-def: $vgpr5_vgpr6
	s_and_saveexec_b32 s2, s3
	s_cbranch_execz .LBB149_48
.LBB149_105:
	global_load_b64 v[5:6], v[10:11], off offset:512
	s_or_b32 exec_lo, exec_lo, s2
                                        ; implicit-def: $vgpr7_vgpr8
	s_and_saveexec_b32 s2, s4
	s_cbranch_execnz .LBB149_49
	s_branch .LBB149_50
.LBB149_106:
	v_lshlrev_b32_e32 v1, 3, v19
	ds_load_b64 v[1:2], v1
	ds_load_b64 v[3:4], v21 offset:2048
	s_waitcnt lgkmcnt(1)
	v_lshlrev_b64 v[1:2], 3, v[1:2]
	s_delay_alu instid0(VALU_DEP_1) | instskip(NEXT) | instid1(VALU_DEP_2)
	v_add_co_u32 v1, vcc_lo, s22, v1
	v_add_co_ci_u32_e32 v2, vcc_lo, s23, v2, vcc_lo
	s_delay_alu instid0(VALU_DEP_2) | instskip(NEXT) | instid1(VALU_DEP_2)
	v_add_co_u32 v1, vcc_lo, v1, v21
	v_add_co_ci_u32_e32 v2, vcc_lo, 0, v2, vcc_lo
	s_waitcnt lgkmcnt(0)
	global_store_b64 v[1:2], v[3:4], off
	s_or_b32 exec_lo, exec_lo, s2
	s_and_saveexec_b32 s2, s7
	s_cbranch_execz .LBB149_60
.LBB149_107:
	v_lshlrev_b32_e32 v1, 3, v10
	ds_load_b64 v[1:2], v1
	ds_load_b64 v[3:4], v21 offset:10240
	s_waitcnt lgkmcnt(1)
	v_lshlrev_b64 v[1:2], 3, v[1:2]
	s_delay_alu instid0(VALU_DEP_1) | instskip(NEXT) | instid1(VALU_DEP_2)
	v_add_co_u32 v1, vcc_lo, s22, v1
	v_add_co_ci_u32_e32 v2, vcc_lo, s23, v2, vcc_lo
	s_delay_alu instid0(VALU_DEP_2) | instskip(NEXT) | instid1(VALU_DEP_2)
	v_add_co_u32 v1, vcc_lo, v1, v22
	v_add_co_ci_u32_e32 v2, vcc_lo, 0, v2, vcc_lo
	s_waitcnt lgkmcnt(0)
	global_store_b64 v[1:2], v[3:4], off
	s_or_b32 exec_lo, exec_lo, s2
	s_and_saveexec_b32 s2, s8
	s_cbranch_execz .LBB149_61
.LBB149_108:
	v_lshlrev_b32_e32 v1, 3, v20
	ds_load_b64 v[1:2], v1
	ds_load_b64 v[3:4], v21 offset:18432
	s_waitcnt lgkmcnt(1)
	v_lshlrev_b64 v[1:2], 3, v[1:2]
	s_delay_alu instid0(VALU_DEP_1) | instskip(NEXT) | instid1(VALU_DEP_2)
	v_add_co_u32 v1, vcc_lo, s22, v1
	v_add_co_ci_u32_e32 v2, vcc_lo, s23, v2, vcc_lo
	s_delay_alu instid0(VALU_DEP_2) | instskip(NEXT) | instid1(VALU_DEP_2)
	v_add_co_u32 v1, vcc_lo, v1, v23
	v_add_co_ci_u32_e32 v2, vcc_lo, 0, v2, vcc_lo
	s_waitcnt lgkmcnt(0)
	global_store_b64 v[1:2], v[3:4], off
	s_or_b32 exec_lo, exec_lo, s2
	s_and_saveexec_b32 s2, s9
	s_cbranch_execnz .LBB149_62
	s_branch .LBB149_63
	.section	.rodata,"a",@progbits
	.p2align	6, 0x0
	.amdhsa_kernel _ZN7rocprim17ROCPRIM_304000_NS6detail25onesweep_iteration_kernelINS1_34wrapped_radix_sort_onesweep_configINS0_14default_configEdN2at4cuda3cub6detail10OpaqueTypeILi8EEEEELb1EPKdPdPKSA_PSA_mNS0_19identity_decomposerEEEvT1_T2_T3_T4_jPT5_SO_PNS1_23onesweep_lookback_stateET6_jjj
		.amdhsa_group_segment_fixed_size 36992
		.amdhsa_private_segment_fixed_size 0
		.amdhsa_kernarg_size 336
		.amdhsa_user_sgpr_count 15
		.amdhsa_user_sgpr_dispatch_ptr 0
		.amdhsa_user_sgpr_queue_ptr 0
		.amdhsa_user_sgpr_kernarg_segment_ptr 1
		.amdhsa_user_sgpr_dispatch_id 0
		.amdhsa_user_sgpr_private_segment_size 0
		.amdhsa_wavefront_size32 1
		.amdhsa_uses_dynamic_stack 0
		.amdhsa_enable_private_segment 0
		.amdhsa_system_sgpr_workgroup_id_x 1
		.amdhsa_system_sgpr_workgroup_id_y 0
		.amdhsa_system_sgpr_workgroup_id_z 0
		.amdhsa_system_sgpr_workgroup_info 0
		.amdhsa_system_vgpr_workitem_id 2
		.amdhsa_next_free_vgpr 48
		.amdhsa_next_free_sgpr 38
		.amdhsa_reserve_vcc 1
		.amdhsa_float_round_mode_32 0
		.amdhsa_float_round_mode_16_64 0
		.amdhsa_float_denorm_mode_32 3
		.amdhsa_float_denorm_mode_16_64 3
		.amdhsa_dx10_clamp 1
		.amdhsa_ieee_mode 1
		.amdhsa_fp16_overflow 0
		.amdhsa_workgroup_processor_mode 1
		.amdhsa_memory_ordered 1
		.amdhsa_forward_progress 0
		.amdhsa_shared_vgpr_count 0
		.amdhsa_exception_fp_ieee_invalid_op 0
		.amdhsa_exception_fp_denorm_src 0
		.amdhsa_exception_fp_ieee_div_zero 0
		.amdhsa_exception_fp_ieee_overflow 0
		.amdhsa_exception_fp_ieee_underflow 0
		.amdhsa_exception_fp_ieee_inexact 0
		.amdhsa_exception_int_div_zero 0
	.end_amdhsa_kernel
	.section	.text._ZN7rocprim17ROCPRIM_304000_NS6detail25onesweep_iteration_kernelINS1_34wrapped_radix_sort_onesweep_configINS0_14default_configEdN2at4cuda3cub6detail10OpaqueTypeILi8EEEEELb1EPKdPdPKSA_PSA_mNS0_19identity_decomposerEEEvT1_T2_T3_T4_jPT5_SO_PNS1_23onesweep_lookback_stateET6_jjj,"axG",@progbits,_ZN7rocprim17ROCPRIM_304000_NS6detail25onesweep_iteration_kernelINS1_34wrapped_radix_sort_onesweep_configINS0_14default_configEdN2at4cuda3cub6detail10OpaqueTypeILi8EEEEELb1EPKdPdPKSA_PSA_mNS0_19identity_decomposerEEEvT1_T2_T3_T4_jPT5_SO_PNS1_23onesweep_lookback_stateET6_jjj,comdat
.Lfunc_end149:
	.size	_ZN7rocprim17ROCPRIM_304000_NS6detail25onesweep_iteration_kernelINS1_34wrapped_radix_sort_onesweep_configINS0_14default_configEdN2at4cuda3cub6detail10OpaqueTypeILi8EEEEELb1EPKdPdPKSA_PSA_mNS0_19identity_decomposerEEEvT1_T2_T3_T4_jPT5_SO_PNS1_23onesweep_lookback_stateET6_jjj, .Lfunc_end149-_ZN7rocprim17ROCPRIM_304000_NS6detail25onesweep_iteration_kernelINS1_34wrapped_radix_sort_onesweep_configINS0_14default_configEdN2at4cuda3cub6detail10OpaqueTypeILi8EEEEELb1EPKdPdPKSA_PSA_mNS0_19identity_decomposerEEEvT1_T2_T3_T4_jPT5_SO_PNS1_23onesweep_lookback_stateET6_jjj
                                        ; -- End function
	.section	.AMDGPU.csdata,"",@progbits
; Kernel info:
; codeLenInByte = 10100
; NumSgprs: 40
; NumVgprs: 48
; ScratchSize: 0
; MemoryBound: 1
; FloatMode: 240
; IeeeMode: 1
; LDSByteSize: 36992 bytes/workgroup (compile time only)
; SGPRBlocks: 4
; VGPRBlocks: 5
; NumSGPRsForWavesPerEU: 40
; NumVGPRsForWavesPerEU: 48
; Occupancy: 16
; WaveLimiterHint : 1
; COMPUTE_PGM_RSRC2:SCRATCH_EN: 0
; COMPUTE_PGM_RSRC2:USER_SGPR: 15
; COMPUTE_PGM_RSRC2:TRAP_HANDLER: 0
; COMPUTE_PGM_RSRC2:TGID_X_EN: 1
; COMPUTE_PGM_RSRC2:TGID_Y_EN: 0
; COMPUTE_PGM_RSRC2:TGID_Z_EN: 0
; COMPUTE_PGM_RSRC2:TIDIG_COMP_CNT: 2
	.section	.text._ZN7rocprim17ROCPRIM_304000_NS6detail25onesweep_iteration_kernelINS1_34wrapped_radix_sort_onesweep_configINS0_14default_configEdN2at4cuda3cub6detail10OpaqueTypeILi8EEEEELb1EPdSC_PSA_SD_mNS0_19identity_decomposerEEEvT1_T2_T3_T4_jPT5_SK_PNS1_23onesweep_lookback_stateET6_jjj,"axG",@progbits,_ZN7rocprim17ROCPRIM_304000_NS6detail25onesweep_iteration_kernelINS1_34wrapped_radix_sort_onesweep_configINS0_14default_configEdN2at4cuda3cub6detail10OpaqueTypeILi8EEEEELb1EPdSC_PSA_SD_mNS0_19identity_decomposerEEEvT1_T2_T3_T4_jPT5_SK_PNS1_23onesweep_lookback_stateET6_jjj,comdat
	.protected	_ZN7rocprim17ROCPRIM_304000_NS6detail25onesweep_iteration_kernelINS1_34wrapped_radix_sort_onesweep_configINS0_14default_configEdN2at4cuda3cub6detail10OpaqueTypeILi8EEEEELb1EPdSC_PSA_SD_mNS0_19identity_decomposerEEEvT1_T2_T3_T4_jPT5_SK_PNS1_23onesweep_lookback_stateET6_jjj ; -- Begin function _ZN7rocprim17ROCPRIM_304000_NS6detail25onesweep_iteration_kernelINS1_34wrapped_radix_sort_onesweep_configINS0_14default_configEdN2at4cuda3cub6detail10OpaqueTypeILi8EEEEELb1EPdSC_PSA_SD_mNS0_19identity_decomposerEEEvT1_T2_T3_T4_jPT5_SK_PNS1_23onesweep_lookback_stateET6_jjj
	.globl	_ZN7rocprim17ROCPRIM_304000_NS6detail25onesweep_iteration_kernelINS1_34wrapped_radix_sort_onesweep_configINS0_14default_configEdN2at4cuda3cub6detail10OpaqueTypeILi8EEEEELb1EPdSC_PSA_SD_mNS0_19identity_decomposerEEEvT1_T2_T3_T4_jPT5_SK_PNS1_23onesweep_lookback_stateET6_jjj
	.p2align	8
	.type	_ZN7rocprim17ROCPRIM_304000_NS6detail25onesweep_iteration_kernelINS1_34wrapped_radix_sort_onesweep_configINS0_14default_configEdN2at4cuda3cub6detail10OpaqueTypeILi8EEEEELb1EPdSC_PSA_SD_mNS0_19identity_decomposerEEEvT1_T2_T3_T4_jPT5_SK_PNS1_23onesweep_lookback_stateET6_jjj,@function
_ZN7rocprim17ROCPRIM_304000_NS6detail25onesweep_iteration_kernelINS1_34wrapped_radix_sort_onesweep_configINS0_14default_configEdN2at4cuda3cub6detail10OpaqueTypeILi8EEEEELb1EPdSC_PSA_SD_mNS0_19identity_decomposerEEEvT1_T2_T3_T4_jPT5_SK_PNS1_23onesweep_lookback_stateET6_jjj: ; @_ZN7rocprim17ROCPRIM_304000_NS6detail25onesweep_iteration_kernelINS1_34wrapped_radix_sort_onesweep_configINS0_14default_configEdN2at4cuda3cub6detail10OpaqueTypeILi8EEEEELb1EPdSC_PSA_SD_mNS0_19identity_decomposerEEEvT1_T2_T3_T4_jPT5_SK_PNS1_23onesweep_lookback_stateET6_jjj
; %bb.0:
	s_clause 0x3
	s_load_b128 s[28:31], s[0:1], 0x44
	s_load_b256 s[16:23], s[0:1], 0x0
	s_load_b128 s[24:27], s[0:1], 0x28
	s_load_b64 s[12:13], s[0:1], 0x38
	v_and_b32_e32 v9, 0x3ff, v0
	v_mbcnt_lo_u32_b32 v18, -1, 0
	s_waitcnt lgkmcnt(0)
	s_cmp_ge_u32 s15, s30
	s_cbranch_scc0 .LBB150_66
; %bb.1:
	s_load_b32 s14, s[0:1], 0x20
	s_mov_b32 s4, -1
	s_lshl_b32 s2, s15, 12
	s_mov_b32 s5, s4
	s_mov_b32 s6, s4
	;; [unrolled: 1-line block ×7, first 2 shown]
	v_lshlrev_b32_e32 v21, 2, v9
	s_mov_b32 s3, 0
	s_lshl_b32 s33, s30, 12
	v_lshlrev_b32_e32 v19, 3, v18
	s_lshl_b64 s[30:31], s[2:3], 3
	v_and_b32_e32 v1, 0xf80, v21
	s_delay_alu instid0(VALU_DEP_1)
	v_lshlrev_b32_e32 v20, 3, v1
	s_waitcnt lgkmcnt(0)
	s_sub_i32 s34, s14, s33
	s_add_u32 s2, s16, s30
	v_or_b32_e32 v12, v18, v1
	s_addc_u32 s3, s17, s31
	v_add_co_u32 v1, s2, s2, v19
	s_delay_alu instid0(VALU_DEP_1) | instskip(NEXT) | instid1(VALU_DEP_3)
	v_add_co_ci_u32_e64 v2, null, s3, 0, s2
	v_cmp_gt_u32_e32 vcc_lo, s34, v12
	s_delay_alu instid0(VALU_DEP_3) | instskip(NEXT) | instid1(VALU_DEP_1)
	v_add_co_u32 v10, s2, v1, v20
	v_add_co_ci_u32_e64 v11, s2, 0, v2, s2
	v_dual_mov_b32 v1, s4 :: v_dual_mov_b32 v2, s5
	v_dual_mov_b32 v3, s6 :: v_dual_mov_b32 v8, s11
	;; [unrolled: 1-line block ×4, first 2 shown]
	s_and_saveexec_b32 s2, vcc_lo
	s_cbranch_execz .LBB150_3
; %bb.2:
	global_load_b64 v[1:2], v[10:11], off
	v_mov_b32_e32 v3, -1
	s_delay_alu instid0(VALU_DEP_1)
	v_mov_b32_e32 v4, v3
	v_mov_b32_e32 v5, v3
	;; [unrolled: 1-line block ×5, first 2 shown]
.LBB150_3:
	s_or_b32 exec_lo, exec_lo, s2
	v_add_nc_u32_e32 v13, 32, v12
	s_delay_alu instid0(VALU_DEP_1) | instskip(NEXT) | instid1(VALU_DEP_1)
	v_cmp_gt_u32_e64 s2, s34, v13
	s_and_saveexec_b32 s3, s2
	s_cbranch_execz .LBB150_5
; %bb.4:
	global_load_b64 v[3:4], v[10:11], off offset:256
.LBB150_5:
	s_or_b32 exec_lo, exec_lo, s3
	v_add_nc_u32_e32 v13, 64, v12
	s_delay_alu instid0(VALU_DEP_1) | instskip(NEXT) | instid1(VALU_DEP_1)
	v_cmp_gt_u32_e64 s3, s34, v13
	s_and_saveexec_b32 s4, s3
	s_cbranch_execz .LBB150_7
; %bb.6:
	global_load_b64 v[5:6], v[10:11], off offset:512
.LBB150_7:
	;; [unrolled: 9-line block ×3, first 2 shown]
	s_or_b32 exec_lo, exec_lo, s5
	s_clause 0x1
	s_load_b32 s5, s[0:1], 0x5c
	s_load_b32 s14, s[0:1], 0x50
	s_add_u32 s6, s0, 0x50
	s_addc_u32 s7, s1, 0
	s_waitcnt vmcnt(0)
	v_ashrrev_i32_e32 v10, 31, v2
	s_mov_b32 s8, 0
	s_brev_b32 s9, 1
	s_delay_alu instid0(VALU_DEP_1) | instskip(SKIP_4) | instid1(SALU_CYCLE_1)
	v_not_b32_e32 v10, v10
	s_waitcnt lgkmcnt(0)
	s_lshr_b32 s10, s5, 16
	s_cmp_lt_u32 s15, s14
	s_cselect_b32 s5, 12, 18
	s_add_u32 s6, s6, s5
	v_cmp_gt_i64_e64 s5, 0, v[1:2]
	v_xor_b32_e32 v1, v10, v1
	s_addc_u32 s7, s7, 0
	s_delay_alu instid0(VALU_DEP_2) | instskip(NEXT) | instid1(VALU_DEP_1)
	v_cndmask_b32_e64 v11, 0x7fffffff, 0, s5
	v_xor_b32_e32 v2, v11, v2
	s_delay_alu instid0(VALU_DEP_1) | instskip(NEXT) | instid1(VALU_DEP_1)
	v_cmp_ne_u64_e64 s5, s[8:9], v[1:2]
	v_cndmask_b32_e64 v11, 0x7fffffff, v2, s5
	v_cndmask_b32_e64 v10, -1, v1, s5
	s_lshl_b32 s5, -1, s29
	s_delay_alu instid0(SALU_CYCLE_1) | instskip(NEXT) | instid1(VALU_DEP_1)
	s_not_b32 s33, s5
	v_lshrrev_b64 v[10:11], s28, v[10:11]
	s_delay_alu instid0(VALU_DEP_1) | instskip(SKIP_2) | instid1(VALU_DEP_3)
	v_and_b32_e32 v14, s33, v10
	v_mov_b32_e32 v12, 0
	v_bfe_u32 v10, v0, 10, 10
	v_and_b32_e32 v11, 1, v14
	global_load_u16 v13, v12, s[6:7]
	v_lshlrev_b32_e32 v15, 30, v14
	v_lshlrev_b32_e32 v16, 29, v14
	;; [unrolled: 1-line block ×3, first 2 shown]
	v_add_co_u32 v11, s5, v11, -1
	s_delay_alu instid0(VALU_DEP_1)
	v_cndmask_b32_e64 v22, 0, 1, s5
	v_not_b32_e32 v26, v15
	v_cmp_gt_i32_e64 s6, 0, v15
	v_not_b32_e32 v15, v16
	v_lshlrev_b32_e32 v23, 27, v14
	v_cmp_ne_u32_e64 s5, 0, v22
	v_ashrrev_i32_e32 v26, 31, v26
	v_lshlrev_b32_e32 v24, 26, v14
	v_ashrrev_i32_e32 v15, 31, v15
	v_lshlrev_b32_e32 v25, 25, v14
	v_xor_b32_e32 v11, s5, v11
	v_cmp_gt_i32_e64 s5, 0, v16
	v_not_b32_e32 v16, v17
	v_xor_b32_e32 v26, s6, v26
	v_cmp_gt_i32_e64 s6, 0, v17
	v_and_b32_e32 v11, exec_lo, v11
	v_not_b32_e32 v17, v23
	v_ashrrev_i32_e32 v16, 31, v16
	v_xor_b32_e32 v15, s5, v15
	v_cmp_gt_i32_e64 s5, 0, v23
	v_and_b32_e32 v11, v11, v26
	v_not_b32_e32 v23, v24
	v_ashrrev_i32_e32 v17, 31, v17
	v_xor_b32_e32 v16, s6, v16
	v_lshlrev_b32_e32 v22, 24, v14
	v_and_b32_e32 v11, v11, v15
	v_cmp_gt_i32_e64 s6, 0, v24
	v_not_b32_e32 v15, v25
	v_ashrrev_i32_e32 v23, 31, v23
	v_xor_b32_e32 v17, s5, v17
	v_and_b32_e32 v11, v11, v16
	v_cmp_gt_i32_e64 s5, 0, v25
	v_not_b32_e32 v16, v22
	v_ashrrev_i32_e32 v15, 31, v15
	v_xor_b32_e32 v23, s6, v23
	v_and_b32_e32 v11, v11, v17
	v_bfe_u32 v17, v0, 20, 10
	v_cmp_gt_i32_e64 s6, 0, v22
	v_ashrrev_i32_e32 v16, 31, v16
	v_xor_b32_e32 v15, s5, v15
	v_and_b32_e32 v11, v11, v23
	v_mad_u32_u24 v17, v17, s10, v10
	v_mul_u32_u24_e32 v22, 9, v9
	v_xor_b32_e32 v16, s6, v16
	s_delay_alu instid0(VALU_DEP_4) | instskip(NEXT) | instid1(VALU_DEP_3)
	v_and_b32_e32 v15, v11, v15
	v_lshlrev_b32_e32 v23, 2, v22
	ds_store_2addr_b32 v23, v12, v12 offset0:32 offset1:33
	ds_store_2addr_b32 v23, v12, v12 offset0:34 offset1:35
	;; [unrolled: 1-line block ×4, first 2 shown]
	ds_store_b32 v23, v12 offset:160
	v_lshl_add_u32 v12, v14, 5, v14
	s_waitcnt vmcnt(0) lgkmcnt(0)
	s_barrier
	buffer_gl0_inv
	; wave barrier
	v_mad_u64_u32 v[10:11], null, v17, v13, v[9:10]
	v_and_b32_e32 v11, v15, v16
	s_delay_alu instid0(VALU_DEP_1) | instskip(NEXT) | instid1(VALU_DEP_3)
	v_mbcnt_lo_u32_b32 v22, v11, 0
	v_lshrrev_b32_e32 v10, 5, v10
	v_cmp_ne_u32_e64 s6, 0, v11
	s_delay_alu instid0(VALU_DEP_3) | instskip(NEXT) | instid1(VALU_DEP_3)
	v_cmp_eq_u32_e64 s5, 0, v22
	v_add_lshl_u32 v24, v12, v10, 2
	s_delay_alu instid0(VALU_DEP_2) | instskip(NEXT) | instid1(SALU_CYCLE_1)
	s_and_b32 s6, s6, s5
	s_and_saveexec_b32 s5, s6
	s_cbranch_execz .LBB150_11
; %bb.10:
	v_bcnt_u32_b32 v11, v11, 0
	ds_store_b32 v24, v11 offset:128
.LBB150_11:
	s_or_b32 exec_lo, exec_lo, s5
	v_cmp_gt_i64_e64 s5, 0, v[3:4]
	v_ashrrev_i32_e32 v11, 31, v4
	; wave barrier
	s_delay_alu instid0(VALU_DEP_1) | instskip(NEXT) | instid1(VALU_DEP_3)
	v_not_b32_e32 v11, v11
	v_cndmask_b32_e64 v12, 0x7fffffff, 0, s5
	s_delay_alu instid0(VALU_DEP_2) | instskip(NEXT) | instid1(VALU_DEP_2)
	v_xor_b32_e32 v3, v11, v3
	v_xor_b32_e32 v4, v12, v4
	s_delay_alu instid0(VALU_DEP_1) | instskip(NEXT) | instid1(VALU_DEP_1)
	v_cmp_ne_u64_e64 s5, s[8:9], v[3:4]
	v_cndmask_b32_e64 v12, 0x7fffffff, v4, s5
	v_cndmask_b32_e64 v11, -1, v3, s5
	s_delay_alu instid0(VALU_DEP_1) | instskip(NEXT) | instid1(VALU_DEP_1)
	v_lshrrev_b64 v[11:12], s28, v[11:12]
	v_and_b32_e32 v11, s33, v11
	s_delay_alu instid0(VALU_DEP_1)
	v_and_b32_e32 v12, 1, v11
	v_lshlrev_b32_e32 v13, 30, v11
	v_lshlrev_b32_e32 v14, 29, v11
	;; [unrolled: 1-line block ×4, first 2 shown]
	v_add_co_u32 v12, s5, v12, -1
	s_delay_alu instid0(VALU_DEP_1)
	v_cndmask_b32_e64 v16, 0, 1, s5
	v_not_b32_e32 v27, v13
	v_cmp_gt_i32_e64 s6, 0, v13
	v_not_b32_e32 v13, v14
	v_lshlrev_b32_e32 v25, 26, v11
	v_cmp_ne_u32_e64 s5, 0, v16
	v_ashrrev_i32_e32 v27, 31, v27
	v_lshlrev_b32_e32 v26, 25, v11
	v_ashrrev_i32_e32 v13, 31, v13
	v_lshlrev_b32_e32 v16, 24, v11
	v_xor_b32_e32 v12, s5, v12
	v_cmp_gt_i32_e64 s5, 0, v14
	v_not_b32_e32 v14, v15
	v_xor_b32_e32 v27, s6, v27
	v_cmp_gt_i32_e64 s6, 0, v15
	v_and_b32_e32 v12, exec_lo, v12
	v_not_b32_e32 v15, v17
	v_ashrrev_i32_e32 v14, 31, v14
	v_xor_b32_e32 v13, s5, v13
	v_cmp_gt_i32_e64 s5, 0, v17
	v_and_b32_e32 v12, v12, v27
	v_not_b32_e32 v17, v25
	v_ashrrev_i32_e32 v15, 31, v15
	v_xor_b32_e32 v14, s6, v14
	v_cmp_gt_i32_e64 s6, 0, v25
	v_and_b32_e32 v12, v12, v13
	;; [unrolled: 5-line block ×3, first 2 shown]
	v_not_b32_e32 v14, v16
	v_ashrrev_i32_e32 v13, 31, v13
	v_xor_b32_e32 v17, s6, v17
	v_lshl_add_u32 v11, v11, 5, v11
	v_and_b32_e32 v12, v12, v15
	v_cmp_gt_i32_e64 s6, 0, v16
	v_ashrrev_i32_e32 v14, 31, v14
	v_xor_b32_e32 v13, s5, v13
	v_add_lshl_u32 v27, v11, v10, 2
	v_and_b32_e32 v12, v12, v17
	s_delay_alu instid0(VALU_DEP_4) | instskip(SKIP_2) | instid1(VALU_DEP_1)
	v_xor_b32_e32 v11, s6, v14
	ds_load_b32 v25, v27 offset:128
	v_and_b32_e32 v12, v12, v13
	; wave barrier
	v_and_b32_e32 v11, v12, v11
	s_delay_alu instid0(VALU_DEP_1) | instskip(SKIP_1) | instid1(VALU_DEP_2)
	v_mbcnt_lo_u32_b32 v26, v11, 0
	v_cmp_ne_u32_e64 s6, 0, v11
	v_cmp_eq_u32_e64 s5, 0, v26
	s_delay_alu instid0(VALU_DEP_1) | instskip(NEXT) | instid1(SALU_CYCLE_1)
	s_and_b32 s6, s6, s5
	s_and_saveexec_b32 s5, s6
	s_cbranch_execz .LBB150_13
; %bb.12:
	s_waitcnt lgkmcnt(0)
	v_bcnt_u32_b32 v11, v11, v25
	ds_store_b32 v27, v11 offset:128
.LBB150_13:
	s_or_b32 exec_lo, exec_lo, s5
	v_cmp_gt_i64_e64 s5, 0, v[5:6]
	v_ashrrev_i32_e32 v11, 31, v6
	; wave barrier
	s_delay_alu instid0(VALU_DEP_1) | instskip(NEXT) | instid1(VALU_DEP_3)
	v_not_b32_e32 v11, v11
	v_cndmask_b32_e64 v12, 0x7fffffff, 0, s5
	s_delay_alu instid0(VALU_DEP_2) | instskip(NEXT) | instid1(VALU_DEP_2)
	v_xor_b32_e32 v5, v11, v5
	v_xor_b32_e32 v6, v12, v6
	s_delay_alu instid0(VALU_DEP_1) | instskip(NEXT) | instid1(VALU_DEP_1)
	v_cmp_ne_u64_e64 s5, s[8:9], v[5:6]
	v_cndmask_b32_e64 v12, 0x7fffffff, v6, s5
	v_cndmask_b32_e64 v11, -1, v5, s5
	s_delay_alu instid0(VALU_DEP_1) | instskip(NEXT) | instid1(VALU_DEP_1)
	v_lshrrev_b64 v[11:12], s28, v[11:12]
	v_and_b32_e32 v11, s33, v11
	s_delay_alu instid0(VALU_DEP_1)
	v_and_b32_e32 v12, 1, v11
	v_lshlrev_b32_e32 v13, 30, v11
	v_lshlrev_b32_e32 v14, 29, v11
	;; [unrolled: 1-line block ×4, first 2 shown]
	v_add_co_u32 v12, s5, v12, -1
	s_delay_alu instid0(VALU_DEP_1)
	v_cndmask_b32_e64 v16, 0, 1, s5
	v_not_b32_e32 v30, v13
	v_cmp_gt_i32_e64 s6, 0, v13
	v_not_b32_e32 v13, v14
	v_lshlrev_b32_e32 v28, 26, v11
	v_cmp_ne_u32_e64 s5, 0, v16
	v_ashrrev_i32_e32 v30, 31, v30
	v_lshlrev_b32_e32 v29, 25, v11
	v_ashrrev_i32_e32 v13, 31, v13
	v_lshlrev_b32_e32 v16, 24, v11
	v_xor_b32_e32 v12, s5, v12
	v_cmp_gt_i32_e64 s5, 0, v14
	v_not_b32_e32 v14, v15
	v_xor_b32_e32 v30, s6, v30
	v_cmp_gt_i32_e64 s6, 0, v15
	v_and_b32_e32 v12, exec_lo, v12
	v_not_b32_e32 v15, v17
	v_ashrrev_i32_e32 v14, 31, v14
	v_xor_b32_e32 v13, s5, v13
	v_cmp_gt_i32_e64 s5, 0, v17
	v_and_b32_e32 v12, v12, v30
	v_not_b32_e32 v17, v28
	v_ashrrev_i32_e32 v15, 31, v15
	v_xor_b32_e32 v14, s6, v14
	v_cmp_gt_i32_e64 s6, 0, v28
	v_and_b32_e32 v12, v12, v13
	v_not_b32_e32 v13, v29
	v_ashrrev_i32_e32 v17, 31, v17
	v_xor_b32_e32 v15, s5, v15
	v_cmp_gt_i32_e64 s5, 0, v29
	v_and_b32_e32 v12, v12, v14
	v_not_b32_e32 v14, v16
	v_ashrrev_i32_e32 v13, 31, v13
	v_xor_b32_e32 v17, s6, v17
	v_lshl_add_u32 v11, v11, 5, v11
	v_and_b32_e32 v12, v12, v15
	v_cmp_gt_i32_e64 s6, 0, v16
	v_ashrrev_i32_e32 v14, 31, v14
	v_xor_b32_e32 v13, s5, v13
	v_add_lshl_u32 v30, v11, v10, 2
	v_and_b32_e32 v12, v12, v17
	s_delay_alu instid0(VALU_DEP_4) | instskip(SKIP_2) | instid1(VALU_DEP_1)
	v_xor_b32_e32 v11, s6, v14
	ds_load_b32 v28, v30 offset:128
	v_and_b32_e32 v12, v12, v13
	; wave barrier
	v_and_b32_e32 v11, v12, v11
	s_delay_alu instid0(VALU_DEP_1) | instskip(SKIP_1) | instid1(VALU_DEP_2)
	v_mbcnt_lo_u32_b32 v29, v11, 0
	v_cmp_ne_u32_e64 s6, 0, v11
	v_cmp_eq_u32_e64 s5, 0, v29
	s_delay_alu instid0(VALU_DEP_1) | instskip(NEXT) | instid1(SALU_CYCLE_1)
	s_and_b32 s6, s6, s5
	s_and_saveexec_b32 s5, s6
	s_cbranch_execz .LBB150_15
; %bb.14:
	s_waitcnt lgkmcnt(0)
	v_bcnt_u32_b32 v11, v11, v28
	ds_store_b32 v30, v11 offset:128
.LBB150_15:
	s_or_b32 exec_lo, exec_lo, s5
	v_cmp_gt_i64_e64 s5, 0, v[7:8]
	v_ashrrev_i32_e32 v11, 31, v8
	; wave barrier
	v_add_nc_u32_e32 v34, 0x80, v23
	s_delay_alu instid0(VALU_DEP_2) | instskip(NEXT) | instid1(VALU_DEP_4)
	v_not_b32_e32 v11, v11
	v_cndmask_b32_e64 v12, 0x7fffffff, 0, s5
	s_delay_alu instid0(VALU_DEP_2) | instskip(NEXT) | instid1(VALU_DEP_2)
	v_xor_b32_e32 v7, v11, v7
	v_xor_b32_e32 v8, v12, v8
	s_delay_alu instid0(VALU_DEP_1) | instskip(NEXT) | instid1(VALU_DEP_1)
	v_cmp_ne_u64_e64 s5, s[8:9], v[7:8]
	v_cndmask_b32_e64 v12, 0x7fffffff, v8, s5
	v_cndmask_b32_e64 v11, -1, v7, s5
	s_delay_alu instid0(VALU_DEP_1) | instskip(NEXT) | instid1(VALU_DEP_1)
	v_lshrrev_b64 v[11:12], s28, v[11:12]
	v_and_b32_e32 v11, s33, v11
	s_delay_alu instid0(VALU_DEP_1)
	v_and_b32_e32 v12, 1, v11
	v_lshlrev_b32_e32 v13, 30, v11
	v_lshlrev_b32_e32 v14, 29, v11
	;; [unrolled: 1-line block ×4, first 2 shown]
	v_add_co_u32 v12, s5, v12, -1
	s_delay_alu instid0(VALU_DEP_1)
	v_cndmask_b32_e64 v16, 0, 1, s5
	v_not_b32_e32 v33, v13
	v_cmp_gt_i32_e64 s6, 0, v13
	v_not_b32_e32 v13, v14
	v_lshlrev_b32_e32 v31, 26, v11
	v_cmp_ne_u32_e64 s5, 0, v16
	v_ashrrev_i32_e32 v33, 31, v33
	v_lshlrev_b32_e32 v32, 25, v11
	v_ashrrev_i32_e32 v13, 31, v13
	v_lshlrev_b32_e32 v16, 24, v11
	v_xor_b32_e32 v12, s5, v12
	v_cmp_gt_i32_e64 s5, 0, v14
	v_not_b32_e32 v14, v15
	v_xor_b32_e32 v33, s6, v33
	v_cmp_gt_i32_e64 s6, 0, v15
	v_and_b32_e32 v12, exec_lo, v12
	v_not_b32_e32 v15, v17
	v_ashrrev_i32_e32 v14, 31, v14
	v_xor_b32_e32 v13, s5, v13
	v_cmp_gt_i32_e64 s5, 0, v17
	v_and_b32_e32 v12, v12, v33
	v_not_b32_e32 v17, v31
	v_ashrrev_i32_e32 v15, 31, v15
	v_xor_b32_e32 v14, s6, v14
	v_cmp_gt_i32_e64 s6, 0, v31
	v_and_b32_e32 v12, v12, v13
	;; [unrolled: 5-line block ×3, first 2 shown]
	v_not_b32_e32 v14, v16
	v_ashrrev_i32_e32 v13, 31, v13
	v_xor_b32_e32 v17, s6, v17
	v_lshl_add_u32 v11, v11, 5, v11
	v_and_b32_e32 v12, v12, v15
	v_cmp_gt_i32_e64 s6, 0, v16
	v_ashrrev_i32_e32 v14, 31, v14
	v_xor_b32_e32 v13, s5, v13
	v_add_lshl_u32 v33, v11, v10, 2
	v_and_b32_e32 v12, v12, v17
	s_delay_alu instid0(VALU_DEP_4) | instskip(SKIP_2) | instid1(VALU_DEP_1)
	v_xor_b32_e32 v10, s6, v14
	ds_load_b32 v31, v33 offset:128
	v_and_b32_e32 v11, v12, v13
	; wave barrier
	v_and_b32_e32 v10, v11, v10
	s_delay_alu instid0(VALU_DEP_1) | instskip(SKIP_1) | instid1(VALU_DEP_2)
	v_mbcnt_lo_u32_b32 v32, v10, 0
	v_cmp_ne_u32_e64 s6, 0, v10
	v_cmp_eq_u32_e64 s5, 0, v32
	s_delay_alu instid0(VALU_DEP_1) | instskip(NEXT) | instid1(SALU_CYCLE_1)
	s_and_b32 s6, s6, s5
	s_and_saveexec_b32 s5, s6
	s_cbranch_execz .LBB150_17
; %bb.16:
	s_waitcnt lgkmcnt(0)
	v_bcnt_u32_b32 v10, v10, v31
	ds_store_b32 v33, v10 offset:128
.LBB150_17:
	s_or_b32 exec_lo, exec_lo, s5
	; wave barrier
	s_waitcnt lgkmcnt(0)
	s_barrier
	buffer_gl0_inv
	ds_load_2addr_b32 v[16:17], v23 offset0:32 offset1:33
	ds_load_2addr_b32 v[14:15], v34 offset0:2 offset1:3
	;; [unrolled: 1-line block ×4, first 2 shown]
	ds_load_b32 v35, v34 offset:32
	v_and_b32_e32 v38, 16, v18
	v_and_b32_e32 v39, 31, v9
	s_mov_b32 s11, exec_lo
	s_delay_alu instid0(VALU_DEP_2) | instskip(SKIP_3) | instid1(VALU_DEP_1)
	v_cmp_eq_u32_e64 s9, 0, v38
	s_waitcnt lgkmcnt(3)
	v_add3_u32 v36, v17, v16, v14
	s_waitcnt lgkmcnt(2)
	v_add3_u32 v36, v36, v15, v12
	s_waitcnt lgkmcnt(1)
	s_delay_alu instid0(VALU_DEP_1) | instskip(SKIP_1) | instid1(VALU_DEP_1)
	v_add3_u32 v36, v36, v13, v10
	s_waitcnt lgkmcnt(0)
	v_add3_u32 v35, v36, v11, v35
	v_and_b32_e32 v36, 15, v18
	s_delay_alu instid0(VALU_DEP_2) | instskip(NEXT) | instid1(VALU_DEP_2)
	v_mov_b32_dpp v37, v35 row_shr:1 row_mask:0xf bank_mask:0xf
	v_cmp_eq_u32_e64 s5, 0, v36
	v_cmp_lt_u32_e64 s6, 1, v36
	v_cmp_lt_u32_e64 s7, 3, v36
	;; [unrolled: 1-line block ×3, first 2 shown]
	s_delay_alu instid0(VALU_DEP_4) | instskip(NEXT) | instid1(VALU_DEP_1)
	v_cndmask_b32_e64 v37, v37, 0, s5
	v_add_nc_u32_e32 v35, v37, v35
	s_delay_alu instid0(VALU_DEP_1) | instskip(NEXT) | instid1(VALU_DEP_1)
	v_mov_b32_dpp v37, v35 row_shr:2 row_mask:0xf bank_mask:0xf
	v_cndmask_b32_e64 v37, 0, v37, s6
	s_delay_alu instid0(VALU_DEP_1) | instskip(NEXT) | instid1(VALU_DEP_1)
	v_add_nc_u32_e32 v35, v35, v37
	v_mov_b32_dpp v37, v35 row_shr:4 row_mask:0xf bank_mask:0xf
	s_delay_alu instid0(VALU_DEP_1) | instskip(NEXT) | instid1(VALU_DEP_1)
	v_cndmask_b32_e64 v37, 0, v37, s7
	v_add_nc_u32_e32 v35, v35, v37
	s_delay_alu instid0(VALU_DEP_1) | instskip(NEXT) | instid1(VALU_DEP_1)
	v_mov_b32_dpp v37, v35 row_shr:8 row_mask:0xf bank_mask:0xf
	v_cndmask_b32_e64 v36, 0, v37, s8
	v_bfe_i32 v37, v18, 4, 1
	s_delay_alu instid0(VALU_DEP_2) | instskip(SKIP_4) | instid1(VALU_DEP_2)
	v_add_nc_u32_e32 v35, v35, v36
	ds_swizzle_b32 v36, v35 offset:swizzle(BROADCAST,32,15)
	s_waitcnt lgkmcnt(0)
	v_and_b32_e32 v37, v37, v36
	v_lshrrev_b32_e32 v36, 5, v9
	v_add_nc_u32_e32 v35, v35, v37
	v_cmpx_eq_u32_e32 31, v39
	s_cbranch_execz .LBB150_19
; %bb.18:
	s_delay_alu instid0(VALU_DEP_3)
	v_lshlrev_b32_e32 v37, 2, v36
	ds_store_b32 v37, v35
.LBB150_19:
	s_or_b32 exec_lo, exec_lo, s11
	v_cmp_lt_u32_e64 s10, 31, v9
	s_mov_b32 s35, exec_lo
	s_waitcnt lgkmcnt(0)
	s_barrier
	buffer_gl0_inv
	v_cmpx_gt_u32_e32 32, v9
	s_cbranch_execz .LBB150_21
; %bb.20:
	ds_load_b32 v37, v21
	s_waitcnt lgkmcnt(0)
	v_mov_b32_dpp v38, v37 row_shr:1 row_mask:0xf bank_mask:0xf
	s_delay_alu instid0(VALU_DEP_1) | instskip(NEXT) | instid1(VALU_DEP_1)
	v_cndmask_b32_e64 v38, v38, 0, s5
	v_add_nc_u32_e32 v37, v38, v37
	s_delay_alu instid0(VALU_DEP_1) | instskip(NEXT) | instid1(VALU_DEP_1)
	v_mov_b32_dpp v38, v37 row_shr:2 row_mask:0xf bank_mask:0xf
	v_cndmask_b32_e64 v38, 0, v38, s6
	s_delay_alu instid0(VALU_DEP_1) | instskip(NEXT) | instid1(VALU_DEP_1)
	v_add_nc_u32_e32 v37, v37, v38
	v_mov_b32_dpp v38, v37 row_shr:4 row_mask:0xf bank_mask:0xf
	s_delay_alu instid0(VALU_DEP_1) | instskip(NEXT) | instid1(VALU_DEP_1)
	v_cndmask_b32_e64 v38, 0, v38, s7
	v_add_nc_u32_e32 v37, v37, v38
	s_delay_alu instid0(VALU_DEP_1) | instskip(NEXT) | instid1(VALU_DEP_1)
	v_mov_b32_dpp v38, v37 row_shr:8 row_mask:0xf bank_mask:0xf
	v_cndmask_b32_e64 v38, 0, v38, s8
	s_delay_alu instid0(VALU_DEP_1) | instskip(SKIP_3) | instid1(VALU_DEP_1)
	v_add_nc_u32_e32 v37, v37, v38
	ds_swizzle_b32 v38, v37 offset:swizzle(BROADCAST,32,15)
	s_waitcnt lgkmcnt(0)
	v_cndmask_b32_e64 v38, v38, 0, s9
	v_add_nc_u32_e32 v37, v37, v38
	ds_store_b32 v21, v37
.LBB150_21:
	s_or_b32 exec_lo, exec_lo, s35
	v_mov_b32_e32 v21, 0
	s_waitcnt lgkmcnt(0)
	s_barrier
	buffer_gl0_inv
	s_and_saveexec_b32 s5, s10
	s_cbranch_execz .LBB150_23
; %bb.22:
	v_lshl_add_u32 v21, v36, 2, -4
	ds_load_b32 v21, v21
.LBB150_23:
	s_or_b32 exec_lo, exec_lo, s5
	v_add_nc_u32_e32 v36, -1, v18
	s_waitcnt lgkmcnt(0)
	v_add_nc_u32_e32 v35, v21, v35
	s_delay_alu instid0(VALU_DEP_2) | instskip(NEXT) | instid1(VALU_DEP_1)
	v_cmp_gt_i32_e64 s5, 0, v36
	v_cndmask_b32_e64 v36, v36, v18, s5
	v_cmp_eq_u32_e64 s5, 0, v18
	s_delay_alu instid0(VALU_DEP_2) | instskip(SKIP_4) | instid1(VALU_DEP_1)
	v_lshlrev_b32_e32 v36, 2, v36
	ds_bpermute_b32 v35, v36, v35
	s_waitcnt lgkmcnt(0)
	v_cndmask_b32_e64 v21, v35, v21, s5
	v_cmp_ne_u32_e64 s5, 0, v9
	v_cndmask_b32_e64 v21, 0, v21, s5
	v_cmp_gt_u32_e64 s5, 0x100, v9
	s_delay_alu instid0(VALU_DEP_2) | instskip(NEXT) | instid1(VALU_DEP_1)
	v_add_nc_u32_e32 v16, v21, v16
	v_add_nc_u32_e32 v17, v16, v17
	s_delay_alu instid0(VALU_DEP_1) | instskip(NEXT) | instid1(VALU_DEP_1)
	v_add_nc_u32_e32 v14, v17, v14
	v_add_nc_u32_e32 v15, v14, v15
	s_delay_alu instid0(VALU_DEP_1) | instskip(NEXT) | instid1(VALU_DEP_1)
	;; [unrolled: 3-line block ×3, first 2 shown]
	v_add_nc_u32_e32 v10, v13, v10
	v_add_nc_u32_e32 v11, v10, v11
	ds_store_2addr_b32 v23, v21, v16 offset0:32 offset1:33
	ds_store_2addr_b32 v34, v17, v14 offset0:2 offset1:3
	;; [unrolled: 1-line block ×4, first 2 shown]
	ds_store_b32 v34, v11 offset:32
	s_waitcnt lgkmcnt(0)
	s_barrier
	buffer_gl0_inv
	ds_load_b32 v14, v24 offset:128
	ds_load_b32 v15, v27 offset:128
	;; [unrolled: 1-line block ×4, first 2 shown]
                                        ; implicit-def: $vgpr12
                                        ; implicit-def: $vgpr13
	s_and_saveexec_b32 s7, s5
	s_cbranch_execz .LBB150_27
; %bb.24:
	v_mul_u32_u24_e32 v12, 33, v9
	s_mov_b32 s8, exec_lo
	s_delay_alu instid0(VALU_DEP_1)
	v_dual_mov_b32 v13, 0x1000 :: v_dual_lshlrev_b32 v16, 2, v12
	ds_load_b32 v12, v16 offset:128
	v_cmpx_ne_u32_e32 0xff, v9
	s_cbranch_execz .LBB150_26
; %bb.25:
	ds_load_b32 v13, v16 offset:260
.LBB150_26:
	s_or_b32 exec_lo, exec_lo, s8
	s_waitcnt lgkmcnt(0)
	v_sub_nc_u32_e32 v13, v13, v12
.LBB150_27:
	s_or_b32 exec_lo, exec_lo, s7
	v_add_nc_u32_e32 v17, v32, v31
	v_add_nc_u32_e32 v16, v26, v25
	;; [unrolled: 1-line block ×3, first 2 shown]
	s_waitcnt lgkmcnt(3)
	v_add_lshl_u32 v14, v14, v22, 3
	s_waitcnt lgkmcnt(0)
	v_add_lshl_u32 v17, v17, v10, 3
	v_add_lshl_u32 v15, v16, v15, 3
	;; [unrolled: 1-line block ×3, first 2 shown]
	s_barrier
	buffer_gl0_inv
	ds_store_b64 v14, v[1:2] offset:2048
	ds_store_b64 v15, v[3:4] offset:2048
	;; [unrolled: 1-line block ×4, first 2 shown]
	s_waitcnt lgkmcnt(0)
	s_barrier
	buffer_gl0_inv
	s_and_saveexec_b32 s7, s5
	s_cbranch_execz .LBB150_37
; %bb.28:
	v_lshl_or_b32 v3, s15, 8, v9
	v_dual_mov_b32 v4, 0 :: v_dual_mov_b32 v7, 0
	s_mov_b32 s8, 0
	s_mov_b32 s9, s15
	s_delay_alu instid0(VALU_DEP_1) | instskip(SKIP_1) | instid1(VALU_DEP_2)
	v_lshlrev_b64 v[1:2], 2, v[3:4]
	v_or_b32_e32 v3, 2.0, v13
	v_add_co_u32 v1, s6, s12, v1
	s_delay_alu instid0(VALU_DEP_1)
	v_add_co_ci_u32_e64 v2, s6, s13, v2, s6
                                        ; implicit-def: $sgpr6
	global_store_b32 v[1:2], v3, off
	s_branch .LBB150_30
	.p2align	6
.LBB150_29:                             ;   in Loop: Header=BB150_30 Depth=1
	s_or_b32 exec_lo, exec_lo, s10
	v_and_b32_e32 v5, 0x3fffffff, v8
	v_cmp_eq_u32_e64 s6, 0x80000000, v3
	s_delay_alu instid0(VALU_DEP_2) | instskip(NEXT) | instid1(VALU_DEP_2)
	v_add_nc_u32_e32 v7, v5, v7
	s_and_b32 s10, exec_lo, s6
	s_delay_alu instid0(SALU_CYCLE_1) | instskip(NEXT) | instid1(SALU_CYCLE_1)
	s_or_b32 s8, s10, s8
	s_and_not1_b32 exec_lo, exec_lo, s8
	s_cbranch_execz .LBB150_36
.LBB150_30:                             ; =>This Loop Header: Depth=1
                                        ;     Child Loop BB150_33 Depth 2
	s_or_b32 s6, s6, exec_lo
	s_cmp_eq_u32 s9, 0
	s_cbranch_scc1 .LBB150_35
; %bb.31:                               ;   in Loop: Header=BB150_30 Depth=1
	s_add_i32 s9, s9, -1
	s_mov_b32 s10, exec_lo
	v_lshl_or_b32 v3, s9, 8, v9
	s_delay_alu instid0(VALU_DEP_1) | instskip(NEXT) | instid1(VALU_DEP_1)
	v_lshlrev_b64 v[5:6], 2, v[3:4]
	v_add_co_u32 v5, s6, s12, v5
	s_delay_alu instid0(VALU_DEP_1) | instskip(SKIP_3) | instid1(VALU_DEP_1)
	v_add_co_ci_u32_e64 v6, s6, s13, v6, s6
	global_load_b32 v8, v[5:6], off glc
	s_waitcnt vmcnt(0)
	v_and_b32_e32 v3, -2.0, v8
	v_cmpx_eq_u32_e32 0, v3
	s_cbranch_execz .LBB150_29
; %bb.32:                               ;   in Loop: Header=BB150_30 Depth=1
	s_mov_b32 s11, 0
.LBB150_33:                             ;   Parent Loop BB150_30 Depth=1
                                        ; =>  This Inner Loop Header: Depth=2
	global_load_b32 v8, v[5:6], off glc
	s_waitcnt vmcnt(0)
	v_and_b32_e32 v3, -2.0, v8
	s_delay_alu instid0(VALU_DEP_1) | instskip(NEXT) | instid1(VALU_DEP_1)
	v_cmp_ne_u32_e64 s6, 0, v3
	s_or_b32 s11, s6, s11
	s_delay_alu instid0(SALU_CYCLE_1)
	s_and_not1_b32 exec_lo, exec_lo, s11
	s_cbranch_execnz .LBB150_33
; %bb.34:                               ;   in Loop: Header=BB150_30 Depth=1
	s_or_b32 exec_lo, exec_lo, s11
	s_branch .LBB150_29
.LBB150_35:                             ;   in Loop: Header=BB150_30 Depth=1
                                        ; implicit-def: $sgpr9
	s_and_b32 s10, exec_lo, s6
	s_delay_alu instid0(SALU_CYCLE_1) | instskip(NEXT) | instid1(SALU_CYCLE_1)
	s_or_b32 s8, s10, s8
	s_and_not1_b32 exec_lo, exec_lo, s8
	s_cbranch_execnz .LBB150_30
.LBB150_36:
	s_or_b32 exec_lo, exec_lo, s8
	v_add_nc_u32_e32 v3, v7, v13
	v_lshlrev_b32_e32 v4, 3, v9
	s_delay_alu instid0(VALU_DEP_2) | instskip(SKIP_3) | instid1(VALU_DEP_1)
	v_or_b32_e32 v3, 0x80000000, v3
	global_store_b32 v[1:2], v3, off
	global_load_b64 v[1:2], v4, s[24:25]
	v_sub_co_u32 v3, s6, v7, v12
	v_sub_co_ci_u32_e64 v5, null, 0, 0, s6
	s_waitcnt vmcnt(0)
	s_delay_alu instid0(VALU_DEP_2) | instskip(NEXT) | instid1(VALU_DEP_1)
	v_add_co_u32 v1, s6, v3, v1
	v_add_co_ci_u32_e64 v2, s6, v5, v2, s6
	ds_store_b64 v4, v[1:2]
.LBB150_37:
	s_or_b32 exec_lo, exec_lo, s7
	v_cmp_gt_u32_e64 s6, s34, v9
	v_lshlrev_b32_e32 v21, 3, v9
	s_waitcnt lgkmcnt(0)
	s_waitcnt_vscnt null, 0x0
	s_barrier
	buffer_gl0_inv
	s_and_saveexec_b32 s8, s6
	s_cbranch_execz .LBB150_39
; %bb.38:
	ds_load_b64 v[1:2], v21 offset:2048
	s_mov_b32 s10, 0
	s_brev_b32 s11, 1
	s_waitcnt lgkmcnt(0)
	v_cmp_ne_u64_e64 s7, s[10:11], v[1:2]
	v_ashrrev_i32_e32 v5, 31, v2
	s_delay_alu instid0(VALU_DEP_1) | instskip(NEXT) | instid1(VALU_DEP_3)
	v_not_b32_e32 v5, v5
	v_cndmask_b32_e64 v4, 0x7fffffff, v2, s7
	v_cndmask_b32_e64 v3, -1, v1, s7
	v_cmp_gt_i64_e64 s7, 0, v[1:2]
	s_delay_alu instid0(VALU_DEP_4) | instskip(NEXT) | instid1(VALU_DEP_3)
	v_xor_b32_e32 v1, v5, v1
	v_lshrrev_b64 v[3:4], s28, v[3:4]
	s_delay_alu instid0(VALU_DEP_3) | instskip(NEXT) | instid1(VALU_DEP_2)
	v_cndmask_b32_e64 v6, 0x7fffffff, 0, s7
	v_and_b32_e32 v3, s33, v3
	s_delay_alu instid0(VALU_DEP_2) | instskip(NEXT) | instid1(VALU_DEP_2)
	v_xor_b32_e32 v2, v6, v2
	v_lshlrev_b32_e32 v3, 3, v3
	ds_load_b64 v[3:4], v3
	s_waitcnt lgkmcnt(0)
	v_lshlrev_b64 v[3:4], 3, v[3:4]
	s_delay_alu instid0(VALU_DEP_1) | instskip(NEXT) | instid1(VALU_DEP_1)
	v_add_co_u32 v3, s7, s18, v3
	v_add_co_ci_u32_e64 v4, s7, s19, v4, s7
	s_delay_alu instid0(VALU_DEP_2) | instskip(NEXT) | instid1(VALU_DEP_1)
	v_add_co_u32 v3, s7, v3, v21
	v_add_co_ci_u32_e64 v4, s7, 0, v4, s7
	global_store_b64 v[3:4], v[1:2], off
.LBB150_39:
	s_or_b32 exec_lo, exec_lo, s8
	v_or_b32_e32 v1, 0x400, v9
	s_delay_alu instid0(VALU_DEP_1) | instskip(SKIP_1) | instid1(VALU_DEP_2)
	v_cmp_gt_u32_e64 s7, s34, v1
	v_lshlrev_b32_e32 v22, 3, v1
	s_and_saveexec_b32 s9, s7
	s_cbranch_execz .LBB150_41
; %bb.40:
	ds_load_b64 v[1:2], v21 offset:10240
	s_mov_b32 s10, 0
	s_brev_b32 s11, 1
	s_waitcnt lgkmcnt(0)
	v_cmp_ne_u64_e64 s8, s[10:11], v[1:2]
	v_ashrrev_i32_e32 v5, 31, v2
	s_delay_alu instid0(VALU_DEP_1) | instskip(NEXT) | instid1(VALU_DEP_3)
	v_not_b32_e32 v5, v5
	v_cndmask_b32_e64 v4, 0x7fffffff, v2, s8
	v_cndmask_b32_e64 v3, -1, v1, s8
	v_cmp_gt_i64_e64 s8, 0, v[1:2]
	s_delay_alu instid0(VALU_DEP_4) | instskip(NEXT) | instid1(VALU_DEP_3)
	v_xor_b32_e32 v1, v5, v1
	v_lshrrev_b64 v[3:4], s28, v[3:4]
	s_delay_alu instid0(VALU_DEP_3) | instskip(NEXT) | instid1(VALU_DEP_2)
	v_cndmask_b32_e64 v6, 0x7fffffff, 0, s8
	v_and_b32_e32 v3, s33, v3
	s_delay_alu instid0(VALU_DEP_2) | instskip(NEXT) | instid1(VALU_DEP_2)
	v_xor_b32_e32 v2, v6, v2
	v_lshlrev_b32_e32 v3, 3, v3
	ds_load_b64 v[3:4], v3
	s_waitcnt lgkmcnt(0)
	v_lshlrev_b64 v[3:4], 3, v[3:4]
	s_delay_alu instid0(VALU_DEP_1) | instskip(NEXT) | instid1(VALU_DEP_1)
	v_add_co_u32 v3, s8, s18, v3
	v_add_co_ci_u32_e64 v4, s8, s19, v4, s8
	s_delay_alu instid0(VALU_DEP_2) | instskip(NEXT) | instid1(VALU_DEP_1)
	v_add_co_u32 v3, s8, v3, v22
	v_add_co_ci_u32_e64 v4, s8, 0, v4, s8
	global_store_b64 v[3:4], v[1:2], off
.LBB150_41:
	s_or_b32 exec_lo, exec_lo, s9
	v_or_b32_e32 v1, 0x800, v9
	s_delay_alu instid0(VALU_DEP_1) | instskip(SKIP_1) | instid1(VALU_DEP_2)
	v_cmp_gt_u32_e64 s8, s34, v1
	v_lshlrev_b32_e32 v23, 3, v1
	;; [unrolled: 39-line block ×3, first 2 shown]
	s_and_saveexec_b32 s11, s9
	s_cbranch_execz .LBB150_45
; %bb.44:
	ds_load_b64 v[1:2], v21 offset:26624
	s_mov_b32 s34, 0
	s_brev_b32 s35, 1
	s_waitcnt lgkmcnt(0)
	v_cmp_ne_u64_e64 s10, s[34:35], v[1:2]
	v_ashrrev_i32_e32 v5, 31, v2
	s_delay_alu instid0(VALU_DEP_1) | instskip(NEXT) | instid1(VALU_DEP_3)
	v_not_b32_e32 v5, v5
	v_cndmask_b32_e64 v4, 0x7fffffff, v2, s10
	v_cndmask_b32_e64 v3, -1, v1, s10
	v_cmp_gt_i64_e64 s10, 0, v[1:2]
	s_delay_alu instid0(VALU_DEP_4) | instskip(NEXT) | instid1(VALU_DEP_3)
	v_xor_b32_e32 v1, v5, v1
	v_lshrrev_b64 v[3:4], s28, v[3:4]
	s_delay_alu instid0(VALU_DEP_3) | instskip(NEXT) | instid1(VALU_DEP_2)
	v_cndmask_b32_e64 v6, 0x7fffffff, 0, s10
	v_and_b32_e32 v3, s33, v3
	s_delay_alu instid0(VALU_DEP_2) | instskip(NEXT) | instid1(VALU_DEP_2)
	v_xor_b32_e32 v2, v6, v2
	v_lshlrev_b32_e32 v3, 3, v3
	ds_load_b64 v[3:4], v3
	s_waitcnt lgkmcnt(0)
	v_lshlrev_b64 v[3:4], 3, v[3:4]
	s_delay_alu instid0(VALU_DEP_1) | instskip(NEXT) | instid1(VALU_DEP_1)
	v_add_co_u32 v3, s10, s18, v3
	v_add_co_ci_u32_e64 v4, s10, s19, v4, s10
	s_delay_alu instid0(VALU_DEP_2) | instskip(NEXT) | instid1(VALU_DEP_1)
	v_add_co_u32 v3, s10, v3, v24
	v_add_co_ci_u32_e64 v4, s10, 0, v4, s10
	global_store_b64 v[3:4], v[1:2], off
.LBB150_45:
	s_or_b32 exec_lo, exec_lo, s11
	s_add_u32 s10, s20, s30
	s_addc_u32 s11, s21, s31
	v_add_co_u32 v1, s10, s10, v19
	s_delay_alu instid0(VALU_DEP_1) | instskip(NEXT) | instid1(VALU_DEP_2)
	v_add_co_ci_u32_e64 v2, null, s11, 0, s10
	v_add_co_u32 v10, s10, v1, v20
	s_delay_alu instid0(VALU_DEP_1) | instskip(SKIP_1) | instid1(SALU_CYCLE_1)
	v_add_co_ci_u32_e64 v11, s10, 0, v2, s10
                                        ; implicit-def: $vgpr1_vgpr2
	s_and_saveexec_b32 s10, vcc_lo
	s_xor_b32 s10, exec_lo, s10
	s_cbranch_execnz .LBB150_103
; %bb.46:
	s_or_b32 exec_lo, exec_lo, s10
                                        ; implicit-def: $vgpr3_vgpr4
	s_and_saveexec_b32 s10, s2
	s_cbranch_execnz .LBB150_104
.LBB150_47:
	s_or_b32 exec_lo, exec_lo, s10
                                        ; implicit-def: $vgpr5_vgpr6
	s_and_saveexec_b32 s2, s3
	s_cbranch_execnz .LBB150_105
.LBB150_48:
	s_or_b32 exec_lo, exec_lo, s2
                                        ; implicit-def: $vgpr7_vgpr8
	s_and_saveexec_b32 s2, s4
	s_cbranch_execz .LBB150_50
.LBB150_49:
	global_load_b64 v[7:8], v[10:11], off offset:768
.LBB150_50:
	s_or_b32 exec_lo, exec_lo, s2
	v_dual_mov_b32 v10, 0 :: v_dual_mov_b32 v19, 0
	s_and_saveexec_b32 s2, s6
	s_cbranch_execz .LBB150_52
; %bb.51:
	ds_load_b64 v[19:20], v21 offset:2048
	s_mov_b32 s10, 0
	s_brev_b32 s11, 1
	s_waitcnt lgkmcnt(0)
	v_cmp_ne_u64_e32 vcc_lo, s[10:11], v[19:20]
	v_cndmask_b32_e32 v20, 0x7fffffff, v20, vcc_lo
	v_cndmask_b32_e32 v19, -1, v19, vcc_lo
	s_delay_alu instid0(VALU_DEP_1) | instskip(NEXT) | instid1(VALU_DEP_1)
	v_lshrrev_b64 v[19:20], s28, v[19:20]
	v_and_b32_e32 v19, s33, v19
.LBB150_52:
	s_or_b32 exec_lo, exec_lo, s2
	s_and_saveexec_b32 s2, s7
	s_cbranch_execz .LBB150_54
; %bb.53:
	ds_load_b64 v[10:11], v21 offset:10240
	s_mov_b32 s10, 0
	s_brev_b32 s11, 1
	s_waitcnt lgkmcnt(0)
	v_cmp_ne_u64_e32 vcc_lo, s[10:11], v[10:11]
	v_cndmask_b32_e32 v11, 0x7fffffff, v11, vcc_lo
	v_cndmask_b32_e32 v10, -1, v10, vcc_lo
	s_delay_alu instid0(VALU_DEP_1) | instskip(NEXT) | instid1(VALU_DEP_1)
	v_lshrrev_b64 v[10:11], s28, v[10:11]
	v_and_b32_e32 v10, s33, v10
.LBB150_54:
	s_or_b32 exec_lo, exec_lo, s2
	v_dual_mov_b32 v11, 0 :: v_dual_mov_b32 v20, 0
	s_and_saveexec_b32 s2, s8
	s_cbranch_execz .LBB150_56
; %bb.55:
	ds_load_b64 v[25:26], v21 offset:18432
	s_mov_b32 s10, 0
	s_brev_b32 s11, 1
	s_waitcnt lgkmcnt(0)
	v_cmp_ne_u64_e32 vcc_lo, s[10:11], v[25:26]
	v_cndmask_b32_e32 v26, 0x7fffffff, v26, vcc_lo
	v_cndmask_b32_e32 v25, -1, v25, vcc_lo
	s_delay_alu instid0(VALU_DEP_1) | instskip(NEXT) | instid1(VALU_DEP_1)
	v_lshrrev_b64 v[25:26], s28, v[25:26]
	v_and_b32_e32 v20, s33, v25
.LBB150_56:
	s_or_b32 exec_lo, exec_lo, s2
	s_and_saveexec_b32 s2, s9
	s_cbranch_execz .LBB150_58
; %bb.57:
	ds_load_b64 v[25:26], v21 offset:26624
	s_mov_b32 s10, 0
	s_brev_b32 s11, 1
	s_waitcnt lgkmcnt(0)
	v_cmp_ne_u64_e32 vcc_lo, s[10:11], v[25:26]
	v_cndmask_b32_e32 v26, 0x7fffffff, v26, vcc_lo
	v_cndmask_b32_e32 v25, -1, v25, vcc_lo
	s_delay_alu instid0(VALU_DEP_1) | instskip(NEXT) | instid1(VALU_DEP_1)
	v_lshrrev_b64 v[25:26], s28, v[25:26]
	v_and_b32_e32 v11, s33, v25
.LBB150_58:
	s_or_b32 exec_lo, exec_lo, s2
	s_waitcnt vmcnt(0)
	s_waitcnt_vscnt null, 0x0
	s_barrier
	buffer_gl0_inv
	ds_store_b64 v14, v[1:2] offset:2048
	ds_store_b64 v15, v[3:4] offset:2048
	;; [unrolled: 1-line block ×4, first 2 shown]
	s_waitcnt lgkmcnt(0)
	s_barrier
	buffer_gl0_inv
	s_and_saveexec_b32 s2, s6
	s_cbranch_execnz .LBB150_106
; %bb.59:
	s_or_b32 exec_lo, exec_lo, s2
	s_and_saveexec_b32 s2, s7
	s_cbranch_execnz .LBB150_107
.LBB150_60:
	s_or_b32 exec_lo, exec_lo, s2
	s_and_saveexec_b32 s2, s8
	s_cbranch_execnz .LBB150_108
.LBB150_61:
	s_or_b32 exec_lo, exec_lo, s2
	s_and_saveexec_b32 s2, s9
	s_cbranch_execz .LBB150_63
.LBB150_62:
	v_lshlrev_b32_e32 v1, 3, v11
	ds_load_b64 v[1:2], v1
	ds_load_b64 v[3:4], v21 offset:26624
	s_waitcnt lgkmcnt(1)
	v_lshlrev_b64 v[1:2], 3, v[1:2]
	s_delay_alu instid0(VALU_DEP_1) | instskip(NEXT) | instid1(VALU_DEP_2)
	v_add_co_u32 v1, vcc_lo, s22, v1
	v_add_co_ci_u32_e32 v2, vcc_lo, s23, v2, vcc_lo
	s_delay_alu instid0(VALU_DEP_2) | instskip(NEXT) | instid1(VALU_DEP_2)
	v_add_co_u32 v1, vcc_lo, v1, v24
	v_add_co_ci_u32_e32 v2, vcc_lo, 0, v2, vcc_lo
	s_waitcnt lgkmcnt(0)
	global_store_b64 v[1:2], v[3:4], off
.LBB150_63:
	s_or_b32 exec_lo, exec_lo, s2
	s_add_i32 s14, s14, -1
	s_mov_b32 s2, 0
	s_cmp_eq_u32 s15, s14
	s_mov_b32 s8, 0
	s_cselect_b32 s3, -1, 0
                                        ; implicit-def: $vgpr1_vgpr2
	s_delay_alu instid0(SALU_CYCLE_1) | instskip(NEXT) | instid1(SALU_CYCLE_1)
	s_and_b32 s3, s5, s3
	s_and_saveexec_b32 s4, s3
	s_delay_alu instid0(SALU_CYCLE_1)
	s_xor_b32 s3, exec_lo, s4
; %bb.64:
	v_add_co_u32 v1, s4, v12, v13
	v_mov_b32_e32 v10, 0
	v_add_co_ci_u32_e64 v2, null, 0, 0, s4
	s_mov_b32 s8, exec_lo
; %bb.65:
	s_or_b32 exec_lo, exec_lo, s3
	s_delay_alu instid0(SALU_CYCLE_1)
	s_and_b32 vcc_lo, exec_lo, s2
	s_cbranch_vccnz .LBB150_67
	s_branch .LBB150_100
.LBB150_66:
	s_mov_b32 s8, 0
                                        ; implicit-def: $vgpr1_vgpr2
	s_cbranch_execz .LBB150_100
.LBB150_67:
	v_lshlrev_b32_e32 v21, 2, v9
	s_lshl_b32 s4, s15, 12
	s_mov_b32 s5, 0
	v_lshlrev_b32_e32 v19, 3, v18
	s_lshl_b64 s[6:7], s[4:5], 3
	v_and_b32_e32 v1, 0xf80, v21
	s_add_u32 s2, s16, s6
	s_addc_u32 s3, s17, s7
	s_delay_alu instid0(VALU_DEP_1) | instskip(SKIP_1) | instid1(VALU_DEP_1)
	v_dual_mov_b32 v13, 0 :: v_dual_lshlrev_b32 v20, 3, v1
	v_add_co_u32 v1, s2, s2, v19
	v_add_co_ci_u32_e64 v2, null, s3, 0, s2
	s_brev_b32 s3, 1
	s_delay_alu instid0(VALU_DEP_2) | instskip(NEXT) | instid1(VALU_DEP_2)
	v_add_co_u32 v1, vcc_lo, v1, v20
	v_add_co_ci_u32_e32 v2, vcc_lo, 0, v2, vcc_lo
	global_load_b64 v[10:11], v[1:2], off
	s_clause 0x1
	s_load_b32 s2, s[0:1], 0x5c
	s_load_b32 s9, s[0:1], 0x50
	s_add_u32 s0, s0, 0x50
	s_addc_u32 s1, s1, 0
	s_waitcnt lgkmcnt(0)
	s_lshr_b32 s4, s2, 16
	s_cmp_lt_u32 s15, s9
	s_cselect_b32 s2, 12, 18
	s_delay_alu instid0(SALU_CYCLE_1)
	s_add_u32 s0, s0, s2
	s_addc_u32 s1, s1, 0
	global_load_u16 v14, v13, s[0:1]
	s_clause 0x2
	global_load_b64 v[3:4], v[1:2], off offset:256
	global_load_b64 v[7:8], v[1:2], off offset:512
	;; [unrolled: 1-line block ×3, first 2 shown]
	s_mov_b32 s2, s5
	s_lshl_b32 s0, -1, s29
	s_delay_alu instid0(SALU_CYCLE_1) | instskip(SKIP_3) | instid1(VALU_DEP_1)
	s_not_b32 s10, s0
	s_waitcnt vmcnt(4)
	v_cmp_gt_i64_e32 vcc_lo, 0, v[10:11]
	v_ashrrev_i32_e32 v1, 31, v11
	v_not_b32_e32 v1, v1
	v_cndmask_b32_e64 v2, 0x7fffffff, 0, vcc_lo
	s_delay_alu instid0(VALU_DEP_2) | instskip(NEXT) | instid1(VALU_DEP_2)
	v_xor_b32_e32 v1, v1, v10
	v_xor_b32_e32 v2, v2, v11
	s_delay_alu instid0(VALU_DEP_1) | instskip(SKIP_2) | instid1(VALU_DEP_1)
	v_cmp_ne_u64_e32 vcc_lo, s[2:3], v[1:2]
	v_cndmask_b32_e32 v11, 0x7fffffff, v2, vcc_lo
	v_cndmask_b32_e32 v10, -1, v1, vcc_lo
	v_lshrrev_b64 v[10:11], s28, v[10:11]
	s_delay_alu instid0(VALU_DEP_1) | instskip(SKIP_2) | instid1(VALU_DEP_3)
	v_and_b32_e32 v15, s10, v10
	v_bfe_u32 v10, v0, 10, 10
	v_bfe_u32 v0, v0, 20, 10
	v_lshlrev_b32_e32 v12, 30, v15
	v_and_b32_e32 v11, 1, v15
	v_lshlrev_b32_e32 v16, 29, v15
	v_lshlrev_b32_e32 v17, 28, v15
	;; [unrolled: 1-line block ×3, first 2 shown]
	v_not_b32_e32 v26, v12
	v_add_co_u32 v11, s0, v11, -1
	s_delay_alu instid0(VALU_DEP_1)
	v_cndmask_b32_e64 v22, 0, 1, s0
	v_cmp_gt_i32_e64 s0, 0, v12
	v_not_b32_e32 v12, v16
	v_ashrrev_i32_e32 v26, 31, v26
	v_lshlrev_b32_e32 v24, 26, v15
	v_cmp_ne_u32_e32 vcc_lo, 0, v22
	v_lshlrev_b32_e32 v25, 25, v15
	v_ashrrev_i32_e32 v12, 31, v12
	v_xor_b32_e32 v26, s0, v26
	v_cmp_gt_i32_e64 s0, 0, v17
	v_xor_b32_e32 v11, vcc_lo, v11
	v_cmp_gt_i32_e32 vcc_lo, 0, v16
	v_not_b32_e32 v16, v17
	v_not_b32_e32 v17, v23
	v_lshlrev_b32_e32 v22, 24, v15
	v_and_b32_e32 v11, exec_lo, v11
	v_xor_b32_e32 v12, vcc_lo, v12
	v_ashrrev_i32_e32 v16, 31, v16
	v_cmp_gt_i32_e32 vcc_lo, 0, v23
	v_not_b32_e32 v23, v24
	v_and_b32_e32 v11, v11, v26
	v_ashrrev_i32_e32 v17, 31, v17
	v_xor_b32_e32 v16, s0, v16
	v_cmp_gt_i32_e64 s0, 0, v24
	v_ashrrev_i32_e32 v23, 31, v23
	v_and_b32_e32 v11, v11, v12
	v_not_b32_e32 v12, v25
	v_xor_b32_e32 v17, vcc_lo, v17
	v_cmp_gt_i32_e32 vcc_lo, 0, v25
	v_xor_b32_e32 v23, s0, v23
	v_and_b32_e32 v11, v11, v16
	v_not_b32_e32 v16, v22
	v_ashrrev_i32_e32 v12, 31, v12
	v_cmp_gt_i32_e64 s0, 0, v22
	v_mad_u32_u24 v0, v0, s4, v10
	v_and_b32_e32 v11, v11, v17
	v_ashrrev_i32_e32 v16, 31, v16
	v_xor_b32_e32 v12, vcc_lo, v12
	v_mul_u32_u24_e32 v17, 9, v9
	s_delay_alu instid0(VALU_DEP_4) | instskip(NEXT) | instid1(VALU_DEP_4)
	v_and_b32_e32 v11, v11, v23
	v_xor_b32_e32 v10, s0, v16
	s_delay_alu instid0(VALU_DEP_3)
	v_lshlrev_b32_e32 v22, 2, v17
	ds_store_2addr_b32 v22, v13, v13 offset0:32 offset1:33
	ds_store_2addr_b32 v22, v13, v13 offset0:34 offset1:35
	;; [unrolled: 1-line block ×4, first 2 shown]
	v_and_b32_e32 v16, v11, v12
	s_waitcnt vmcnt(3)
	v_mad_u64_u32 v[11:12], null, v0, v14, v[9:10]
	ds_store_b32 v22, v13 offset:160
	s_waitcnt vmcnt(0) lgkmcnt(0)
	s_waitcnt_vscnt null, 0x0
	v_and_b32_e32 v10, v16, v10
	s_barrier
	buffer_gl0_inv
	v_lshrrev_b32_e32 v12, 5, v11
	v_mbcnt_lo_u32_b32 v0, v10, 0
	v_lshl_add_u32 v11, v15, 5, v15
	v_cmp_ne_u32_e64 s0, 0, v10
	; wave barrier
	s_delay_alu instid0(VALU_DEP_3) | instskip(NEXT) | instid1(VALU_DEP_3)
	v_cmp_eq_u32_e32 vcc_lo, 0, v0
	v_add_lshl_u32 v23, v12, v11, 2
	s_delay_alu instid0(VALU_DEP_3) | instskip(NEXT) | instid1(SALU_CYCLE_1)
	s_and_b32 s1, s0, vcc_lo
	s_and_saveexec_b32 s0, s1
	s_cbranch_execz .LBB150_69
; %bb.68:
	v_bcnt_u32_b32 v10, v10, 0
	ds_store_b32 v23, v10 offset:128
.LBB150_69:
	s_or_b32 exec_lo, exec_lo, s0
	v_cmp_gt_i64_e32 vcc_lo, 0, v[3:4]
	v_ashrrev_i32_e32 v10, 31, v4
	; wave barrier
	s_delay_alu instid0(VALU_DEP_1) | instskip(SKIP_1) | instid1(VALU_DEP_2)
	v_not_b32_e32 v10, v10
	v_cndmask_b32_e64 v11, 0x7fffffff, 0, vcc_lo
	v_xor_b32_e32 v3, v10, v3
	s_delay_alu instid0(VALU_DEP_2) | instskip(NEXT) | instid1(VALU_DEP_1)
	v_xor_b32_e32 v4, v11, v4
	v_cmp_ne_u64_e32 vcc_lo, s[2:3], v[3:4]
	v_cndmask_b32_e32 v11, 0x7fffffff, v4, vcc_lo
	v_cndmask_b32_e32 v10, -1, v3, vcc_lo
	s_delay_alu instid0(VALU_DEP_1) | instskip(NEXT) | instid1(VALU_DEP_1)
	v_lshrrev_b64 v[10:11], s28, v[10:11]
	v_and_b32_e32 v10, s10, v10
	s_delay_alu instid0(VALU_DEP_1)
	v_and_b32_e32 v11, 1, v10
	v_lshlrev_b32_e32 v13, 30, v10
	v_lshlrev_b32_e32 v14, 29, v10
	;; [unrolled: 1-line block ×4, first 2 shown]
	v_add_co_u32 v11, s0, v11, -1
	s_delay_alu instid0(VALU_DEP_1)
	v_cndmask_b32_e64 v16, 0, 1, s0
	v_not_b32_e32 v26, v13
	v_cmp_gt_i32_e64 s0, 0, v13
	v_not_b32_e32 v13, v14
	v_lshlrev_b32_e32 v24, 26, v10
	v_cmp_ne_u32_e32 vcc_lo, 0, v16
	v_ashrrev_i32_e32 v26, 31, v26
	v_lshlrev_b32_e32 v25, 25, v10
	v_ashrrev_i32_e32 v13, 31, v13
	v_lshlrev_b32_e32 v16, 24, v10
	v_xor_b32_e32 v11, vcc_lo, v11
	v_cmp_gt_i32_e32 vcc_lo, 0, v14
	v_not_b32_e32 v14, v15
	v_xor_b32_e32 v26, s0, v26
	v_cmp_gt_i32_e64 s0, 0, v15
	v_and_b32_e32 v11, exec_lo, v11
	v_not_b32_e32 v15, v17
	v_ashrrev_i32_e32 v14, 31, v14
	v_xor_b32_e32 v13, vcc_lo, v13
	v_cmp_gt_i32_e32 vcc_lo, 0, v17
	v_and_b32_e32 v11, v11, v26
	v_not_b32_e32 v17, v24
	v_ashrrev_i32_e32 v15, 31, v15
	v_xor_b32_e32 v14, s0, v14
	v_cmp_gt_i32_e64 s0, 0, v24
	v_and_b32_e32 v11, v11, v13
	v_not_b32_e32 v13, v25
	v_ashrrev_i32_e32 v17, 31, v17
	v_xor_b32_e32 v15, vcc_lo, v15
	v_cmp_gt_i32_e32 vcc_lo, 0, v25
	v_and_b32_e32 v11, v11, v14
	v_not_b32_e32 v14, v16
	v_ashrrev_i32_e32 v13, 31, v13
	v_xor_b32_e32 v17, s0, v17
	v_lshl_add_u32 v10, v10, 5, v10
	v_and_b32_e32 v11, v11, v15
	v_cmp_gt_i32_e64 s0, 0, v16
	v_ashrrev_i32_e32 v14, 31, v14
	v_xor_b32_e32 v13, vcc_lo, v13
	v_add_lshl_u32 v26, v12, v10, 2
	v_and_b32_e32 v11, v11, v17
	s_delay_alu instid0(VALU_DEP_4) | instskip(SKIP_2) | instid1(VALU_DEP_1)
	v_xor_b32_e32 v10, s0, v14
	ds_load_b32 v24, v26 offset:128
	v_and_b32_e32 v11, v11, v13
	; wave barrier
	v_and_b32_e32 v10, v11, v10
	s_delay_alu instid0(VALU_DEP_1) | instskip(SKIP_1) | instid1(VALU_DEP_2)
	v_mbcnt_lo_u32_b32 v25, v10, 0
	v_cmp_ne_u32_e64 s0, 0, v10
	v_cmp_eq_u32_e32 vcc_lo, 0, v25
	s_delay_alu instid0(VALU_DEP_2) | instskip(NEXT) | instid1(SALU_CYCLE_1)
	s_and_b32 s1, s0, vcc_lo
	s_and_saveexec_b32 s0, s1
	s_cbranch_execz .LBB150_71
; %bb.70:
	s_waitcnt lgkmcnt(0)
	v_bcnt_u32_b32 v10, v10, v24
	ds_store_b32 v26, v10 offset:128
.LBB150_71:
	s_or_b32 exec_lo, exec_lo, s0
	v_cmp_gt_i64_e32 vcc_lo, 0, v[7:8]
	v_ashrrev_i32_e32 v10, 31, v8
	s_mov_b32 s2, 0
	s_brev_b32 s3, 1
	; wave barrier
	v_cndmask_b32_e64 v11, 0x7fffffff, 0, vcc_lo
	s_delay_alu instid0(VALU_DEP_2) | instskip(NEXT) | instid1(VALU_DEP_2)
	v_not_b32_e32 v10, v10
	v_xor_b32_e32 v8, v11, v8
	s_delay_alu instid0(VALU_DEP_2) | instskip(NEXT) | instid1(VALU_DEP_1)
	v_xor_b32_e32 v7, v10, v7
	v_cmp_ne_u64_e32 vcc_lo, s[2:3], v[7:8]
	v_cndmask_b32_e32 v11, 0x7fffffff, v8, vcc_lo
	v_cndmask_b32_e32 v10, -1, v7, vcc_lo
	s_delay_alu instid0(VALU_DEP_1) | instskip(NEXT) | instid1(VALU_DEP_1)
	v_lshrrev_b64 v[10:11], s28, v[10:11]
	v_and_b32_e32 v10, s10, v10
	s_delay_alu instid0(VALU_DEP_1)
	v_and_b32_e32 v11, 1, v10
	v_lshlrev_b32_e32 v13, 30, v10
	v_lshlrev_b32_e32 v14, 29, v10
	;; [unrolled: 1-line block ×4, first 2 shown]
	v_add_co_u32 v11, s0, v11, -1
	s_delay_alu instid0(VALU_DEP_1)
	v_cndmask_b32_e64 v16, 0, 1, s0
	v_not_b32_e32 v29, v13
	v_cmp_gt_i32_e64 s0, 0, v13
	v_not_b32_e32 v13, v14
	v_lshlrev_b32_e32 v27, 26, v10
	v_cmp_ne_u32_e32 vcc_lo, 0, v16
	v_ashrrev_i32_e32 v29, 31, v29
	v_lshlrev_b32_e32 v28, 25, v10
	v_ashrrev_i32_e32 v13, 31, v13
	v_lshlrev_b32_e32 v16, 24, v10
	v_xor_b32_e32 v11, vcc_lo, v11
	v_cmp_gt_i32_e32 vcc_lo, 0, v14
	v_not_b32_e32 v14, v15
	v_xor_b32_e32 v29, s0, v29
	v_cmp_gt_i32_e64 s0, 0, v15
	v_and_b32_e32 v11, exec_lo, v11
	v_not_b32_e32 v15, v17
	v_ashrrev_i32_e32 v14, 31, v14
	v_xor_b32_e32 v13, vcc_lo, v13
	v_cmp_gt_i32_e32 vcc_lo, 0, v17
	v_and_b32_e32 v11, v11, v29
	v_not_b32_e32 v17, v27
	v_ashrrev_i32_e32 v15, 31, v15
	v_xor_b32_e32 v14, s0, v14
	v_cmp_gt_i32_e64 s0, 0, v27
	v_and_b32_e32 v11, v11, v13
	v_not_b32_e32 v13, v28
	v_ashrrev_i32_e32 v17, 31, v17
	v_xor_b32_e32 v15, vcc_lo, v15
	v_cmp_gt_i32_e32 vcc_lo, 0, v28
	v_and_b32_e32 v11, v11, v14
	v_not_b32_e32 v14, v16
	v_ashrrev_i32_e32 v13, 31, v13
	v_xor_b32_e32 v17, s0, v17
	v_lshl_add_u32 v10, v10, 5, v10
	v_and_b32_e32 v11, v11, v15
	v_cmp_gt_i32_e64 s0, 0, v16
	v_ashrrev_i32_e32 v14, 31, v14
	v_xor_b32_e32 v13, vcc_lo, v13
	v_add_lshl_u32 v29, v10, v12, 2
	v_and_b32_e32 v11, v11, v17
	s_delay_alu instid0(VALU_DEP_4) | instskip(SKIP_2) | instid1(VALU_DEP_1)
	v_xor_b32_e32 v10, s0, v14
	ds_load_b32 v27, v29 offset:128
	v_and_b32_e32 v11, v11, v13
	; wave barrier
	v_and_b32_e32 v10, v11, v10
	s_delay_alu instid0(VALU_DEP_1) | instskip(SKIP_1) | instid1(VALU_DEP_2)
	v_mbcnt_lo_u32_b32 v28, v10, 0
	v_cmp_ne_u32_e64 s0, 0, v10
	v_cmp_eq_u32_e32 vcc_lo, 0, v28
	s_delay_alu instid0(VALU_DEP_2) | instskip(NEXT) | instid1(SALU_CYCLE_1)
	s_and_b32 s1, s0, vcc_lo
	s_and_saveexec_b32 s0, s1
	s_cbranch_execz .LBB150_73
; %bb.72:
	s_waitcnt lgkmcnt(0)
	v_bcnt_u32_b32 v10, v10, v27
	ds_store_b32 v29, v10 offset:128
.LBB150_73:
	s_or_b32 exec_lo, exec_lo, s0
	v_cmp_gt_i64_e32 vcc_lo, 0, v[5:6]
	v_ashrrev_i32_e32 v10, 31, v6
	; wave barrier
	v_add_nc_u32_e32 v33, 0x80, v22
	s_delay_alu instid0(VALU_DEP_2) | instskip(SKIP_1) | instid1(VALU_DEP_2)
	v_not_b32_e32 v10, v10
	v_cndmask_b32_e64 v11, 0x7fffffff, 0, vcc_lo
	v_xor_b32_e32 v10, v10, v5
	s_delay_alu instid0(VALU_DEP_2) | instskip(NEXT) | instid1(VALU_DEP_1)
	v_xor_b32_e32 v11, v11, v6
	v_cmp_ne_u64_e32 vcc_lo, s[2:3], v[10:11]
	v_cndmask_b32_e32 v6, 0x7fffffff, v11, vcc_lo
	v_cndmask_b32_e32 v5, -1, v10, vcc_lo
	s_delay_alu instid0(VALU_DEP_1) | instskip(NEXT) | instid1(VALU_DEP_1)
	v_lshrrev_b64 v[5:6], s28, v[5:6]
	v_and_b32_e32 v5, s10, v5
	s_delay_alu instid0(VALU_DEP_1)
	v_and_b32_e32 v6, 1, v5
	v_lshlrev_b32_e32 v13, 30, v5
	v_lshlrev_b32_e32 v14, 29, v5
	;; [unrolled: 1-line block ×4, first 2 shown]
	v_add_co_u32 v6, s0, v6, -1
	s_delay_alu instid0(VALU_DEP_1)
	v_cndmask_b32_e64 v16, 0, 1, s0
	v_not_b32_e32 v32, v13
	v_cmp_gt_i32_e64 s0, 0, v13
	v_not_b32_e32 v13, v14
	v_lshlrev_b32_e32 v30, 26, v5
	v_cmp_ne_u32_e32 vcc_lo, 0, v16
	v_ashrrev_i32_e32 v32, 31, v32
	v_lshlrev_b32_e32 v31, 25, v5
	v_ashrrev_i32_e32 v13, 31, v13
	v_lshlrev_b32_e32 v16, 24, v5
	v_xor_b32_e32 v6, vcc_lo, v6
	v_cmp_gt_i32_e32 vcc_lo, 0, v14
	v_not_b32_e32 v14, v15
	v_xor_b32_e32 v32, s0, v32
	v_cmp_gt_i32_e64 s0, 0, v15
	v_and_b32_e32 v6, exec_lo, v6
	v_not_b32_e32 v15, v17
	v_ashrrev_i32_e32 v14, 31, v14
	v_xor_b32_e32 v13, vcc_lo, v13
	v_cmp_gt_i32_e32 vcc_lo, 0, v17
	v_and_b32_e32 v6, v6, v32
	v_not_b32_e32 v17, v30
	v_ashrrev_i32_e32 v15, 31, v15
	v_xor_b32_e32 v14, s0, v14
	v_cmp_gt_i32_e64 s0, 0, v30
	v_and_b32_e32 v6, v6, v13
	v_not_b32_e32 v13, v31
	v_ashrrev_i32_e32 v17, 31, v17
	v_xor_b32_e32 v15, vcc_lo, v15
	v_cmp_gt_i32_e32 vcc_lo, 0, v31
	v_and_b32_e32 v6, v6, v14
	v_not_b32_e32 v14, v16
	v_ashrrev_i32_e32 v13, 31, v13
	v_xor_b32_e32 v17, s0, v17
	v_lshl_add_u32 v5, v5, 5, v5
	v_and_b32_e32 v6, v6, v15
	v_cmp_gt_i32_e64 s0, 0, v16
	v_ashrrev_i32_e32 v14, 31, v14
	v_xor_b32_e32 v13, vcc_lo, v13
	v_add_lshl_u32 v32, v5, v12, 2
	v_and_b32_e32 v6, v6, v17
	s_delay_alu instid0(VALU_DEP_4) | instskip(SKIP_2) | instid1(VALU_DEP_1)
	v_xor_b32_e32 v5, s0, v14
	ds_load_b32 v30, v32 offset:128
	v_and_b32_e32 v6, v6, v13
	; wave barrier
	v_and_b32_e32 v5, v6, v5
	s_delay_alu instid0(VALU_DEP_1) | instskip(SKIP_1) | instid1(VALU_DEP_2)
	v_mbcnt_lo_u32_b32 v31, v5, 0
	v_cmp_ne_u32_e64 s0, 0, v5
	v_cmp_eq_u32_e32 vcc_lo, 0, v31
	s_delay_alu instid0(VALU_DEP_2) | instskip(NEXT) | instid1(SALU_CYCLE_1)
	s_and_b32 s1, s0, vcc_lo
	s_and_saveexec_b32 s0, s1
	s_cbranch_execz .LBB150_75
; %bb.74:
	s_waitcnt lgkmcnt(0)
	v_bcnt_u32_b32 v5, v5, v30
	ds_store_b32 v32, v5 offset:128
.LBB150_75:
	s_or_b32 exec_lo, exec_lo, s0
	; wave barrier
	s_waitcnt lgkmcnt(0)
	s_barrier
	buffer_gl0_inv
	ds_load_2addr_b32 v[16:17], v22 offset0:32 offset1:33
	ds_load_2addr_b32 v[14:15], v33 offset0:2 offset1:3
	;; [unrolled: 1-line block ×4, first 2 shown]
	ds_load_b32 v34, v33 offset:32
	v_and_b32_e32 v37, 16, v18
	v_and_b32_e32 v38, 31, v9
	s_mov_b32 s5, exec_lo
	s_delay_alu instid0(VALU_DEP_2) | instskip(SKIP_3) | instid1(VALU_DEP_1)
	v_cmp_eq_u32_e64 s3, 0, v37
	s_waitcnt lgkmcnt(3)
	v_add3_u32 v35, v17, v16, v14
	s_waitcnt lgkmcnt(2)
	v_add3_u32 v35, v35, v15, v12
	s_waitcnt lgkmcnt(1)
	s_delay_alu instid0(VALU_DEP_1) | instskip(SKIP_1) | instid1(VALU_DEP_1)
	v_add3_u32 v35, v35, v13, v5
	s_waitcnt lgkmcnt(0)
	v_add3_u32 v34, v35, v6, v34
	v_and_b32_e32 v35, 15, v18
	s_delay_alu instid0(VALU_DEP_2) | instskip(NEXT) | instid1(VALU_DEP_2)
	v_mov_b32_dpp v36, v34 row_shr:1 row_mask:0xf bank_mask:0xf
	v_cmp_eq_u32_e32 vcc_lo, 0, v35
	v_cmp_lt_u32_e64 s0, 1, v35
	v_cmp_lt_u32_e64 s1, 3, v35
	;; [unrolled: 1-line block ×3, first 2 shown]
	v_cndmask_b32_e64 v36, v36, 0, vcc_lo
	s_delay_alu instid0(VALU_DEP_1) | instskip(NEXT) | instid1(VALU_DEP_1)
	v_add_nc_u32_e32 v34, v36, v34
	v_mov_b32_dpp v36, v34 row_shr:2 row_mask:0xf bank_mask:0xf
	s_delay_alu instid0(VALU_DEP_1) | instskip(NEXT) | instid1(VALU_DEP_1)
	v_cndmask_b32_e64 v36, 0, v36, s0
	v_add_nc_u32_e32 v34, v34, v36
	s_delay_alu instid0(VALU_DEP_1) | instskip(NEXT) | instid1(VALU_DEP_1)
	v_mov_b32_dpp v36, v34 row_shr:4 row_mask:0xf bank_mask:0xf
	v_cndmask_b32_e64 v36, 0, v36, s1
	s_delay_alu instid0(VALU_DEP_1) | instskip(NEXT) | instid1(VALU_DEP_1)
	v_add_nc_u32_e32 v34, v34, v36
	v_mov_b32_dpp v36, v34 row_shr:8 row_mask:0xf bank_mask:0xf
	s_delay_alu instid0(VALU_DEP_1) | instskip(SKIP_1) | instid1(VALU_DEP_2)
	v_cndmask_b32_e64 v35, 0, v36, s2
	v_bfe_i32 v36, v18, 4, 1
	v_add_nc_u32_e32 v34, v34, v35
	ds_swizzle_b32 v35, v34 offset:swizzle(BROADCAST,32,15)
	s_waitcnt lgkmcnt(0)
	v_and_b32_e32 v36, v36, v35
	v_lshrrev_b32_e32 v35, 5, v9
	s_delay_alu instid0(VALU_DEP_2)
	v_add_nc_u32_e32 v34, v34, v36
	v_cmpx_eq_u32_e32 31, v38
	s_cbranch_execz .LBB150_77
; %bb.76:
	s_delay_alu instid0(VALU_DEP_3)
	v_lshlrev_b32_e32 v36, 2, v35
	ds_store_b32 v36, v34
.LBB150_77:
	s_or_b32 exec_lo, exec_lo, s5
	v_cmp_lt_u32_e64 s4, 31, v9
	s_mov_b32 s11, exec_lo
	s_waitcnt lgkmcnt(0)
	s_barrier
	buffer_gl0_inv
	v_cmpx_gt_u32_e32 32, v9
	s_cbranch_execz .LBB150_79
; %bb.78:
	ds_load_b32 v36, v21
	s_waitcnt lgkmcnt(0)
	v_mov_b32_dpp v37, v36 row_shr:1 row_mask:0xf bank_mask:0xf
	s_delay_alu instid0(VALU_DEP_1) | instskip(NEXT) | instid1(VALU_DEP_1)
	v_cndmask_b32_e64 v37, v37, 0, vcc_lo
	v_add_nc_u32_e32 v36, v37, v36
	s_delay_alu instid0(VALU_DEP_1) | instskip(NEXT) | instid1(VALU_DEP_1)
	v_mov_b32_dpp v37, v36 row_shr:2 row_mask:0xf bank_mask:0xf
	v_cndmask_b32_e64 v37, 0, v37, s0
	s_delay_alu instid0(VALU_DEP_1) | instskip(NEXT) | instid1(VALU_DEP_1)
	v_add_nc_u32_e32 v36, v36, v37
	v_mov_b32_dpp v37, v36 row_shr:4 row_mask:0xf bank_mask:0xf
	s_delay_alu instid0(VALU_DEP_1) | instskip(NEXT) | instid1(VALU_DEP_1)
	v_cndmask_b32_e64 v37, 0, v37, s1
	v_add_nc_u32_e32 v36, v36, v37
	s_delay_alu instid0(VALU_DEP_1) | instskip(NEXT) | instid1(VALU_DEP_1)
	v_mov_b32_dpp v37, v36 row_shr:8 row_mask:0xf bank_mask:0xf
	v_cndmask_b32_e64 v37, 0, v37, s2
	s_delay_alu instid0(VALU_DEP_1) | instskip(SKIP_3) | instid1(VALU_DEP_1)
	v_add_nc_u32_e32 v36, v36, v37
	ds_swizzle_b32 v37, v36 offset:swizzle(BROADCAST,32,15)
	s_waitcnt lgkmcnt(0)
	v_cndmask_b32_e64 v37, v37, 0, s3
	v_add_nc_u32_e32 v36, v36, v37
	ds_store_b32 v21, v36
.LBB150_79:
	s_or_b32 exec_lo, exec_lo, s11
	v_mov_b32_e32 v21, 0
	s_waitcnt lgkmcnt(0)
	s_barrier
	buffer_gl0_inv
	s_and_saveexec_b32 s0, s4
	s_cbranch_execz .LBB150_81
; %bb.80:
	v_lshl_add_u32 v21, v35, 2, -4
	ds_load_b32 v21, v21
.LBB150_81:
	s_or_b32 exec_lo, exec_lo, s0
	v_add_nc_u32_e32 v35, -1, v18
	s_waitcnt lgkmcnt(0)
	v_add_nc_u32_e32 v34, v21, v34
	v_cmp_lt_u32_e64 s0, 0xff, v9
	s_delay_alu instid0(VALU_DEP_3) | instskip(SKIP_2) | instid1(VALU_DEP_2)
	v_cmp_gt_i32_e32 vcc_lo, 0, v35
	v_cndmask_b32_e32 v35, v35, v18, vcc_lo
	v_cmp_eq_u32_e32 vcc_lo, 0, v18
	v_lshlrev_b32_e32 v35, 2, v35
	ds_bpermute_b32 v34, v35, v34
	s_waitcnt lgkmcnt(0)
	v_cndmask_b32_e32 v18, v34, v21, vcc_lo
	v_cmp_ne_u32_e32 vcc_lo, 0, v9
	s_delay_alu instid0(VALU_DEP_2) | instskip(SKIP_1) | instid1(VALU_DEP_2)
	v_cndmask_b32_e32 v18, 0, v18, vcc_lo
	v_cmp_gt_u32_e32 vcc_lo, 0x100, v9
	v_add_nc_u32_e32 v16, v18, v16
	s_delay_alu instid0(VALU_DEP_1) | instskip(NEXT) | instid1(VALU_DEP_1)
	v_add_nc_u32_e32 v17, v16, v17
	v_add_nc_u32_e32 v14, v17, v14
	s_delay_alu instid0(VALU_DEP_1) | instskip(NEXT) | instid1(VALU_DEP_1)
	v_add_nc_u32_e32 v15, v14, v15
	v_add_nc_u32_e32 v12, v15, v12
	s_delay_alu instid0(VALU_DEP_1) | instskip(NEXT) | instid1(VALU_DEP_1)
	v_add_nc_u32_e32 v13, v12, v13
	v_add_nc_u32_e32 v5, v13, v5
	s_delay_alu instid0(VALU_DEP_1)
	v_add_nc_u32_e32 v6, v5, v6
	ds_store_2addr_b32 v22, v18, v16 offset0:32 offset1:33
	ds_store_2addr_b32 v33, v17, v14 offset0:2 offset1:3
	;; [unrolled: 1-line block ×4, first 2 shown]
	ds_store_b32 v33, v6 offset:32
	s_waitcnt lgkmcnt(0)
	s_barrier
	buffer_gl0_inv
	ds_load_b32 v13, v23 offset:128
	ds_load_b32 v14, v26 offset:128
	;; [unrolled: 1-line block ×4, first 2 shown]
	v_mov_b32_e32 v5, 0
	v_mov_b32_e32 v6, 0
                                        ; implicit-def: $vgpr12
	s_and_saveexec_b32 s2, vcc_lo
	s_cbranch_execz .LBB150_85
; %bb.82:
	v_mul_u32_u24_e32 v5, 33, v9
	v_mov_b32_e32 v6, 0x1000
	s_mov_b32 s3, exec_lo
	s_delay_alu instid0(VALU_DEP_2)
	v_lshlrev_b32_e32 v12, 2, v5
	ds_load_b32 v5, v12 offset:128
	v_cmpx_ne_u32_e32 0xff, v9
	s_cbranch_execz .LBB150_84
; %bb.83:
	ds_load_b32 v6, v12 offset:260
.LBB150_84:
	s_or_b32 exec_lo, exec_lo, s3
	s_waitcnt lgkmcnt(0)
	v_sub_nc_u32_e32 v12, v6, v5
	v_mov_b32_e32 v6, 0
.LBB150_85:
	s_or_b32 exec_lo, exec_lo, s2
	v_add_nc_u32_e32 v17, v31, v30
	v_add_nc_u32_e32 v18, v25, v24
	;; [unrolled: 1-line block ×3, first 2 shown]
	s_waitcnt lgkmcnt(3)
	v_add_lshl_u32 v13, v13, v0, 3
	s_waitcnt lgkmcnt(0)
	v_add_lshl_u32 v16, v17, v16, 3
	v_add_lshl_u32 v14, v18, v14, 3
	;; [unrolled: 1-line block ×3, first 2 shown]
	s_barrier
	buffer_gl0_inv
	ds_store_b64 v13, v[1:2] offset:2048
	ds_store_b64 v14, v[3:4] offset:2048
	;; [unrolled: 1-line block ×4, first 2 shown]
	s_waitcnt lgkmcnt(0)
	s_barrier
	buffer_gl0_inv
	s_and_saveexec_b32 s1, s0
	s_delay_alu instid0(SALU_CYCLE_1)
	s_xor_b32 s0, exec_lo, s1
; %bb.86:
	v_mov_b32_e32 v10, 0
; %bb.87:
	s_and_not1_saveexec_b32 s1, s0
	s_cbranch_execz .LBB150_97
; %bb.88:
	v_lshl_or_b32 v2, s15, 8, v9
	v_dual_mov_b32 v3, 0 :: v_dual_mov_b32 v4, 0
	s_mov_b32 s2, 0
	s_mov_b32 s3, s15
	s_delay_alu instid0(VALU_DEP_1) | instskip(SKIP_1) | instid1(VALU_DEP_2)
	v_lshlrev_b64 v[0:1], 2, v[2:3]
	v_or_b32_e32 v2, 2.0, v12
	v_add_co_u32 v0, s0, s12, v0
	s_delay_alu instid0(VALU_DEP_1)
	v_add_co_ci_u32_e64 v1, s0, s13, v1, s0
                                        ; implicit-def: $sgpr0
	global_store_b32 v[0:1], v2, off
	s_branch .LBB150_91
	.p2align	6
.LBB150_89:                             ;   in Loop: Header=BB150_91 Depth=1
	s_or_b32 exec_lo, exec_lo, s5
.LBB150_90:                             ;   in Loop: Header=BB150_91 Depth=1
	s_delay_alu instid0(SALU_CYCLE_1) | instskip(SKIP_2) | instid1(VALU_DEP_2)
	s_or_b32 exec_lo, exec_lo, s4
	v_and_b32_e32 v7, 0x3fffffff, v10
	v_cmp_eq_u32_e64 s0, 0x80000000, v2
	v_add_nc_u32_e32 v4, v7, v4
	s_delay_alu instid0(VALU_DEP_2) | instskip(NEXT) | instid1(SALU_CYCLE_1)
	s_and_b32 s4, exec_lo, s0
	s_or_b32 s2, s4, s2
	s_delay_alu instid0(SALU_CYCLE_1)
	s_and_not1_b32 exec_lo, exec_lo, s2
	s_cbranch_execz .LBB150_96
.LBB150_91:                             ; =>This Loop Header: Depth=1
                                        ;     Child Loop BB150_94 Depth 2
	s_or_b32 s0, s0, exec_lo
	s_cmp_eq_u32 s3, 0
	s_cbranch_scc1 .LBB150_95
; %bb.92:                               ;   in Loop: Header=BB150_91 Depth=1
	s_add_i32 s3, s3, -1
	s_mov_b32 s4, exec_lo
	v_lshl_or_b32 v2, s3, 8, v9
	s_delay_alu instid0(VALU_DEP_1) | instskip(NEXT) | instid1(VALU_DEP_1)
	v_lshlrev_b64 v[7:8], 2, v[2:3]
	v_add_co_u32 v7, s0, s12, v7
	s_delay_alu instid0(VALU_DEP_1) | instskip(SKIP_3) | instid1(VALU_DEP_1)
	v_add_co_ci_u32_e64 v8, s0, s13, v8, s0
	global_load_b32 v10, v[7:8], off glc
	s_waitcnt vmcnt(0)
	v_and_b32_e32 v2, -2.0, v10
	v_cmpx_eq_u32_e32 0, v2
	s_cbranch_execz .LBB150_90
; %bb.93:                               ;   in Loop: Header=BB150_91 Depth=1
	s_mov_b32 s5, 0
.LBB150_94:                             ;   Parent Loop BB150_91 Depth=1
                                        ; =>  This Inner Loop Header: Depth=2
	global_load_b32 v10, v[7:8], off glc
	s_waitcnt vmcnt(0)
	v_and_b32_e32 v2, -2.0, v10
	s_delay_alu instid0(VALU_DEP_1) | instskip(NEXT) | instid1(VALU_DEP_1)
	v_cmp_ne_u32_e64 s0, 0, v2
	s_or_b32 s5, s0, s5
	s_delay_alu instid0(SALU_CYCLE_1)
	s_and_not1_b32 exec_lo, exec_lo, s5
	s_cbranch_execnz .LBB150_94
	s_branch .LBB150_89
.LBB150_95:                             ;   in Loop: Header=BB150_91 Depth=1
                                        ; implicit-def: $sgpr3
	s_and_b32 s4, exec_lo, s0
	s_delay_alu instid0(SALU_CYCLE_1) | instskip(NEXT) | instid1(SALU_CYCLE_1)
	s_or_b32 s2, s4, s2
	s_and_not1_b32 exec_lo, exec_lo, s2
	s_cbranch_execnz .LBB150_91
.LBB150_96:
	s_or_b32 exec_lo, exec_lo, s2
	v_add_nc_u32_e32 v2, v4, v12
	v_dual_mov_b32 v10, 0 :: v_dual_lshlrev_b32 v3, 3, v9
	s_delay_alu instid0(VALU_DEP_2) | instskip(SKIP_3) | instid1(VALU_DEP_1)
	v_or_b32_e32 v2, 0x80000000, v2
	global_store_b32 v[0:1], v2, off
	global_load_b64 v[0:1], v3, s[24:25]
	v_sub_co_u32 v2, s0, v4, v5
	v_sub_co_ci_u32_e64 v4, s0, 0, v6, s0
	s_waitcnt vmcnt(0)
	s_delay_alu instid0(VALU_DEP_2) | instskip(NEXT) | instid1(VALU_DEP_1)
	v_add_co_u32 v0, s0, v2, v0
	v_add_co_ci_u32_e64 v1, s0, v4, v1, s0
	ds_store_b64 v3, v[0:1]
.LBB150_97:
	s_or_b32 exec_lo, exec_lo, s1
	s_add_u32 s0, s20, s6
	s_addc_u32 s1, s21, s7
	v_add_co_u32 v0, s0, s0, v19
	s_delay_alu instid0(VALU_DEP_1) | instskip(SKIP_2) | instid1(VALU_DEP_2)
	v_add_co_ci_u32_e64 v1, null, s1, 0, s0
	s_waitcnt lgkmcnt(0)
	s_waitcnt_vscnt null, 0x0
	v_add_co_u32 v0, s0, v0, v20
	s_delay_alu instid0(VALU_DEP_1)
	v_add_co_ci_u32_e64 v1, s0, 0, v1, s0
	s_barrier
	buffer_gl0_inv
	v_lshlrev_b32_e32 v4, 3, v9
	s_clause 0x3
	global_load_b64 v[7:8], v[0:1], off
	global_load_b64 v[17:18], v[0:1], off offset:256
	global_load_b64 v[19:20], v[0:1], off offset:512
	;; [unrolled: 1-line block ×3, first 2 shown]
	s_mov_b32 s4, 0
	s_brev_b32 s5, 1
	v_lshlrev_b32_e32 v11, 3, v9
	ds_load_2addr_stride64_b64 v[0:3], v4 offset0:20 offset1:36
	v_or_b32_e32 v40, 0x4000, v4
	v_or_b32_e32 v39, 0x2000, v4
	v_or_b32_e32 v41, 0x6000, v4
	ds_load_b64 v[25:26], v11 offset:2048
	s_add_i32 s9, s9, -1
	s_delay_alu instid0(SALU_CYCLE_1)
	s_cmp_eq_u32 s15, s9
	s_waitcnt lgkmcnt(1)
	v_cmp_ne_u64_e64 s0, s[4:5], v[2:3]
	v_cmp_ne_u64_e64 s1, s[4:5], v[0:1]
	v_cmp_gt_i64_e64 s2, 0, v[0:1]
	v_ashrrev_i32_e32 v36, 31, v1
	v_ashrrev_i32_e32 v42, 31, v3
	v_cndmask_b32_e64 v24, 0x7fffffff, v3, s0
	v_cndmask_b32_e64 v23, -1, v2, s0
	s_waitcnt lgkmcnt(0)
	v_cmp_ne_u64_e64 s0, s[4:5], v[25:26]
	v_cndmask_b32_e64 v32, 0x7fffffff, v1, s1
	v_cndmask_b32_e64 v31, -1, v0, s1
	v_cndmask_b32_e64 v35, 0x7fffffff, 0, s2
	v_lshrrev_b64 v[23:24], s28, v[23:24]
	v_not_b32_e32 v36, v36
	v_cndmask_b32_e64 v34, 0x7fffffff, v26, s0
	v_cndmask_b32_e64 v33, -1, v25, s0
	v_cmp_gt_i64_e64 s0, 0, v[2:3]
	v_lshrrev_b64 v[31:32], s28, v[31:32]
	v_and_b32_e32 v23, s10, v23
	v_xor_b32_e32 v1, v35, v1
	v_lshrrev_b64 v[33:34], s28, v[33:34]
	v_not_b32_e32 v34, v42
	v_cndmask_b32_e64 v37, 0x7fffffff, 0, s0
	v_lshlrev_b32_e32 v38, 3, v23
	ds_load_b64 v[27:28], v38
	ds_load_b64 v[29:30], v4 offset:26624
	v_and_b32_e32 v35, s10, v31
	v_and_b32_e32 v33, s10, v33
	v_xor_b32_e32 v3, v37, v3
	v_xor_b32_e32 v0, v36, v0
	v_ashrrev_i32_e32 v37, 31, v26
	v_lshlrev_b32_e32 v43, 3, v35
	v_lshlrev_b32_e32 v42, 3, v33
	v_xor_b32_e32 v2, v34, v2
	v_lshlrev_b64 v[23:24], 3, v[9:10]
	v_not_b32_e32 v37, v37
	s_cselect_b32 s1, -1, 0
	ds_load_b64 v[34:35], v43
	s_and_b32 s1, vcc_lo, s1
	s_waitcnt lgkmcnt(2)
	v_lshlrev_b64 v[27:28], 3, v[27:28]
	s_waitcnt lgkmcnt(1)
	v_cmp_ne_u64_e64 s0, s[4:5], v[29:30]
	s_delay_alu instid0(VALU_DEP_1) | instskip(SKIP_3) | instid1(VALU_DEP_3)
	v_cndmask_b32_e64 v32, 0x7fffffff, v30, s0
	v_cndmask_b32_e64 v31, -1, v29, s0
	v_cmp_gt_i64_e64 s0, 0, v[25:26]
	v_xor_b32_e32 v25, v37, v25
	v_lshrrev_b64 v[31:32], s28, v[31:32]
	ds_load_b64 v[32:33], v42
	v_cndmask_b32_e64 v36, 0x7fffffff, 0, s0
	v_cmp_gt_i64_e64 s0, 0, v[29:30]
	v_and_b32_e32 v31, s10, v31
	s_delay_alu instid0(VALU_DEP_3) | instskip(SKIP_1) | instid1(VALU_DEP_4)
	v_xor_b32_e32 v26, v36, v26
	v_ashrrev_i32_e32 v36, 31, v30
	v_cndmask_b32_e64 v44, 0x7fffffff, 0, s0
	s_delay_alu instid0(VALU_DEP_4) | instskip(NEXT) | instid1(VALU_DEP_3)
	v_lshlrev_b32_e32 v45, 3, v31
	v_not_b32_e32 v31, v36
	s_delay_alu instid0(VALU_DEP_3)
	v_xor_b32_e32 v30, v44, v30
	v_add_co_u32 v44, s0, s18, v27
	ds_load_b64 v[36:37], v45
	v_add_co_ci_u32_e64 v46, s0, s19, v28, s0
	v_xor_b32_e32 v29, v31, v29
	s_waitcnt lgkmcnt(1)
	v_lshlrev_b64 v[27:28], 3, v[32:33]
	v_add_co_u32 v31, s0, v44, v40
	v_lshlrev_b64 v[33:34], 3, v[34:35]
	v_add_co_ci_u32_e64 v32, s0, 0, v46, s0
	s_delay_alu instid0(VALU_DEP_4) | instskip(NEXT) | instid1(VALU_DEP_1)
	v_add_co_u32 v35, s0, s18, v27
	v_add_co_ci_u32_e64 v44, s0, s19, v28, s0
	s_delay_alu instid0(VALU_DEP_4) | instskip(NEXT) | instid1(VALU_DEP_1)
	v_add_co_u32 v46, s0, s18, v33
	v_add_co_ci_u32_e64 v47, s0, s19, v34, s0
	s_delay_alu instid0(VALU_DEP_4) | instskip(SKIP_3) | instid1(VALU_DEP_2)
	v_add_co_u32 v33, s0, v35, v23
	s_waitcnt lgkmcnt(0)
	v_lshlrev_b64 v[27:28], 3, v[36:37]
	v_add_co_ci_u32_e64 v34, s0, v44, v24, s0
	v_add_co_u32 v35, s0, s18, v27
	s_delay_alu instid0(VALU_DEP_1) | instskip(SKIP_1) | instid1(VALU_DEP_1)
	v_add_co_ci_u32_e64 v36, s0, s19, v28, s0
	v_add_co_u32 v27, s0, v46, v39
	v_add_co_ci_u32_e64 v28, s0, 0, v47, s0
	s_delay_alu instid0(VALU_DEP_4) | instskip(NEXT) | instid1(VALU_DEP_1)
	v_add_co_u32 v35, s0, v35, v41
	v_add_co_ci_u32_e64 v36, s0, 0, v36, s0
	s_clause 0x3
	global_store_b64 v[33:34], v[25:26], off
	global_store_b64 v[27:28], v[0:1], off
	;; [unrolled: 1-line block ×4, first 2 shown]
	s_waitcnt vmcnt(0)
	s_waitcnt_vscnt null, 0x0
	s_barrier
	buffer_gl0_inv
	ds_store_b64 v13, v[7:8] offset:2048
	ds_store_b64 v14, v[17:18] offset:2048
	;; [unrolled: 1-line block ×4, first 2 shown]
	s_waitcnt lgkmcnt(0)
	s_barrier
	buffer_gl0_inv
	ds_load_b64 v[0:1], v42
	ds_load_b64 v[7:8], v43
	;; [unrolled: 1-line block ×4, first 2 shown]
	ds_load_b64 v[17:18], v11 offset:2048
	ds_load_b64 v[19:20], v4 offset:26624
	s_waitcnt lgkmcnt(5)
	v_lshlrev_b64 v[21:22], 3, v[0:1]
	s_waitcnt lgkmcnt(4)
	v_lshlrev_b64 v[7:8], 3, v[7:8]
	ds_load_2addr_stride64_b64 v[0:3], v4 offset0:20 offset1:36
	s_waitcnt lgkmcnt(4)
	v_lshlrev_b64 v[13:14], 3, v[13:14]
	s_waitcnt lgkmcnt(3)
	v_lshlrev_b64 v[15:16], 3, v[15:16]
	v_add_co_u32 v4, s0, s22, v21
	s_delay_alu instid0(VALU_DEP_1) | instskip(SKIP_1) | instid1(VALU_DEP_1)
	v_add_co_ci_u32_e64 v11, s0, s23, v22, s0
	v_add_co_u32 v21, s0, s22, v7
	v_add_co_ci_u32_e64 v22, s0, s23, v8, s0
	v_add_co_u32 v25, s0, s22, v13
	s_delay_alu instid0(VALU_DEP_1) | instskip(SKIP_1) | instid1(VALU_DEP_1)
	v_add_co_ci_u32_e64 v26, s0, s23, v14, s0
	v_add_co_u32 v27, s0, s22, v15
	v_add_co_ci_u32_e64 v28, s0, s23, v16, s0
	;; [unrolled: 5-line block ×4, first 2 shown]
	s_waitcnt lgkmcnt(2)
	global_store_b64 v[7:8], v[17:18], off
	s_waitcnt lgkmcnt(0)
	s_clause 0x2
	global_store_b64 v[13:14], v[0:1], off
	global_store_b64 v[15:16], v[2:3], off
	;; [unrolled: 1-line block ×3, first 2 shown]
                                        ; implicit-def: $vgpr1_vgpr2
	s_and_saveexec_b32 s0, s1
; %bb.98:
	v_add_co_u32 v1, vcc_lo, v5, v12
	v_add_co_ci_u32_e32 v2, vcc_lo, 0, v6, vcc_lo
	s_or_b32 s8, s8, exec_lo
; %bb.99:
	s_or_b32 exec_lo, exec_lo, s0
.LBB150_100:
	s_and_saveexec_b32 s0, s8
	s_cbranch_execnz .LBB150_102
; %bb.101:
	s_nop 0
	s_sendmsg sendmsg(MSG_DEALLOC_VGPRS)
	s_endpgm
.LBB150_102:
	v_lshlrev_b32_e32 v0, 3, v9
	v_lshlrev_b64 v[5:6], 3, v[9:10]
	ds_load_b64 v[3:4], v0
	v_add_co_u32 v5, vcc_lo, s26, v5
	v_add_co_ci_u32_e32 v6, vcc_lo, s27, v6, vcc_lo
	s_waitcnt lgkmcnt(0)
	v_add_co_u32 v0, vcc_lo, v3, v1
	v_add_co_ci_u32_e32 v1, vcc_lo, v4, v2, vcc_lo
	global_store_b64 v[5:6], v[0:1], off
	s_nop 0
	s_sendmsg sendmsg(MSG_DEALLOC_VGPRS)
	s_endpgm
.LBB150_103:
	global_load_b64 v[1:2], v[10:11], off
	s_or_b32 exec_lo, exec_lo, s10
                                        ; implicit-def: $vgpr3_vgpr4
	s_and_saveexec_b32 s10, s2
	s_cbranch_execz .LBB150_47
.LBB150_104:
	global_load_b64 v[3:4], v[10:11], off offset:256
	s_or_b32 exec_lo, exec_lo, s10
                                        ; implicit-def: $vgpr5_vgpr6
	s_and_saveexec_b32 s2, s3
	s_cbranch_execz .LBB150_48
.LBB150_105:
	global_load_b64 v[5:6], v[10:11], off offset:512
	s_or_b32 exec_lo, exec_lo, s2
                                        ; implicit-def: $vgpr7_vgpr8
	s_and_saveexec_b32 s2, s4
	s_cbranch_execnz .LBB150_49
	s_branch .LBB150_50
.LBB150_106:
	v_lshlrev_b32_e32 v1, 3, v19
	ds_load_b64 v[1:2], v1
	ds_load_b64 v[3:4], v21 offset:2048
	s_waitcnt lgkmcnt(1)
	v_lshlrev_b64 v[1:2], 3, v[1:2]
	s_delay_alu instid0(VALU_DEP_1) | instskip(NEXT) | instid1(VALU_DEP_2)
	v_add_co_u32 v1, vcc_lo, s22, v1
	v_add_co_ci_u32_e32 v2, vcc_lo, s23, v2, vcc_lo
	s_delay_alu instid0(VALU_DEP_2) | instskip(NEXT) | instid1(VALU_DEP_2)
	v_add_co_u32 v1, vcc_lo, v1, v21
	v_add_co_ci_u32_e32 v2, vcc_lo, 0, v2, vcc_lo
	s_waitcnt lgkmcnt(0)
	global_store_b64 v[1:2], v[3:4], off
	s_or_b32 exec_lo, exec_lo, s2
	s_and_saveexec_b32 s2, s7
	s_cbranch_execz .LBB150_60
.LBB150_107:
	v_lshlrev_b32_e32 v1, 3, v10
	ds_load_b64 v[1:2], v1
	ds_load_b64 v[3:4], v21 offset:10240
	s_waitcnt lgkmcnt(1)
	v_lshlrev_b64 v[1:2], 3, v[1:2]
	s_delay_alu instid0(VALU_DEP_1) | instskip(NEXT) | instid1(VALU_DEP_2)
	v_add_co_u32 v1, vcc_lo, s22, v1
	v_add_co_ci_u32_e32 v2, vcc_lo, s23, v2, vcc_lo
	s_delay_alu instid0(VALU_DEP_2) | instskip(NEXT) | instid1(VALU_DEP_2)
	v_add_co_u32 v1, vcc_lo, v1, v22
	v_add_co_ci_u32_e32 v2, vcc_lo, 0, v2, vcc_lo
	s_waitcnt lgkmcnt(0)
	global_store_b64 v[1:2], v[3:4], off
	s_or_b32 exec_lo, exec_lo, s2
	s_and_saveexec_b32 s2, s8
	s_cbranch_execz .LBB150_61
.LBB150_108:
	v_lshlrev_b32_e32 v1, 3, v20
	ds_load_b64 v[1:2], v1
	ds_load_b64 v[3:4], v21 offset:18432
	s_waitcnt lgkmcnt(1)
	v_lshlrev_b64 v[1:2], 3, v[1:2]
	s_delay_alu instid0(VALU_DEP_1) | instskip(NEXT) | instid1(VALU_DEP_2)
	v_add_co_u32 v1, vcc_lo, s22, v1
	v_add_co_ci_u32_e32 v2, vcc_lo, s23, v2, vcc_lo
	s_delay_alu instid0(VALU_DEP_2) | instskip(NEXT) | instid1(VALU_DEP_2)
	v_add_co_u32 v1, vcc_lo, v1, v23
	v_add_co_ci_u32_e32 v2, vcc_lo, 0, v2, vcc_lo
	s_waitcnt lgkmcnt(0)
	global_store_b64 v[1:2], v[3:4], off
	s_or_b32 exec_lo, exec_lo, s2
	s_and_saveexec_b32 s2, s9
	s_cbranch_execnz .LBB150_62
	s_branch .LBB150_63
	.section	.rodata,"a",@progbits
	.p2align	6, 0x0
	.amdhsa_kernel _ZN7rocprim17ROCPRIM_304000_NS6detail25onesweep_iteration_kernelINS1_34wrapped_radix_sort_onesweep_configINS0_14default_configEdN2at4cuda3cub6detail10OpaqueTypeILi8EEEEELb1EPdSC_PSA_SD_mNS0_19identity_decomposerEEEvT1_T2_T3_T4_jPT5_SK_PNS1_23onesweep_lookback_stateET6_jjj
		.amdhsa_group_segment_fixed_size 36992
		.amdhsa_private_segment_fixed_size 0
		.amdhsa_kernarg_size 336
		.amdhsa_user_sgpr_count 15
		.amdhsa_user_sgpr_dispatch_ptr 0
		.amdhsa_user_sgpr_queue_ptr 0
		.amdhsa_user_sgpr_kernarg_segment_ptr 1
		.amdhsa_user_sgpr_dispatch_id 0
		.amdhsa_user_sgpr_private_segment_size 0
		.amdhsa_wavefront_size32 1
		.amdhsa_uses_dynamic_stack 0
		.amdhsa_enable_private_segment 0
		.amdhsa_system_sgpr_workgroup_id_x 1
		.amdhsa_system_sgpr_workgroup_id_y 0
		.amdhsa_system_sgpr_workgroup_id_z 0
		.amdhsa_system_sgpr_workgroup_info 0
		.amdhsa_system_vgpr_workitem_id 2
		.amdhsa_next_free_vgpr 48
		.amdhsa_next_free_sgpr 38
		.amdhsa_reserve_vcc 1
		.amdhsa_float_round_mode_32 0
		.amdhsa_float_round_mode_16_64 0
		.amdhsa_float_denorm_mode_32 3
		.amdhsa_float_denorm_mode_16_64 3
		.amdhsa_dx10_clamp 1
		.amdhsa_ieee_mode 1
		.amdhsa_fp16_overflow 0
		.amdhsa_workgroup_processor_mode 1
		.amdhsa_memory_ordered 1
		.amdhsa_forward_progress 0
		.amdhsa_shared_vgpr_count 0
		.amdhsa_exception_fp_ieee_invalid_op 0
		.amdhsa_exception_fp_denorm_src 0
		.amdhsa_exception_fp_ieee_div_zero 0
		.amdhsa_exception_fp_ieee_overflow 0
		.amdhsa_exception_fp_ieee_underflow 0
		.amdhsa_exception_fp_ieee_inexact 0
		.amdhsa_exception_int_div_zero 0
	.end_amdhsa_kernel
	.section	.text._ZN7rocprim17ROCPRIM_304000_NS6detail25onesweep_iteration_kernelINS1_34wrapped_radix_sort_onesweep_configINS0_14default_configEdN2at4cuda3cub6detail10OpaqueTypeILi8EEEEELb1EPdSC_PSA_SD_mNS0_19identity_decomposerEEEvT1_T2_T3_T4_jPT5_SK_PNS1_23onesweep_lookback_stateET6_jjj,"axG",@progbits,_ZN7rocprim17ROCPRIM_304000_NS6detail25onesweep_iteration_kernelINS1_34wrapped_radix_sort_onesweep_configINS0_14default_configEdN2at4cuda3cub6detail10OpaqueTypeILi8EEEEELb1EPdSC_PSA_SD_mNS0_19identity_decomposerEEEvT1_T2_T3_T4_jPT5_SK_PNS1_23onesweep_lookback_stateET6_jjj,comdat
.Lfunc_end150:
	.size	_ZN7rocprim17ROCPRIM_304000_NS6detail25onesweep_iteration_kernelINS1_34wrapped_radix_sort_onesweep_configINS0_14default_configEdN2at4cuda3cub6detail10OpaqueTypeILi8EEEEELb1EPdSC_PSA_SD_mNS0_19identity_decomposerEEEvT1_T2_T3_T4_jPT5_SK_PNS1_23onesweep_lookback_stateET6_jjj, .Lfunc_end150-_ZN7rocprim17ROCPRIM_304000_NS6detail25onesweep_iteration_kernelINS1_34wrapped_radix_sort_onesweep_configINS0_14default_configEdN2at4cuda3cub6detail10OpaqueTypeILi8EEEEELb1EPdSC_PSA_SD_mNS0_19identity_decomposerEEEvT1_T2_T3_T4_jPT5_SK_PNS1_23onesweep_lookback_stateET6_jjj
                                        ; -- End function
	.section	.AMDGPU.csdata,"",@progbits
; Kernel info:
; codeLenInByte = 10100
; NumSgprs: 40
; NumVgprs: 48
; ScratchSize: 0
; MemoryBound: 1
; FloatMode: 240
; IeeeMode: 1
; LDSByteSize: 36992 bytes/workgroup (compile time only)
; SGPRBlocks: 4
; VGPRBlocks: 5
; NumSGPRsForWavesPerEU: 40
; NumVGPRsForWavesPerEU: 48
; Occupancy: 16
; WaveLimiterHint : 1
; COMPUTE_PGM_RSRC2:SCRATCH_EN: 0
; COMPUTE_PGM_RSRC2:USER_SGPR: 15
; COMPUTE_PGM_RSRC2:TRAP_HANDLER: 0
; COMPUTE_PGM_RSRC2:TGID_X_EN: 1
; COMPUTE_PGM_RSRC2:TGID_Y_EN: 0
; COMPUTE_PGM_RSRC2:TGID_Z_EN: 0
; COMPUTE_PGM_RSRC2:TIDIG_COMP_CNT: 2
	.section	.text._ZN7rocprim17ROCPRIM_304000_NS6detail28radix_sort_block_sort_kernelINS1_36wrapped_radix_sort_block_sort_configINS0_13kernel_configILj256ELj4ELj4294967295EEEdN2at4cuda3cub6detail10OpaqueTypeILi8EEEEELb0EPKdPdPKSB_PSB_NS0_19identity_decomposerEEEvT1_T2_T3_T4_jT5_jj,"axG",@progbits,_ZN7rocprim17ROCPRIM_304000_NS6detail28radix_sort_block_sort_kernelINS1_36wrapped_radix_sort_block_sort_configINS0_13kernel_configILj256ELj4ELj4294967295EEEdN2at4cuda3cub6detail10OpaqueTypeILi8EEEEELb0EPKdPdPKSB_PSB_NS0_19identity_decomposerEEEvT1_T2_T3_T4_jT5_jj,comdat
	.protected	_ZN7rocprim17ROCPRIM_304000_NS6detail28radix_sort_block_sort_kernelINS1_36wrapped_radix_sort_block_sort_configINS0_13kernel_configILj256ELj4ELj4294967295EEEdN2at4cuda3cub6detail10OpaqueTypeILi8EEEEELb0EPKdPdPKSB_PSB_NS0_19identity_decomposerEEEvT1_T2_T3_T4_jT5_jj ; -- Begin function _ZN7rocprim17ROCPRIM_304000_NS6detail28radix_sort_block_sort_kernelINS1_36wrapped_radix_sort_block_sort_configINS0_13kernel_configILj256ELj4ELj4294967295EEEdN2at4cuda3cub6detail10OpaqueTypeILi8EEEEELb0EPKdPdPKSB_PSB_NS0_19identity_decomposerEEEvT1_T2_T3_T4_jT5_jj
	.globl	_ZN7rocprim17ROCPRIM_304000_NS6detail28radix_sort_block_sort_kernelINS1_36wrapped_radix_sort_block_sort_configINS0_13kernel_configILj256ELj4ELj4294967295EEEdN2at4cuda3cub6detail10OpaqueTypeILi8EEEEELb0EPKdPdPKSB_PSB_NS0_19identity_decomposerEEEvT1_T2_T3_T4_jT5_jj
	.p2align	8
	.type	_ZN7rocprim17ROCPRIM_304000_NS6detail28radix_sort_block_sort_kernelINS1_36wrapped_radix_sort_block_sort_configINS0_13kernel_configILj256ELj4ELj4294967295EEEdN2at4cuda3cub6detail10OpaqueTypeILi8EEEEELb0EPKdPdPKSB_PSB_NS0_19identity_decomposerEEEvT1_T2_T3_T4_jT5_jj,@function
_ZN7rocprim17ROCPRIM_304000_NS6detail28radix_sort_block_sort_kernelINS1_36wrapped_radix_sort_block_sort_configINS0_13kernel_configILj256ELj4ELj4294967295EEEdN2at4cuda3cub6detail10OpaqueTypeILi8EEEEELb0EPKdPdPKSB_PSB_NS0_19identity_decomposerEEEvT1_T2_T3_T4_jT5_jj: ; @_ZN7rocprim17ROCPRIM_304000_NS6detail28radix_sort_block_sort_kernelINS1_36wrapped_radix_sort_block_sort_configINS0_13kernel_configILj256ELj4ELj4294967295EEEdN2at4cuda3cub6detail10OpaqueTypeILi8EEEEELb0EPKdPdPKSB_PSB_NS0_19identity_decomposerEEEvT1_T2_T3_T4_jT5_jj
; %bb.0:
	s_clause 0x1
	s_load_b32 s4, s[0:1], 0x20
	s_load_b256 s[16:23], s[0:1], 0x0
	v_and_b32_e32 v9, 0x3ff, v0
	v_mbcnt_lo_u32_b32 v12, -1, 0
	s_lshl_b32 s2, s15, 10
	s_mov_b32 s3, 0
	s_delay_alu instid0(VALU_DEP_2) | instskip(NEXT) | instid1(VALU_DEP_2)
	v_lshlrev_b32_e32 v1, 2, v9
	v_lshlrev_b32_e32 v17, 3, v12
	s_delay_alu instid0(VALU_DEP_2) | instskip(NEXT) | instid1(VALU_DEP_1)
	v_and_b32_e32 v13, 0x380, v1
	v_lshlrev_b32_e32 v18, 3, v13
	v_add_nc_u32_e32 v16, v12, v13
	s_waitcnt lgkmcnt(0)
	s_lshr_b32 s5, s4, 10
	s_delay_alu instid0(SALU_CYCLE_1) | instskip(SKIP_2) | instid1(SALU_CYCLE_1)
	s_cmp_lg_u32 s15, s5
	s_cselect_b32 s26, -1, 0
	s_lshl_b64 s[24:25], s[2:3], 3
	s_add_u32 s3, s16, s24
	s_addc_u32 s6, s17, s25
	v_add_co_u32 v1, s3, s3, v17
	s_delay_alu instid0(VALU_DEP_1) | instskip(SKIP_1) | instid1(VALU_DEP_2)
	v_add_co_ci_u32_e64 v2, null, s6, 0, s3
	s_cmp_eq_u32 s15, s5
	v_add_co_u32 v10, vcc_lo, v1, v18
	s_delay_alu instid0(VALU_DEP_2)
	v_add_co_ci_u32_e32 v11, vcc_lo, 0, v2, vcc_lo
	s_mov_b32 s3, -1
	s_cbranch_scc1 .LBB151_2
; %bb.1:
	s_add_u32 s3, s20, s24
	s_addc_u32 s5, s21, s25
	v_add_co_u32 v1, s3, s3, v17
	s_delay_alu instid0(VALU_DEP_1) | instskip(SKIP_1) | instid1(VALU_DEP_3)
	v_add_co_ci_u32_e64 v2, null, s5, 0, s3
	v_add_nc_u32_e32 v19, v12, v13
	v_add_co_u32 v14, vcc_lo, v1, v18
	s_delay_alu instid0(VALU_DEP_3)
	v_add_co_ci_u32_e32 v15, vcc_lo, 0, v2, vcc_lo
	s_clause 0x3
	global_load_b64 v[1:2], v[10:11], off
	global_load_b64 v[3:4], v[10:11], off offset:256
	global_load_b64 v[5:6], v[10:11], off offset:512
	global_load_b64 v[7:8], v[10:11], off offset:768
	s_clause 0x3
	global_load_b64 v[30:31], v[14:15], off
	global_load_b64 v[32:33], v[14:15], off offset:256
	global_load_b64 v[34:35], v[14:15], off offset:512
	;; [unrolled: 1-line block ×3, first 2 shown]
	v_add_nc_u32_e32 v13, 32, v19
	v_add_nc_u32_e32 v14, 64, v19
	;; [unrolled: 1-line block ×3, first 2 shown]
	s_sub_i32 s27, s4, s2
	s_cbranch_execz .LBB151_3
	s_branch .LBB151_17
.LBB151_2:
                                        ; implicit-def: $vgpr1_vgpr2_vgpr3_vgpr4_vgpr5_vgpr6_vgpr7_vgpr8
                                        ; implicit-def: $vgpr30_vgpr31
                                        ; implicit-def: $vgpr32_vgpr33
                                        ; implicit-def: $vgpr34_vgpr35
                                        ; implicit-def: $vgpr36_vgpr37
                                        ; implicit-def: $vgpr19
                                        ; implicit-def: $vgpr13
                                        ; implicit-def: $vgpr14
                                        ; implicit-def: $vgpr15
	s_and_not1_b32 vcc_lo, exec_lo, s3
	s_sub_i32 s27, s4, s2
	s_cbranch_vccnz .LBB151_17
.LBB151_3:
	s_mov_b32 s4, -1
	s_brev_b32 s5, -2
	s_mov_b32 s6, s4
	s_mov_b32 s7, s5
	;; [unrolled: 1-line block ×6, first 2 shown]
	s_waitcnt vmcnt(4)
	v_dual_mov_b32 v1, s4 :: v_dual_mov_b32 v2, s5
	v_cmp_gt_u32_e32 vcc_lo, s27, v16
	v_dual_mov_b32 v3, s6 :: v_dual_mov_b32 v4, s7
	v_dual_mov_b32 v5, s8 :: v_dual_mov_b32 v6, s9
	;; [unrolled: 1-line block ×3, first 2 shown]
	s_and_saveexec_b32 s2, vcc_lo
	s_cbranch_execz .LBB151_5
; %bb.4:
	global_load_b64 v[1:2], v[10:11], off
	v_bfrev_b32_e32 v4, -2
	s_delay_alu instid0(VALU_DEP_1) | instskip(NEXT) | instid1(VALU_DEP_1)
	v_dual_mov_b32 v3, -1 :: v_dual_mov_b32 v6, v4
	v_dual_mov_b32 v5, v3 :: v_dual_mov_b32 v8, v4
	v_mov_b32_e32 v7, v3
.LBB151_5:
	s_or_b32 exec_lo, exec_lo, s2
	v_add_nc_u32_e32 v13, 32, v16
	s_delay_alu instid0(VALU_DEP_1) | instskip(NEXT) | instid1(VALU_DEP_1)
	v_cmp_gt_u32_e64 s2, s27, v13
	s_and_saveexec_b32 s3, s2
	s_cbranch_execz .LBB151_7
; %bb.6:
	global_load_b64 v[3:4], v[10:11], off offset:256
.LBB151_7:
	s_or_b32 exec_lo, exec_lo, s3
	v_add_nc_u32_e32 v14, 64, v16
	s_delay_alu instid0(VALU_DEP_1) | instskip(NEXT) | instid1(VALU_DEP_1)
	v_cmp_gt_u32_e64 s3, s27, v14
	s_and_saveexec_b32 s4, s3
	s_cbranch_execz .LBB151_9
; %bb.8:
	global_load_b64 v[5:6], v[10:11], off offset:512
.LBB151_9:
	;; [unrolled: 9-line block ×3, first 2 shown]
	s_or_b32 exec_lo, exec_lo, s5
	s_add_u32 s5, s20, s24
	s_addc_u32 s6, s21, s25
	v_add_co_u32 v10, s5, s5, v17
	s_delay_alu instid0(VALU_DEP_1) | instskip(NEXT) | instid1(VALU_DEP_2)
	v_add_co_ci_u32_e64 v11, null, s6, 0, s5
                                        ; implicit-def: $vgpr30_vgpr31
	v_add_co_u32 v10, s5, v10, v18
	s_delay_alu instid0(VALU_DEP_1)
	v_add_co_ci_u32_e64 v11, s5, 0, v11, s5
	s_and_saveexec_b32 s5, vcc_lo
	s_cbranch_execnz .LBB151_54
; %bb.12:
	s_or_b32 exec_lo, exec_lo, s5
                                        ; implicit-def: $vgpr32_vgpr33
	s_and_saveexec_b32 s5, s2
	s_cbranch_execnz .LBB151_55
.LBB151_13:
	s_or_b32 exec_lo, exec_lo, s5
                                        ; implicit-def: $vgpr34_vgpr35
	s_and_saveexec_b32 s2, s3
	s_cbranch_execnz .LBB151_56
.LBB151_14:
	s_or_b32 exec_lo, exec_lo, s2
                                        ; implicit-def: $vgpr36_vgpr37
	s_and_saveexec_b32 s2, s4
	s_cbranch_execz .LBB151_16
.LBB151_15:
	global_load_b64 v[36:37], v[10:11], off offset:768
.LBB151_16:
	s_or_b32 exec_lo, exec_lo, s2
	v_mov_b32_e32 v19, v16
.LBB151_17:
	s_clause 0x1
	s_load_b32 s2, s[0:1], 0x3c
	s_load_b64 s[16:17], s[0:1], 0x28
	s_waitcnt vmcnt(0)
	v_cmp_lt_i64_e32 vcc_lo, -1, v[1:2]
	v_bfe_u32 v23, v0, 10, 10
	v_bfe_u32 v0, v0, 20, 10
	v_ashrrev_i32_e32 v11, 31, v2
	v_ashrrev_i32_e32 v22, 31, v8
	s_mov_b32 s20, 0
	v_cndmask_b32_e64 v10, -1, 0x80000000, vcc_lo
	v_cmp_lt_i64_e32 vcc_lo, -1, v[3:4]
	v_xor_b32_e32 v38, v11, v1
	v_ashrrev_i32_e32 v17, 31, v4
	s_mov_b32 s21, s20
	v_xor_b32_e32 v39, v10, v2
	v_and_b32_e32 v25, 0x3e0, v9
	v_cndmask_b32_e64 v16, -1, 0x80000000, vcc_lo
	v_cmp_lt_i64_e32 vcc_lo, -1, v[5:6]
	s_mov_b32 s28, s20
	s_mov_b32 s29, s20
	v_ashrrev_i32_e32 v20, 31, v6
	s_waitcnt lgkmcnt(0)
	s_lshr_b32 s0, s2, 16
	v_xor_b32_e32 v1, v16, v4
	v_mad_u32_u24 v0, v0, s0, v23
	s_and_b32 s0, s2, 0xffff
	v_cndmask_b32_e64 v18, -1, 0x80000000, vcc_lo
	v_cmp_lt_i64_e32 vcc_lo, -1, v[7:8]
	v_xor_b32_e32 v4, v22, v7
	v_mad_u64_u32 v[10:11], null, v0, s0, v[9:10]
	v_and_b32_e32 v7, 16, v12
	v_xor_b32_e32 v0, v17, v3
	v_cndmask_b32_e64 v21, -1, 0x80000000, vcc_lo
	v_xor_b32_e32 v3, v18, v6
	v_and_b32_e32 v24, 15, v12
	v_cmp_eq_u32_e64 s4, 0, v7
	v_lshrrev_b32_e32 v41, 5, v10
	v_add_nc_u32_e32 v10, -1, v12
	v_cmp_eq_u32_e64 s8, 0, v12
	v_lshlrev_b32_e32 v46, 3, v13
	v_xor_b32_e32 v2, v20, v5
	v_xor_b32_e32 v5, v21, v8
	v_cmp_gt_i32_e32 vcc_lo, 0, v10
	v_lshlrev_b32_e32 v40, 5, v9
	v_cmp_gt_u32_e64 s6, 8, v9
	v_cmp_lt_u32_e64 s7, 31, v9
	v_cmp_eq_u32_e64 s9, 0, v9
	v_dual_cndmask_b32 v7, v10, v12 :: v_dual_mov_b32 v10, s20
	v_min_u32_e32 v6, 0xe0, v25
	v_add_nc_u32_e32 v8, 32, v40
	v_lshlrev_b32_e32 v45, 3, v19
	s_delay_alu instid0(VALU_DEP_4) | instskip(SKIP_4) | instid1(VALU_DEP_4)
	v_lshlrev_b32_e32 v42, 2, v7
	v_and_b32_e32 v7, 7, v12
	v_or_b32_e32 v6, 31, v6
	v_dual_mov_b32 v12, s28 :: v_dual_mov_b32 v13, s29
	v_lshlrev_b32_e32 v47, 3, v14
	v_cmp_eq_u32_e64 s10, 0, v7
	s_delay_alu instid0(VALU_DEP_4) | instskip(SKIP_4) | instid1(VALU_DEP_4)
	v_cmp_eq_u32_e64 s5, v6, v9
	v_lshrrev_b32_e32 v6, 3, v9
	v_cmp_lt_u32_e64 s11, 1, v7
	v_cmp_lt_u32_e64 s12, 3, v7
	v_dual_mov_b32 v11, s21 :: v_dual_lshlrev_b32 v48, 3, v15
	v_and_b32_e32 v43, 0x7c, v6
	v_mul_i32_i24_e32 v6, 0xffffffe4, v9
	v_cmp_eq_u32_e64 s0, 0, v24
	v_cmp_lt_u32_e64 s1, 1, v24
	v_cmp_lt_u32_e64 s2, 3, v24
	;; [unrolled: 1-line block ×3, first 2 shown]
	v_add_nc_u32_e32 v44, -4, v43
	v_add_nc_u32_e32 v49, v40, v6
	s_mov_b32 s14, -1
	s_brev_b32 s15, -2
	s_add_i32 s20, s17, s16
	s_branch .LBB151_19
.LBB151_18:                             ;   in Loop: Header=BB151_19 Depth=1
	s_barrier
	buffer_gl0_inv
	ds_store_b64 v6, v[14:15]
	ds_store_b64 v7, v[28:29]
	;; [unrolled: 1-line block ×4, first 2 shown]
	s_waitcnt lgkmcnt(0)
	s_barrier
	buffer_gl0_inv
	ds_load_b64 v[38:39], v45
	ds_load_b64 v[0:1], v46
	;; [unrolled: 1-line block ×4, first 2 shown]
	s_waitcnt lgkmcnt(0)
	s_barrier
	buffer_gl0_inv
	ds_store_b64 v6, v[22:23]
	ds_store_b64 v7, v[20:21]
	;; [unrolled: 1-line block ×4, first 2 shown]
	s_waitcnt lgkmcnt(0)
	s_barrier
	buffer_gl0_inv
	ds_load_b64 v[30:31], v45
	ds_load_b64 v[32:33], v46
	ds_load_b64 v[34:35], v47
	ds_load_b64 v[36:37], v48
	s_add_i32 s17, s17, -8
	s_waitcnt lgkmcnt(0)
	s_barrier
	buffer_gl0_inv
	s_cbranch_execz .LBB151_35
.LBB151_19:                             ; =>This Inner Loop Header: Depth=1
	v_dual_mov_b32 v14, v38 :: v_dual_mov_b32 v15, v39
	s_min_u32 s13, s17, 8
	ds_store_2addr_b64 v40, v[10:11], v[12:13] offset0:4 offset1:5
	ds_store_2addr_b64 v8, v[10:11], v[12:13] offset0:2 offset1:3
	s_lshl_b32 s13, -1, s13
	s_waitcnt lgkmcnt(0)
	v_cmp_ne_u64_e32 vcc_lo, s[14:15], v[14:15]
	s_not_b32 s21, s13
	s_barrier
	buffer_gl0_inv
	; wave barrier
	v_cndmask_b32_e32 v7, 0x80000000, v15, vcc_lo
	v_dual_cndmask_b32 v6, 0, v14 :: v_dual_mov_b32 v25, v5
	v_dual_mov_b32 v24, v4 :: v_dual_mov_b32 v27, v3
	v_mov_b32_e32 v29, v1
	s_delay_alu instid0(VALU_DEP_3) | instskip(SKIP_2) | instid1(VALU_DEP_3)
	v_lshrrev_b64 v[6:7], s16, v[6:7]
	v_mov_b32_e32 v26, v2
	v_mov_b32_e32 v28, v0
	v_and_b32_e32 v6, s21, v6
	s_delay_alu instid0(VALU_DEP_1)
	v_and_b32_e32 v7, 1, v6
	v_lshlrev_b32_e32 v16, 30, v6
	v_lshlrev_b32_e32 v17, 29, v6
	;; [unrolled: 1-line block ×4, first 2 shown]
	v_add_co_u32 v7, s13, v7, -1
	s_delay_alu instid0(VALU_DEP_1)
	v_cndmask_b32_e64 v19, 0, 1, s13
	v_not_b32_e32 v23, v16
	v_cmp_gt_i32_e64 s13, 0, v16
	v_not_b32_e32 v16, v17
	v_lshlrev_b32_e32 v21, 26, v6
	v_cmp_ne_u32_e32 vcc_lo, 0, v19
	v_ashrrev_i32_e32 v23, 31, v23
	v_lshlrev_b32_e32 v22, 25, v6
	v_ashrrev_i32_e32 v16, 31, v16
	v_lshlrev_b32_e32 v19, 24, v6
	v_xor_b32_e32 v7, vcc_lo, v7
	v_cmp_gt_i32_e32 vcc_lo, 0, v17
	v_not_b32_e32 v17, v18
	v_xor_b32_e32 v23, s13, v23
	v_cmp_gt_i32_e64 s13, 0, v18
	v_and_b32_e32 v7, exec_lo, v7
	v_not_b32_e32 v18, v20
	v_ashrrev_i32_e32 v17, 31, v17
	v_xor_b32_e32 v16, vcc_lo, v16
	v_cmp_gt_i32_e32 vcc_lo, 0, v20
	v_and_b32_e32 v7, v7, v23
	v_not_b32_e32 v20, v21
	v_ashrrev_i32_e32 v18, 31, v18
	v_xor_b32_e32 v17, s13, v17
	v_cmp_gt_i32_e64 s13, 0, v21
	v_and_b32_e32 v7, v7, v16
	v_not_b32_e32 v16, v22
	v_ashrrev_i32_e32 v20, 31, v20
	v_xor_b32_e32 v18, vcc_lo, v18
	v_cmp_gt_i32_e32 vcc_lo, 0, v22
	v_and_b32_e32 v7, v7, v17
	v_ashrrev_i32_e32 v16, 31, v16
	v_xor_b32_e32 v20, s13, v20
	v_mov_b32_e32 v22, v30
	v_not_b32_e32 v17, v19
	v_and_b32_e32 v7, v7, v18
	v_cmp_gt_i32_e64 s13, 0, v19
	v_xor_b32_e32 v16, vcc_lo, v16
	v_mov_b32_e32 v23, v31
	v_ashrrev_i32_e32 v17, 31, v17
	v_dual_mov_b32 v20, v32 :: v_dual_and_b32 v7, v7, v20
	v_lshl_add_u32 v1, v6, 3, v41
	v_mov_b32_e32 v18, v34
	s_delay_alu instid0(VALU_DEP_4) | instskip(NEXT) | instid1(VALU_DEP_4)
	v_xor_b32_e32 v17, s13, v17
	v_and_b32_e32 v7, v7, v16
	v_mov_b32_e32 v19, v35
	v_lshl_add_u32 v31, v1, 2, 32
	s_delay_alu instid0(VALU_DEP_3) | instskip(SKIP_1) | instid1(VALU_DEP_2)
	v_dual_mov_b32 v21, v33 :: v_dual_and_b32 v0, v7, v17
	v_dual_mov_b32 v16, v36 :: v_dual_mov_b32 v17, v37
	v_mbcnt_lo_u32_b32 v30, v0, 0
	v_cmp_ne_u32_e64 s13, 0, v0
	s_delay_alu instid0(VALU_DEP_2) | instskip(NEXT) | instid1(VALU_DEP_2)
	v_cmp_eq_u32_e32 vcc_lo, 0, v30
	s_and_b32 s28, s13, vcc_lo
	s_delay_alu instid0(SALU_CYCLE_1)
	s_and_saveexec_b32 s13, s28
	s_cbranch_execz .LBB151_21
; %bb.20:                               ;   in Loop: Header=BB151_19 Depth=1
	v_bcnt_u32_b32 v0, v0, 0
	ds_store_b32 v31, v0
.LBB151_21:                             ;   in Loop: Header=BB151_19 Depth=1
	s_or_b32 exec_lo, exec_lo, s13
	v_cmp_ne_u64_e32 vcc_lo, s[14:15], v[28:29]
	; wave barrier
	v_cndmask_b32_e32 v1, 0x80000000, v29, vcc_lo
	v_cndmask_b32_e32 v0, 0, v28, vcc_lo
	s_delay_alu instid0(VALU_DEP_1) | instskip(NEXT) | instid1(VALU_DEP_1)
	v_lshrrev_b64 v[0:1], s16, v[0:1]
	v_and_b32_e32 v0, s21, v0
	s_delay_alu instid0(VALU_DEP_1)
	v_and_b32_e32 v1, 1, v0
	v_lshlrev_b32_e32 v2, 30, v0
	v_lshlrev_b32_e32 v3, 29, v0
	;; [unrolled: 1-line block ×4, first 2 shown]
	v_add_co_u32 v1, s13, v1, -1
	s_delay_alu instid0(VALU_DEP_1)
	v_cndmask_b32_e64 v5, 0, 1, s13
	v_not_b32_e32 v33, v2
	v_cmp_gt_i32_e64 s13, 0, v2
	v_not_b32_e32 v2, v3
	v_lshlrev_b32_e32 v7, 26, v0
	v_cmp_ne_u32_e32 vcc_lo, 0, v5
	v_ashrrev_i32_e32 v33, 31, v33
	v_lshlrev_b32_e32 v32, 25, v0
	v_ashrrev_i32_e32 v2, 31, v2
	v_lshlrev_b32_e32 v5, 24, v0
	v_xor_b32_e32 v1, vcc_lo, v1
	v_cmp_gt_i32_e32 vcc_lo, 0, v3
	v_not_b32_e32 v3, v4
	v_xor_b32_e32 v33, s13, v33
	v_cmp_gt_i32_e64 s13, 0, v4
	v_and_b32_e32 v1, exec_lo, v1
	v_not_b32_e32 v4, v6
	v_ashrrev_i32_e32 v3, 31, v3
	v_xor_b32_e32 v2, vcc_lo, v2
	v_cmp_gt_i32_e32 vcc_lo, 0, v6
	v_and_b32_e32 v1, v1, v33
	v_not_b32_e32 v6, v7
	v_ashrrev_i32_e32 v4, 31, v4
	v_xor_b32_e32 v3, s13, v3
	v_cmp_gt_i32_e64 s13, 0, v7
	v_and_b32_e32 v1, v1, v2
	v_not_b32_e32 v2, v32
	v_ashrrev_i32_e32 v6, 31, v6
	v_xor_b32_e32 v4, vcc_lo, v4
	v_cmp_gt_i32_e32 vcc_lo, 0, v32
	v_and_b32_e32 v1, v1, v3
	v_not_b32_e32 v3, v5
	v_ashrrev_i32_e32 v2, 31, v2
	v_xor_b32_e32 v6, s13, v6
	v_lshlrev_b32_e32 v0, 3, v0
	v_and_b32_e32 v1, v1, v4
	v_cmp_gt_i32_e64 s13, 0, v5
	v_ashrrev_i32_e32 v3, 31, v3
	v_xor_b32_e32 v2, vcc_lo, v2
	v_add_lshl_u32 v4, v0, v41, 2
	v_and_b32_e32 v1, v1, v6
	s_delay_alu instid0(VALU_DEP_4) | instskip(SKIP_3) | instid1(VALU_DEP_2)
	v_xor_b32_e32 v0, s13, v3
	ds_load_b32 v32, v4 offset:32
	v_and_b32_e32 v1, v1, v2
	v_add_nc_u32_e32 v34, 32, v4
	; wave barrier
	v_and_b32_e32 v0, v1, v0
	s_delay_alu instid0(VALU_DEP_1) | instskip(SKIP_1) | instid1(VALU_DEP_2)
	v_mbcnt_lo_u32_b32 v33, v0, 0
	v_cmp_ne_u32_e64 s13, 0, v0
	v_cmp_eq_u32_e32 vcc_lo, 0, v33
	s_delay_alu instid0(VALU_DEP_2) | instskip(NEXT) | instid1(SALU_CYCLE_1)
	s_and_b32 s28, s13, vcc_lo
	s_and_saveexec_b32 s13, s28
	s_cbranch_execz .LBB151_23
; %bb.22:                               ;   in Loop: Header=BB151_19 Depth=1
	s_waitcnt lgkmcnt(0)
	v_bcnt_u32_b32 v0, v0, v32
	ds_store_b32 v34, v0
.LBB151_23:                             ;   in Loop: Header=BB151_19 Depth=1
	s_or_b32 exec_lo, exec_lo, s13
	v_cmp_ne_u64_e32 vcc_lo, s[14:15], v[26:27]
	; wave barrier
	v_cndmask_b32_e32 v1, 0x80000000, v27, vcc_lo
	v_cndmask_b32_e32 v0, 0, v26, vcc_lo
	s_delay_alu instid0(VALU_DEP_1) | instskip(NEXT) | instid1(VALU_DEP_1)
	v_lshrrev_b64 v[0:1], s16, v[0:1]
	v_and_b32_e32 v0, s21, v0
	s_delay_alu instid0(VALU_DEP_1)
	v_and_b32_e32 v1, 1, v0
	v_lshlrev_b32_e32 v2, 30, v0
	v_lshlrev_b32_e32 v3, 29, v0
	v_lshlrev_b32_e32 v4, 28, v0
	v_lshlrev_b32_e32 v6, 27, v0
	v_add_co_u32 v1, s13, v1, -1
	s_delay_alu instid0(VALU_DEP_1)
	v_cndmask_b32_e64 v5, 0, 1, s13
	v_not_b32_e32 v36, v2
	v_cmp_gt_i32_e64 s13, 0, v2
	v_not_b32_e32 v2, v3
	v_lshlrev_b32_e32 v7, 26, v0
	v_cmp_ne_u32_e32 vcc_lo, 0, v5
	v_ashrrev_i32_e32 v36, 31, v36
	v_lshlrev_b32_e32 v35, 25, v0
	v_ashrrev_i32_e32 v2, 31, v2
	v_lshlrev_b32_e32 v5, 24, v0
	v_xor_b32_e32 v1, vcc_lo, v1
	v_cmp_gt_i32_e32 vcc_lo, 0, v3
	v_not_b32_e32 v3, v4
	v_xor_b32_e32 v36, s13, v36
	v_cmp_gt_i32_e64 s13, 0, v4
	v_and_b32_e32 v1, exec_lo, v1
	v_not_b32_e32 v4, v6
	v_ashrrev_i32_e32 v3, 31, v3
	v_xor_b32_e32 v2, vcc_lo, v2
	v_cmp_gt_i32_e32 vcc_lo, 0, v6
	v_and_b32_e32 v1, v1, v36
	v_not_b32_e32 v6, v7
	v_ashrrev_i32_e32 v4, 31, v4
	v_xor_b32_e32 v3, s13, v3
	v_cmp_gt_i32_e64 s13, 0, v7
	v_and_b32_e32 v1, v1, v2
	v_not_b32_e32 v2, v35
	v_ashrrev_i32_e32 v6, 31, v6
	v_xor_b32_e32 v4, vcc_lo, v4
	v_cmp_gt_i32_e32 vcc_lo, 0, v35
	v_and_b32_e32 v1, v1, v3
	v_not_b32_e32 v3, v5
	v_ashrrev_i32_e32 v2, 31, v2
	v_xor_b32_e32 v6, s13, v6
	v_lshlrev_b32_e32 v0, 3, v0
	v_and_b32_e32 v1, v1, v4
	v_cmp_gt_i32_e64 s13, 0, v5
	v_ashrrev_i32_e32 v3, 31, v3
	v_xor_b32_e32 v2, vcc_lo, v2
	v_add_lshl_u32 v4, v0, v41, 2
	v_and_b32_e32 v1, v1, v6
	s_delay_alu instid0(VALU_DEP_4) | instskip(SKIP_3) | instid1(VALU_DEP_2)
	v_xor_b32_e32 v0, s13, v3
	ds_load_b32 v35, v4 offset:32
	v_and_b32_e32 v1, v1, v2
	v_add_nc_u32_e32 v37, 32, v4
	; wave barrier
	v_and_b32_e32 v0, v1, v0
	s_delay_alu instid0(VALU_DEP_1) | instskip(SKIP_1) | instid1(VALU_DEP_2)
	v_mbcnt_lo_u32_b32 v36, v0, 0
	v_cmp_ne_u32_e64 s13, 0, v0
	v_cmp_eq_u32_e32 vcc_lo, 0, v36
	s_delay_alu instid0(VALU_DEP_2) | instskip(NEXT) | instid1(SALU_CYCLE_1)
	s_and_b32 s28, s13, vcc_lo
	s_and_saveexec_b32 s13, s28
	s_cbranch_execz .LBB151_25
; %bb.24:                               ;   in Loop: Header=BB151_19 Depth=1
	s_waitcnt lgkmcnt(0)
	v_bcnt_u32_b32 v0, v0, v35
	ds_store_b32 v37, v0
.LBB151_25:                             ;   in Loop: Header=BB151_19 Depth=1
	s_or_b32 exec_lo, exec_lo, s13
	v_cmp_ne_u64_e32 vcc_lo, s[14:15], v[24:25]
	; wave barrier
	v_cndmask_b32_e32 v1, 0x80000000, v25, vcc_lo
	v_cndmask_b32_e32 v0, 0, v24, vcc_lo
	s_delay_alu instid0(VALU_DEP_1) | instskip(NEXT) | instid1(VALU_DEP_1)
	v_lshrrev_b64 v[0:1], s16, v[0:1]
	v_and_b32_e32 v0, s21, v0
	s_delay_alu instid0(VALU_DEP_1)
	v_and_b32_e32 v1, 1, v0
	v_lshlrev_b32_e32 v2, 30, v0
	v_lshlrev_b32_e32 v3, 29, v0
	v_lshlrev_b32_e32 v4, 28, v0
	v_lshlrev_b32_e32 v6, 27, v0
	v_add_co_u32 v1, s13, v1, -1
	s_delay_alu instid0(VALU_DEP_1)
	v_cndmask_b32_e64 v5, 0, 1, s13
	v_not_b32_e32 v39, v2
	v_cmp_gt_i32_e64 s13, 0, v2
	v_not_b32_e32 v2, v3
	v_lshlrev_b32_e32 v7, 26, v0
	v_cmp_ne_u32_e32 vcc_lo, 0, v5
	v_ashrrev_i32_e32 v39, 31, v39
	v_lshlrev_b32_e32 v38, 25, v0
	v_ashrrev_i32_e32 v2, 31, v2
	v_lshlrev_b32_e32 v5, 24, v0
	v_xor_b32_e32 v1, vcc_lo, v1
	v_cmp_gt_i32_e32 vcc_lo, 0, v3
	v_not_b32_e32 v3, v4
	v_xor_b32_e32 v39, s13, v39
	v_cmp_gt_i32_e64 s13, 0, v4
	v_and_b32_e32 v1, exec_lo, v1
	v_not_b32_e32 v4, v6
	v_ashrrev_i32_e32 v3, 31, v3
	v_xor_b32_e32 v2, vcc_lo, v2
	v_cmp_gt_i32_e32 vcc_lo, 0, v6
	v_and_b32_e32 v1, v1, v39
	v_not_b32_e32 v6, v7
	v_ashrrev_i32_e32 v4, 31, v4
	v_xor_b32_e32 v3, s13, v3
	v_cmp_gt_i32_e64 s13, 0, v7
	v_and_b32_e32 v1, v1, v2
	v_not_b32_e32 v2, v38
	v_ashrrev_i32_e32 v6, 31, v6
	v_xor_b32_e32 v4, vcc_lo, v4
	v_cmp_gt_i32_e32 vcc_lo, 0, v38
	v_and_b32_e32 v1, v1, v3
	v_not_b32_e32 v3, v5
	v_ashrrev_i32_e32 v2, 31, v2
	v_xor_b32_e32 v6, s13, v6
	v_lshlrev_b32_e32 v0, 3, v0
	v_and_b32_e32 v1, v1, v4
	v_cmp_gt_i32_e64 s13, 0, v5
	v_ashrrev_i32_e32 v3, 31, v3
	v_xor_b32_e32 v2, vcc_lo, v2
	v_add_lshl_u32 v4, v0, v41, 2
	v_and_b32_e32 v1, v1, v6
	s_delay_alu instid0(VALU_DEP_4) | instskip(SKIP_3) | instid1(VALU_DEP_2)
	v_xor_b32_e32 v0, s13, v3
	ds_load_b32 v38, v4 offset:32
	v_and_b32_e32 v1, v1, v2
	v_add_nc_u32_e32 v50, 32, v4
	; wave barrier
	v_and_b32_e32 v0, v1, v0
	s_delay_alu instid0(VALU_DEP_1) | instskip(SKIP_1) | instid1(VALU_DEP_2)
	v_mbcnt_lo_u32_b32 v39, v0, 0
	v_cmp_ne_u32_e64 s13, 0, v0
	v_cmp_eq_u32_e32 vcc_lo, 0, v39
	s_delay_alu instid0(VALU_DEP_2) | instskip(NEXT) | instid1(SALU_CYCLE_1)
	s_and_b32 s21, s13, vcc_lo
	s_and_saveexec_b32 s13, s21
	s_cbranch_execz .LBB151_27
; %bb.26:                               ;   in Loop: Header=BB151_19 Depth=1
	s_waitcnt lgkmcnt(0)
	v_bcnt_u32_b32 v0, v0, v38
	ds_store_b32 v50, v0
.LBB151_27:                             ;   in Loop: Header=BB151_19 Depth=1
	s_or_b32 exec_lo, exec_lo, s13
	; wave barrier
	s_waitcnt lgkmcnt(0)
	s_barrier
	buffer_gl0_inv
	ds_load_2addr_b64 v[4:7], v40 offset0:4 offset1:5
	ds_load_2addr_b64 v[0:3], v8 offset0:2 offset1:3
	s_waitcnt lgkmcnt(1)
	v_add_nc_u32_e32 v51, v5, v4
	s_delay_alu instid0(VALU_DEP_1) | instskip(SKIP_1) | instid1(VALU_DEP_1)
	v_add3_u32 v51, v51, v6, v7
	s_waitcnt lgkmcnt(0)
	v_add3_u32 v51, v51, v0, v1
	s_delay_alu instid0(VALU_DEP_1) | instskip(NEXT) | instid1(VALU_DEP_1)
	v_add3_u32 v3, v51, v2, v3
	v_mov_b32_dpp v51, v3 row_shr:1 row_mask:0xf bank_mask:0xf
	s_delay_alu instid0(VALU_DEP_1) | instskip(NEXT) | instid1(VALU_DEP_1)
	v_cndmask_b32_e64 v51, v51, 0, s0
	v_add_nc_u32_e32 v3, v51, v3
	s_delay_alu instid0(VALU_DEP_1) | instskip(NEXT) | instid1(VALU_DEP_1)
	v_mov_b32_dpp v51, v3 row_shr:2 row_mask:0xf bank_mask:0xf
	v_cndmask_b32_e64 v51, 0, v51, s1
	s_delay_alu instid0(VALU_DEP_1) | instskip(NEXT) | instid1(VALU_DEP_1)
	v_add_nc_u32_e32 v3, v3, v51
	v_mov_b32_dpp v51, v3 row_shr:4 row_mask:0xf bank_mask:0xf
	s_delay_alu instid0(VALU_DEP_1) | instskip(NEXT) | instid1(VALU_DEP_1)
	v_cndmask_b32_e64 v51, 0, v51, s2
	v_add_nc_u32_e32 v3, v3, v51
	s_delay_alu instid0(VALU_DEP_1) | instskip(NEXT) | instid1(VALU_DEP_1)
	v_mov_b32_dpp v51, v3 row_shr:8 row_mask:0xf bank_mask:0xf
	v_cndmask_b32_e64 v51, 0, v51, s3
	s_delay_alu instid0(VALU_DEP_1) | instskip(SKIP_3) | instid1(VALU_DEP_1)
	v_add_nc_u32_e32 v3, v3, v51
	ds_swizzle_b32 v51, v3 offset:swizzle(BROADCAST,32,15)
	s_waitcnt lgkmcnt(0)
	v_cndmask_b32_e64 v51, v51, 0, s4
	v_add_nc_u32_e32 v3, v3, v51
	s_and_saveexec_b32 s13, s5
	s_cbranch_execz .LBB151_29
; %bb.28:                               ;   in Loop: Header=BB151_19 Depth=1
	ds_store_b32 v43, v3
.LBB151_29:                             ;   in Loop: Header=BB151_19 Depth=1
	s_or_b32 exec_lo, exec_lo, s13
	s_waitcnt lgkmcnt(0)
	s_barrier
	buffer_gl0_inv
	s_and_saveexec_b32 s13, s6
	s_cbranch_execz .LBB151_31
; %bb.30:                               ;   in Loop: Header=BB151_19 Depth=1
	ds_load_b32 v51, v49
	s_waitcnt lgkmcnt(0)
	v_mov_b32_dpp v52, v51 row_shr:1 row_mask:0xf bank_mask:0xf
	s_delay_alu instid0(VALU_DEP_1) | instskip(NEXT) | instid1(VALU_DEP_1)
	v_cndmask_b32_e64 v52, v52, 0, s10
	v_add_nc_u32_e32 v51, v52, v51
	s_delay_alu instid0(VALU_DEP_1) | instskip(NEXT) | instid1(VALU_DEP_1)
	v_mov_b32_dpp v52, v51 row_shr:2 row_mask:0xf bank_mask:0xf
	v_cndmask_b32_e64 v52, 0, v52, s11
	s_delay_alu instid0(VALU_DEP_1) | instskip(NEXT) | instid1(VALU_DEP_1)
	v_add_nc_u32_e32 v51, v51, v52
	v_mov_b32_dpp v52, v51 row_shr:4 row_mask:0xf bank_mask:0xf
	s_delay_alu instid0(VALU_DEP_1) | instskip(NEXT) | instid1(VALU_DEP_1)
	v_cndmask_b32_e64 v52, 0, v52, s12
	v_add_nc_u32_e32 v51, v51, v52
	ds_store_b32 v49, v51
.LBB151_31:                             ;   in Loop: Header=BB151_19 Depth=1
	s_or_b32 exec_lo, exec_lo, s13
	v_mov_b32_e32 v51, 0
	s_waitcnt lgkmcnt(0)
	s_barrier
	buffer_gl0_inv
	s_and_saveexec_b32 s13, s7
	s_cbranch_execz .LBB151_33
; %bb.32:                               ;   in Loop: Header=BB151_19 Depth=1
	ds_load_b32 v51, v44
.LBB151_33:                             ;   in Loop: Header=BB151_19 Depth=1
	s_or_b32 exec_lo, exec_lo, s13
	s_waitcnt lgkmcnt(0)
	v_add_nc_u32_e32 v3, v51, v3
	s_add_i32 s16, s16, 8
	s_delay_alu instid0(SALU_CYCLE_1) | instskip(SKIP_3) | instid1(VALU_DEP_1)
	s_cmp_ge_u32 s16, s20
	ds_bpermute_b32 v3, v42, v3
	s_waitcnt lgkmcnt(0)
	v_cndmask_b32_e64 v3, v3, v51, s8
	v_cndmask_b32_e64 v3, v3, 0, s9
	s_delay_alu instid0(VALU_DEP_1) | instskip(NEXT) | instid1(VALU_DEP_1)
	v_add_nc_u32_e32 v4, v3, v4
	v_add_nc_u32_e32 v5, v4, v5
	s_delay_alu instid0(VALU_DEP_1) | instskip(NEXT) | instid1(VALU_DEP_1)
	v_add_nc_u32_e32 v6, v5, v6
	v_add_nc_u32_e32 v51, v6, v7
	v_lshlrev_b32_e32 v7, 3, v32
	v_lshlrev_b32_e32 v32, 3, v39
	s_delay_alu instid0(VALU_DEP_3) | instskip(NEXT) | instid1(VALU_DEP_1)
	v_add_nc_u32_e32 v52, v51, v0
	v_add_nc_u32_e32 v0, v52, v1
	s_delay_alu instid0(VALU_DEP_1)
	v_add_nc_u32_e32 v1, v0, v2
	ds_store_2addr_b64 v40, v[3:4], v[5:6] offset0:4 offset1:5
	ds_store_2addr_b64 v8, v[51:52], v[0:1] offset0:2 offset1:3
	s_waitcnt lgkmcnt(0)
	s_barrier
	buffer_gl0_inv
	ds_load_b32 v0, v34
	ds_load_b32 v1, v37
	;; [unrolled: 1-line block ×4, first 2 shown]
	v_lshlrev_b32_e32 v4, 3, v30
	v_lshlrev_b32_e32 v5, 3, v33
	;; [unrolled: 1-line block ×5, first 2 shown]
	s_waitcnt lgkmcnt(0)
	v_lshlrev_b32_e32 v0, 3, v0
	v_lshlrev_b32_e32 v1, 3, v1
	;; [unrolled: 1-line block ×3, first 2 shown]
	v_lshl_add_u32 v6, v3, 3, v4
	s_delay_alu instid0(VALU_DEP_4) | instskip(NEXT) | instid1(VALU_DEP_4)
	v_add3_u32 v7, v5, v7, v0
	v_add3_u32 v50, v30, v31, v1
	s_delay_alu instid0(VALU_DEP_4)
	v_add3_u32 v51, v32, v33, v2
	s_cbranch_scc0 .LBB151_18
; %bb.34:
                                        ; implicit-def: $vgpr4_vgpr5
                                        ; implicit-def: $vgpr2_vgpr3
                                        ; implicit-def: $vgpr0_vgpr1
                                        ; implicit-def: $vgpr38_vgpr39
                                        ; implicit-def: $sgpr16
                                        ; implicit-def: $vgpr30_vgpr31
                                        ; implicit-def: $vgpr32_vgpr33
                                        ; implicit-def: $vgpr34_vgpr35
                                        ; implicit-def: $vgpr36_vgpr37
.LBB151_35:
	s_barrier
	buffer_gl0_inv
	ds_store_b64 v6, v[14:15]
	ds_store_b64 v7, v[28:29]
	;; [unrolled: 1-line block ×3, first 2 shown]
	v_lshlrev_b32_e32 v26, 3, v9
	ds_store_b64 v51, v[24:25]
	s_waitcnt lgkmcnt(0)
	s_barrier
	buffer_gl0_inv
	ds_load_2addr_stride64_b64 v[10:13], v26 offset1:4
	ds_load_2addr_stride64_b64 v[27:30], v26 offset0:8 offset1:12
	s_waitcnt lgkmcnt(0)
	s_barrier
	buffer_gl0_inv
	ds_store_b64 v6, v[22:23]
	ds_store_b64 v7, v[20:21]
	;; [unrolled: 1-line block ×4, first 2 shown]
	s_waitcnt lgkmcnt(0)
	s_barrier
	buffer_gl0_inv
	ds_load_2addr_stride64_b64 v[4:7], v26 offset1:4
	ds_load_2addr_stride64_b64 v[0:3], v26 offset0:8 offset1:12
	s_add_u32 s0, s18, s24
	s_addc_u32 s1, s19, s25
	s_mov_b32 s3, 0
	v_cmp_lt_i64_e32 vcc_lo, -1, v[10:11]
	v_ashrrev_i32_e32 v8, 31, v11
	v_ashrrev_i32_e32 v14, 31, v13
	;; [unrolled: 1-line block ×3, first 2 shown]
	v_cndmask_b32_e64 v15, 0x80000000, -1, vcc_lo
	v_cmp_lt_i64_e32 vcc_lo, -1, v[12:13]
	v_not_b32_e32 v8, v8
	v_not_b32_e32 v14, v14
	s_delay_alu instid0(VALU_DEP_4)
	v_xor_b32_e32 v19, v15, v11
	v_cndmask_b32_e64 v16, 0x80000000, -1, vcc_lo
	v_cmp_lt_i64_e32 vcc_lo, -1, v[27:28]
	v_xor_b32_e32 v18, v8, v10
	v_xor_b32_e32 v10, v14, v12
	v_ashrrev_i32_e32 v8, 31, v30
	v_xor_b32_e32 v11, v16, v13
	v_not_b32_e32 v13, v17
	v_cndmask_b32_e64 v12, 0x80000000, -1, vcc_lo
	v_cmp_lt_i64_e32 vcc_lo, -1, v[29:30]
	v_not_b32_e32 v8, v8
	s_delay_alu instid0(VALU_DEP_4) | instskip(NEXT) | instid1(VALU_DEP_4)
	v_xor_b32_e32 v14, v13, v27
	v_xor_b32_e32 v15, v12, v28
	v_cndmask_b32_e64 v16, 0x80000000, -1, vcc_lo
	s_delay_alu instid0(VALU_DEP_4) | instskip(SKIP_1) | instid1(VALU_DEP_2)
	v_xor_b32_e32 v12, v8, v29
	s_and_not1_b32 vcc_lo, exec_lo, s26
	v_xor_b32_e32 v13, v16, v30
	v_add_co_u32 v16, s0, s0, v26
	s_delay_alu instid0(VALU_DEP_1)
	v_add_co_ci_u32_e64 v17, null, s1, 0, s0
	s_mov_b32 s0, -1
	s_cbranch_vccz .LBB151_39
; %bb.36:
	s_and_not1_b32 vcc_lo, exec_lo, s0
	s_cbranch_vccz .LBB151_40
.LBB151_37:
	s_and_saveexec_b32 s0, s3
	s_cbranch_execnz .LBB151_53
.LBB151_38:
	s_nop 0
	s_sendmsg sendmsg(MSG_DEALLOC_VGPRS)
	s_endpgm
.LBB151_39:
	s_add_u32 s2, s22, s24
	s_addc_u32 s3, s23, s25
	v_add_co_u32 v8, s1, s2, v26
	s_delay_alu instid0(VALU_DEP_1) | instskip(SKIP_2) | instid1(VALU_DEP_4)
	v_add_co_ci_u32_e64 v23, null, s3, 0, s1
	v_add_co_u32 v20, vcc_lo, 0x1000, v16
	v_add_co_ci_u32_e32 v21, vcc_lo, 0, v17, vcc_lo
	v_add_co_u32 v22, vcc_lo, 0x1000, v8
	s_delay_alu instid0(VALU_DEP_4)
	v_add_co_ci_u32_e32 v23, vcc_lo, 0, v23, vcc_lo
	s_clause 0x1
	global_store_b64 v[16:17], v[18:19], off
	global_store_b64 v[16:17], v[10:11], off offset:2048
	s_clause 0x1
	global_store_b64 v[20:21], v[14:15], off
	global_store_b64 v[20:21], v[12:13], off offset:2048
	s_waitcnt lgkmcnt(1)
	s_clause 0x1
	global_store_b64 v26, v[4:5], s[2:3]
	global_store_b64 v26, v[6:7], s[2:3] offset:2048
	s_mov_b32 s3, -1
	s_waitcnt lgkmcnt(0)
	global_store_b64 v[22:23], v[0:1], off
	s_cbranch_execnz .LBB151_37
.LBB151_40:
	v_cmp_gt_u32_e32 vcc_lo, s27, v9
	s_and_saveexec_b32 s0, vcc_lo
	s_cbranch_execz .LBB151_42
; %bb.41:
	global_store_b64 v[16:17], v[18:19], off
.LBB151_42:
	s_or_b32 exec_lo, exec_lo, s0
	v_add_nc_u32_e32 v8, 0x100, v9
	s_delay_alu instid0(VALU_DEP_1) | instskip(NEXT) | instid1(VALU_DEP_1)
	v_cmp_gt_u32_e64 s0, s27, v8
	s_and_saveexec_b32 s1, s0
	s_cbranch_execz .LBB151_44
; %bb.43:
	global_store_b64 v[16:17], v[10:11], off offset:2048
.LBB151_44:
	s_or_b32 exec_lo, exec_lo, s1
	v_add_nc_u32_e32 v8, 0x200, v9
	s_delay_alu instid0(VALU_DEP_1) | instskip(NEXT) | instid1(VALU_DEP_1)
	v_cmp_gt_u32_e64 s1, s27, v8
	s_and_saveexec_b32 s3, s1
	s_cbranch_execz .LBB151_46
; %bb.45:
	v_add_co_u32 v10, s2, 0x1000, v16
	s_delay_alu instid0(VALU_DEP_1)
	v_add_co_ci_u32_e64 v11, s2, 0, v17, s2
	global_store_b64 v[10:11], v[14:15], off
.LBB151_46:
	s_or_b32 exec_lo, exec_lo, s3
	v_add_nc_u32_e32 v8, 0x300, v9
	s_delay_alu instid0(VALU_DEP_1) | instskip(NEXT) | instid1(VALU_DEP_1)
	v_cmp_gt_u32_e64 s3, s27, v8
	s_and_saveexec_b32 s4, s3
	s_cbranch_execz .LBB151_48
; %bb.47:
	v_add_co_u32 v8, s2, 0x1000, v16
	s_delay_alu instid0(VALU_DEP_1)
	v_add_co_ci_u32_e64 v9, s2, 0, v17, s2
	global_store_b64 v[8:9], v[12:13], off offset:2048
.LBB151_48:
	s_or_b32 exec_lo, exec_lo, s4
	s_add_u32 s2, s22, s24
	s_addc_u32 s4, s23, s25
	v_add_co_u32 v8, s2, s2, v26
	s_delay_alu instid0(VALU_DEP_1)
	v_add_co_ci_u32_e64 v9, null, s4, 0, s2
	s_and_saveexec_b32 s2, vcc_lo
	s_cbranch_execnz .LBB151_57
; %bb.49:
	s_or_b32 exec_lo, exec_lo, s2
	s_and_saveexec_b32 s2, s0
	s_cbranch_execnz .LBB151_58
.LBB151_50:
	s_or_b32 exec_lo, exec_lo, s2
	s_and_saveexec_b32 s0, s1
	s_cbranch_execz .LBB151_52
.LBB151_51:
	s_waitcnt lgkmcnt(1)
	v_add_co_u32 v4, vcc_lo, 0x1000, v8
	v_add_co_ci_u32_e32 v5, vcc_lo, 0, v9, vcc_lo
	s_waitcnt lgkmcnt(0)
	global_store_b64 v[4:5], v[0:1], off
.LBB151_52:
	s_or_b32 exec_lo, exec_lo, s0
	s_and_saveexec_b32 s0, s3
	s_cbranch_execz .LBB151_38
.LBB151_53:
	s_add_u32 s0, s22, s24
	s_addc_u32 s1, s23, s25
	s_waitcnt lgkmcnt(0)
	v_add_co_u32 v0, s0, s0, v26
	s_delay_alu instid0(VALU_DEP_1) | instskip(NEXT) | instid1(VALU_DEP_2)
	v_add_co_ci_u32_e64 v1, null, s1, 0, s0
	v_add_co_u32 v0, vcc_lo, 0x1000, v0
	s_delay_alu instid0(VALU_DEP_2)
	v_add_co_ci_u32_e32 v1, vcc_lo, 0, v1, vcc_lo
	global_store_b64 v[0:1], v[2:3], off offset:2048
	s_nop 0
	s_sendmsg sendmsg(MSG_DEALLOC_VGPRS)
	s_endpgm
.LBB151_54:
	global_load_b64 v[30:31], v[10:11], off
	s_or_b32 exec_lo, exec_lo, s5
                                        ; implicit-def: $vgpr32_vgpr33
	s_and_saveexec_b32 s5, s2
	s_cbranch_execz .LBB151_13
.LBB151_55:
	global_load_b64 v[32:33], v[10:11], off offset:256
	s_or_b32 exec_lo, exec_lo, s5
                                        ; implicit-def: $vgpr34_vgpr35
	s_and_saveexec_b32 s2, s3
	s_cbranch_execz .LBB151_14
.LBB151_56:
	global_load_b64 v[34:35], v[10:11], off offset:512
	s_or_b32 exec_lo, exec_lo, s2
                                        ; implicit-def: $vgpr36_vgpr37
	s_and_saveexec_b32 s2, s4
	s_cbranch_execnz .LBB151_15
	s_branch .LBB151_16
.LBB151_57:
	s_waitcnt lgkmcnt(1)
	global_store_b64 v[8:9], v[4:5], off
	s_or_b32 exec_lo, exec_lo, s2
	s_and_saveexec_b32 s2, s0
	s_cbranch_execz .LBB151_50
.LBB151_58:
	s_waitcnt lgkmcnt(1)
	global_store_b64 v[8:9], v[6:7], off offset:2048
	s_or_b32 exec_lo, exec_lo, s2
	s_and_saveexec_b32 s0, s1
	s_cbranch_execnz .LBB151_51
	s_branch .LBB151_52
	.section	.rodata,"a",@progbits
	.p2align	6, 0x0
	.amdhsa_kernel _ZN7rocprim17ROCPRIM_304000_NS6detail28radix_sort_block_sort_kernelINS1_36wrapped_radix_sort_block_sort_configINS0_13kernel_configILj256ELj4ELj4294967295EEEdN2at4cuda3cub6detail10OpaqueTypeILi8EEEEELb0EPKdPdPKSB_PSB_NS0_19identity_decomposerEEEvT1_T2_T3_T4_jT5_jj
		.amdhsa_group_segment_fixed_size 8224
		.amdhsa_private_segment_fixed_size 0
		.amdhsa_kernarg_size 304
		.amdhsa_user_sgpr_count 15
		.amdhsa_user_sgpr_dispatch_ptr 0
		.amdhsa_user_sgpr_queue_ptr 0
		.amdhsa_user_sgpr_kernarg_segment_ptr 1
		.amdhsa_user_sgpr_dispatch_id 0
		.amdhsa_user_sgpr_private_segment_size 0
		.amdhsa_wavefront_size32 1
		.amdhsa_uses_dynamic_stack 0
		.amdhsa_enable_private_segment 0
		.amdhsa_system_sgpr_workgroup_id_x 1
		.amdhsa_system_sgpr_workgroup_id_y 0
		.amdhsa_system_sgpr_workgroup_id_z 0
		.amdhsa_system_sgpr_workgroup_info 0
		.amdhsa_system_vgpr_workitem_id 2
		.amdhsa_next_free_vgpr 53
		.amdhsa_next_free_sgpr 30
		.amdhsa_reserve_vcc 1
		.amdhsa_float_round_mode_32 0
		.amdhsa_float_round_mode_16_64 0
		.amdhsa_float_denorm_mode_32 3
		.amdhsa_float_denorm_mode_16_64 3
		.amdhsa_dx10_clamp 1
		.amdhsa_ieee_mode 1
		.amdhsa_fp16_overflow 0
		.amdhsa_workgroup_processor_mode 1
		.amdhsa_memory_ordered 1
		.amdhsa_forward_progress 0
		.amdhsa_shared_vgpr_count 0
		.amdhsa_exception_fp_ieee_invalid_op 0
		.amdhsa_exception_fp_denorm_src 0
		.amdhsa_exception_fp_ieee_div_zero 0
		.amdhsa_exception_fp_ieee_overflow 0
		.amdhsa_exception_fp_ieee_underflow 0
		.amdhsa_exception_fp_ieee_inexact 0
		.amdhsa_exception_int_div_zero 0
	.end_amdhsa_kernel
	.section	.text._ZN7rocprim17ROCPRIM_304000_NS6detail28radix_sort_block_sort_kernelINS1_36wrapped_radix_sort_block_sort_configINS0_13kernel_configILj256ELj4ELj4294967295EEEdN2at4cuda3cub6detail10OpaqueTypeILi8EEEEELb0EPKdPdPKSB_PSB_NS0_19identity_decomposerEEEvT1_T2_T3_T4_jT5_jj,"axG",@progbits,_ZN7rocprim17ROCPRIM_304000_NS6detail28radix_sort_block_sort_kernelINS1_36wrapped_radix_sort_block_sort_configINS0_13kernel_configILj256ELj4ELj4294967295EEEdN2at4cuda3cub6detail10OpaqueTypeILi8EEEEELb0EPKdPdPKSB_PSB_NS0_19identity_decomposerEEEvT1_T2_T3_T4_jT5_jj,comdat
.Lfunc_end151:
	.size	_ZN7rocprim17ROCPRIM_304000_NS6detail28radix_sort_block_sort_kernelINS1_36wrapped_radix_sort_block_sort_configINS0_13kernel_configILj256ELj4ELj4294967295EEEdN2at4cuda3cub6detail10OpaqueTypeILi8EEEEELb0EPKdPdPKSB_PSB_NS0_19identity_decomposerEEEvT1_T2_T3_T4_jT5_jj, .Lfunc_end151-_ZN7rocprim17ROCPRIM_304000_NS6detail28radix_sort_block_sort_kernelINS1_36wrapped_radix_sort_block_sort_configINS0_13kernel_configILj256ELj4ELj4294967295EEEdN2at4cuda3cub6detail10OpaqueTypeILi8EEEEELb0EPKdPdPKSB_PSB_NS0_19identity_decomposerEEEvT1_T2_T3_T4_jT5_jj
                                        ; -- End function
	.section	.AMDGPU.csdata,"",@progbits
; Kernel info:
; codeLenInByte = 4444
; NumSgprs: 32
; NumVgprs: 53
; ScratchSize: 0
; MemoryBound: 1
; FloatMode: 240
; IeeeMode: 1
; LDSByteSize: 8224 bytes/workgroup (compile time only)
; SGPRBlocks: 3
; VGPRBlocks: 6
; NumSGPRsForWavesPerEU: 32
; NumVGPRsForWavesPerEU: 53
; Occupancy: 16
; WaveLimiterHint : 1
; COMPUTE_PGM_RSRC2:SCRATCH_EN: 0
; COMPUTE_PGM_RSRC2:USER_SGPR: 15
; COMPUTE_PGM_RSRC2:TRAP_HANDLER: 0
; COMPUTE_PGM_RSRC2:TGID_X_EN: 1
; COMPUTE_PGM_RSRC2:TGID_Y_EN: 0
; COMPUTE_PGM_RSRC2:TGID_Z_EN: 0
; COMPUTE_PGM_RSRC2:TIDIG_COMP_CNT: 2
	.section	.text._ZN7rocprim17ROCPRIM_304000_NS6detail45device_block_merge_mergepath_partition_kernelINS1_37wrapped_merge_sort_block_merge_configINS0_14default_configEdN2at4cuda3cub6detail10OpaqueTypeILi8EEEEEPdjNS1_19radix_merge_compareILb0ELb0EdNS0_19identity_decomposerEEEEEvT0_T1_jPSH_T2_SH_,"axG",@progbits,_ZN7rocprim17ROCPRIM_304000_NS6detail45device_block_merge_mergepath_partition_kernelINS1_37wrapped_merge_sort_block_merge_configINS0_14default_configEdN2at4cuda3cub6detail10OpaqueTypeILi8EEEEEPdjNS1_19radix_merge_compareILb0ELb0EdNS0_19identity_decomposerEEEEEvT0_T1_jPSH_T2_SH_,comdat
	.protected	_ZN7rocprim17ROCPRIM_304000_NS6detail45device_block_merge_mergepath_partition_kernelINS1_37wrapped_merge_sort_block_merge_configINS0_14default_configEdN2at4cuda3cub6detail10OpaqueTypeILi8EEEEEPdjNS1_19radix_merge_compareILb0ELb0EdNS0_19identity_decomposerEEEEEvT0_T1_jPSH_T2_SH_ ; -- Begin function _ZN7rocprim17ROCPRIM_304000_NS6detail45device_block_merge_mergepath_partition_kernelINS1_37wrapped_merge_sort_block_merge_configINS0_14default_configEdN2at4cuda3cub6detail10OpaqueTypeILi8EEEEEPdjNS1_19radix_merge_compareILb0ELb0EdNS0_19identity_decomposerEEEEEvT0_T1_jPSH_T2_SH_
	.globl	_ZN7rocprim17ROCPRIM_304000_NS6detail45device_block_merge_mergepath_partition_kernelINS1_37wrapped_merge_sort_block_merge_configINS0_14default_configEdN2at4cuda3cub6detail10OpaqueTypeILi8EEEEEPdjNS1_19radix_merge_compareILb0ELb0EdNS0_19identity_decomposerEEEEEvT0_T1_jPSH_T2_SH_
	.p2align	8
	.type	_ZN7rocprim17ROCPRIM_304000_NS6detail45device_block_merge_mergepath_partition_kernelINS1_37wrapped_merge_sort_block_merge_configINS0_14default_configEdN2at4cuda3cub6detail10OpaqueTypeILi8EEEEEPdjNS1_19radix_merge_compareILb0ELb0EdNS0_19identity_decomposerEEEEEvT0_T1_jPSH_T2_SH_,@function
_ZN7rocprim17ROCPRIM_304000_NS6detail45device_block_merge_mergepath_partition_kernelINS1_37wrapped_merge_sort_block_merge_configINS0_14default_configEdN2at4cuda3cub6detail10OpaqueTypeILi8EEEEEPdjNS1_19radix_merge_compareILb0ELb0EdNS0_19identity_decomposerEEEEEvT0_T1_jPSH_T2_SH_: ; @_ZN7rocprim17ROCPRIM_304000_NS6detail45device_block_merge_mergepath_partition_kernelINS1_37wrapped_merge_sort_block_merge_configINS0_14default_configEdN2at4cuda3cub6detail10OpaqueTypeILi8EEEEEPdjNS1_19radix_merge_compareILb0ELb0EdNS0_19identity_decomposerEEEEEvT0_T1_jPSH_T2_SH_
; %bb.0:
	s_load_b64 s[2:3], s[0:1], 0x8
	v_lshl_or_b32 v0, s15, 7, v0
	s_waitcnt lgkmcnt(0)
	s_delay_alu instid0(VALU_DEP_1)
	v_cmp_gt_u32_e32 vcc_lo, s3, v0
	s_and_saveexec_b32 s3, vcc_lo
	s_cbranch_execz .LBB152_6
; %bb.1:
	s_load_b32 s3, s[0:1], 0x1c
	s_waitcnt lgkmcnt(0)
	s_lshr_b32 s4, s3, 9
	s_delay_alu instid0(SALU_CYCLE_1) | instskip(NEXT) | instid1(SALU_CYCLE_1)
	s_and_b32 s4, s4, 0x7ffffe
	s_sub_i32 s5, 0, s4
	s_add_i32 s4, s4, -1
	v_and_b32_e32 v1, s5, v0
	v_and_b32_e32 v5, s4, v0
	s_mov_b32 s4, 0
	s_delay_alu instid0(VALU_DEP_2) | instskip(NEXT) | instid1(VALU_DEP_1)
	v_lshlrev_b32_e32 v1, 10, v1
	v_add_nc_u32_e32 v2, s3, v1
	s_delay_alu instid0(VALU_DEP_1) | instskip(SKIP_1) | instid1(VALU_DEP_2)
	v_min_u32_e32 v4, s2, v2
	v_min_u32_e32 v2, s2, v1
	v_add_nc_u32_e32 v3, s3, v4
	s_mov_b32 s3, exec_lo
	s_delay_alu instid0(VALU_DEP_1) | instskip(SKIP_1) | instid1(VALU_DEP_2)
	v_min_u32_e32 v1, s2, v3
	v_lshlrev_b32_e32 v3, 10, v5
	v_sub_nc_u32_e32 v5, v1, v2
	v_sub_nc_u32_e32 v6, v1, v4
	s_delay_alu instid0(VALU_DEP_2) | instskip(SKIP_1) | instid1(VALU_DEP_2)
	v_min_u32_e32 v1, v5, v3
	v_sub_nc_u32_e32 v3, v4, v2
	v_sub_nc_u32_e64 v6, v1, v6 clamp
	s_delay_alu instid0(VALU_DEP_2) | instskip(NEXT) | instid1(VALU_DEP_1)
	v_min_u32_e32 v7, v1, v3
	v_cmpx_lt_u32_e64 v6, v7
	s_cbranch_execz .LBB152_5
; %bb.2:
	s_load_b64 s[6:7], s[0:1], 0x0
	v_mov_b32_e32 v5, 0
	s_brev_b32 s5, 1
	s_delay_alu instid0(VALU_DEP_1) | instskip(SKIP_1) | instid1(VALU_DEP_2)
	v_mov_b32_e32 v3, v5
	v_lshlrev_b64 v[10:11], 3, v[4:5]
	v_lshlrev_b64 v[8:9], 3, v[2:3]
	s_waitcnt lgkmcnt(0)
	s_delay_alu instid0(VALU_DEP_1) | instskip(NEXT) | instid1(VALU_DEP_2)
	v_add_co_u32 v3, vcc_lo, s6, v8
	v_add_co_ci_u32_e32 v8, vcc_lo, s7, v9, vcc_lo
	s_delay_alu instid0(VALU_DEP_4)
	v_add_co_u32 v9, vcc_lo, s6, v10
	v_add_co_ci_u32_e32 v10, vcc_lo, s7, v11, vcc_lo
	s_mov_b32 s6, s4
.LBB152_3:                              ; =>This Inner Loop Header: Depth=1
	v_add_nc_u32_e32 v4, v7, v6
	s_delay_alu instid0(VALU_DEP_1) | instskip(SKIP_1) | instid1(VALU_DEP_2)
	v_lshrrev_b32_e32 v4, 1, v4
	v_mov_b32_e32 v12, v5
	v_xad_u32 v11, v4, -1, v1
	v_lshlrev_b64 v[13:14], 3, v[4:5]
	s_delay_alu instid0(VALU_DEP_2) | instskip(NEXT) | instid1(VALU_DEP_2)
	v_lshlrev_b64 v[11:12], 3, v[11:12]
	v_add_co_u32 v13, vcc_lo, v3, v13
	s_delay_alu instid0(VALU_DEP_3) | instskip(NEXT) | instid1(VALU_DEP_3)
	v_add_co_ci_u32_e32 v14, vcc_lo, v8, v14, vcc_lo
	v_add_co_u32 v11, vcc_lo, v9, v11
	s_delay_alu instid0(VALU_DEP_4)
	v_add_co_ci_u32_e32 v12, vcc_lo, v10, v12, vcc_lo
	s_clause 0x1
	global_load_b64 v[13:14], v[13:14], off
	global_load_b64 v[11:12], v[11:12], off
	s_waitcnt vmcnt(1)
	v_cmp_ne_u64_e32 vcc_lo, s[4:5], v[13:14]
	s_waitcnt vmcnt(0)
	v_cmp_ne_u64_e64 s2, s[4:5], v[11:12]
	v_dual_cndmask_b32 v14, 0, v14 :: v_dual_cndmask_b32 v13, 0, v13
	s_delay_alu instid0(VALU_DEP_2) | instskip(SKIP_1) | instid1(VALU_DEP_3)
	v_cndmask_b32_e64 v12, 0, v12, s2
	v_cndmask_b32_e64 v11, 0, v11, s2
	v_ashrrev_i32_e32 v15, 31, v14
	s_delay_alu instid0(VALU_DEP_4) | instskip(NEXT) | instid1(VALU_DEP_4)
	v_cmp_lt_i64_e32 vcc_lo, -1, v[13:14]
	v_ashrrev_i32_e32 v16, 31, v12
	s_delay_alu instid0(VALU_DEP_3) | instskip(SKIP_2) | instid1(VALU_DEP_4)
	v_xor_b32_e32 v13, v15, v13
	v_cndmask_b32_e64 v17, -1, 0x80000000, vcc_lo
	v_cmp_lt_i64_e32 vcc_lo, -1, v[11:12]
	v_xor_b32_e32 v11, v16, v11
	s_delay_alu instid0(VALU_DEP_3) | instskip(SKIP_1) | instid1(VALU_DEP_1)
	v_xor_b32_e32 v14, v17, v14
	v_cndmask_b32_e64 v18, -1, 0x80000000, vcc_lo
	v_xor_b32_e32 v12, v18, v12
	s_delay_alu instid0(VALU_DEP_1) | instskip(SKIP_2) | instid1(VALU_DEP_2)
	v_cmp_gt_u64_e32 vcc_lo, v[13:14], v[11:12]
	v_add_nc_u32_e32 v11, 1, v4
	v_cndmask_b32_e32 v7, v7, v4, vcc_lo
	v_cndmask_b32_e32 v6, v11, v6, vcc_lo
	s_delay_alu instid0(VALU_DEP_1) | instskip(SKIP_1) | instid1(SALU_CYCLE_1)
	v_cmp_ge_u32_e32 vcc_lo, v6, v7
	s_or_b32 s6, vcc_lo, s6
	s_and_not1_b32 exec_lo, exec_lo, s6
	s_cbranch_execnz .LBB152_3
; %bb.4:
	s_or_b32 exec_lo, exec_lo, s6
.LBB152_5:
	s_delay_alu instid0(SALU_CYCLE_1) | instskip(SKIP_2) | instid1(VALU_DEP_1)
	s_or_b32 exec_lo, exec_lo, s3
	s_load_b64 s[0:1], s[0:1], 0x10
	v_dual_mov_b32 v1, 0 :: v_dual_add_nc_u32 v2, v6, v2
	v_lshlrev_b64 v[0:1], 2, v[0:1]
	s_waitcnt lgkmcnt(0)
	s_delay_alu instid0(VALU_DEP_1) | instskip(NEXT) | instid1(VALU_DEP_2)
	v_add_co_u32 v0, vcc_lo, s0, v0
	v_add_co_ci_u32_e32 v1, vcc_lo, s1, v1, vcc_lo
	global_store_b32 v[0:1], v2, off
.LBB152_6:
	s_nop 0
	s_sendmsg sendmsg(MSG_DEALLOC_VGPRS)
	s_endpgm
	.section	.rodata,"a",@progbits
	.p2align	6, 0x0
	.amdhsa_kernel _ZN7rocprim17ROCPRIM_304000_NS6detail45device_block_merge_mergepath_partition_kernelINS1_37wrapped_merge_sort_block_merge_configINS0_14default_configEdN2at4cuda3cub6detail10OpaqueTypeILi8EEEEEPdjNS1_19radix_merge_compareILb0ELb0EdNS0_19identity_decomposerEEEEEvT0_T1_jPSH_T2_SH_
		.amdhsa_group_segment_fixed_size 0
		.amdhsa_private_segment_fixed_size 0
		.amdhsa_kernarg_size 32
		.amdhsa_user_sgpr_count 15
		.amdhsa_user_sgpr_dispatch_ptr 0
		.amdhsa_user_sgpr_queue_ptr 0
		.amdhsa_user_sgpr_kernarg_segment_ptr 1
		.amdhsa_user_sgpr_dispatch_id 0
		.amdhsa_user_sgpr_private_segment_size 0
		.amdhsa_wavefront_size32 1
		.amdhsa_uses_dynamic_stack 0
		.amdhsa_enable_private_segment 0
		.amdhsa_system_sgpr_workgroup_id_x 1
		.amdhsa_system_sgpr_workgroup_id_y 0
		.amdhsa_system_sgpr_workgroup_id_z 0
		.amdhsa_system_sgpr_workgroup_info 0
		.amdhsa_system_vgpr_workitem_id 0
		.amdhsa_next_free_vgpr 19
		.amdhsa_next_free_sgpr 16
		.amdhsa_reserve_vcc 1
		.amdhsa_float_round_mode_32 0
		.amdhsa_float_round_mode_16_64 0
		.amdhsa_float_denorm_mode_32 3
		.amdhsa_float_denorm_mode_16_64 3
		.amdhsa_dx10_clamp 1
		.amdhsa_ieee_mode 1
		.amdhsa_fp16_overflow 0
		.amdhsa_workgroup_processor_mode 1
		.amdhsa_memory_ordered 1
		.amdhsa_forward_progress 0
		.amdhsa_shared_vgpr_count 0
		.amdhsa_exception_fp_ieee_invalid_op 0
		.amdhsa_exception_fp_denorm_src 0
		.amdhsa_exception_fp_ieee_div_zero 0
		.amdhsa_exception_fp_ieee_overflow 0
		.amdhsa_exception_fp_ieee_underflow 0
		.amdhsa_exception_fp_ieee_inexact 0
		.amdhsa_exception_int_div_zero 0
	.end_amdhsa_kernel
	.section	.text._ZN7rocprim17ROCPRIM_304000_NS6detail45device_block_merge_mergepath_partition_kernelINS1_37wrapped_merge_sort_block_merge_configINS0_14default_configEdN2at4cuda3cub6detail10OpaqueTypeILi8EEEEEPdjNS1_19radix_merge_compareILb0ELb0EdNS0_19identity_decomposerEEEEEvT0_T1_jPSH_T2_SH_,"axG",@progbits,_ZN7rocprim17ROCPRIM_304000_NS6detail45device_block_merge_mergepath_partition_kernelINS1_37wrapped_merge_sort_block_merge_configINS0_14default_configEdN2at4cuda3cub6detail10OpaqueTypeILi8EEEEEPdjNS1_19radix_merge_compareILb0ELb0EdNS0_19identity_decomposerEEEEEvT0_T1_jPSH_T2_SH_,comdat
.Lfunc_end152:
	.size	_ZN7rocprim17ROCPRIM_304000_NS6detail45device_block_merge_mergepath_partition_kernelINS1_37wrapped_merge_sort_block_merge_configINS0_14default_configEdN2at4cuda3cub6detail10OpaqueTypeILi8EEEEEPdjNS1_19radix_merge_compareILb0ELb0EdNS0_19identity_decomposerEEEEEvT0_T1_jPSH_T2_SH_, .Lfunc_end152-_ZN7rocprim17ROCPRIM_304000_NS6detail45device_block_merge_mergepath_partition_kernelINS1_37wrapped_merge_sort_block_merge_configINS0_14default_configEdN2at4cuda3cub6detail10OpaqueTypeILi8EEEEEPdjNS1_19radix_merge_compareILb0ELb0EdNS0_19identity_decomposerEEEEEvT0_T1_jPSH_T2_SH_
                                        ; -- End function
	.section	.AMDGPU.csdata,"",@progbits
; Kernel info:
; codeLenInByte = 584
; NumSgprs: 18
; NumVgprs: 19
; ScratchSize: 0
; MemoryBound: 0
; FloatMode: 240
; IeeeMode: 1
; LDSByteSize: 0 bytes/workgroup (compile time only)
; SGPRBlocks: 2
; VGPRBlocks: 2
; NumSGPRsForWavesPerEU: 18
; NumVGPRsForWavesPerEU: 19
; Occupancy: 16
; WaveLimiterHint : 0
; COMPUTE_PGM_RSRC2:SCRATCH_EN: 0
; COMPUTE_PGM_RSRC2:USER_SGPR: 15
; COMPUTE_PGM_RSRC2:TRAP_HANDLER: 0
; COMPUTE_PGM_RSRC2:TGID_X_EN: 1
; COMPUTE_PGM_RSRC2:TGID_Y_EN: 0
; COMPUTE_PGM_RSRC2:TGID_Z_EN: 0
; COMPUTE_PGM_RSRC2:TIDIG_COMP_CNT: 0
	.section	.text._ZN7rocprim17ROCPRIM_304000_NS6detail35device_block_merge_mergepath_kernelINS1_37wrapped_merge_sort_block_merge_configINS0_14default_configEdN2at4cuda3cub6detail10OpaqueTypeILi8EEEEEPdSC_PSA_SD_jNS1_19radix_merge_compareILb0ELb0EdNS0_19identity_decomposerEEEEEvT0_T1_T2_T3_T4_SL_jT5_PKSL_NS1_7vsmem_tE,"axG",@progbits,_ZN7rocprim17ROCPRIM_304000_NS6detail35device_block_merge_mergepath_kernelINS1_37wrapped_merge_sort_block_merge_configINS0_14default_configEdN2at4cuda3cub6detail10OpaqueTypeILi8EEEEEPdSC_PSA_SD_jNS1_19radix_merge_compareILb0ELb0EdNS0_19identity_decomposerEEEEEvT0_T1_T2_T3_T4_SL_jT5_PKSL_NS1_7vsmem_tE,comdat
	.protected	_ZN7rocprim17ROCPRIM_304000_NS6detail35device_block_merge_mergepath_kernelINS1_37wrapped_merge_sort_block_merge_configINS0_14default_configEdN2at4cuda3cub6detail10OpaqueTypeILi8EEEEEPdSC_PSA_SD_jNS1_19radix_merge_compareILb0ELb0EdNS0_19identity_decomposerEEEEEvT0_T1_T2_T3_T4_SL_jT5_PKSL_NS1_7vsmem_tE ; -- Begin function _ZN7rocprim17ROCPRIM_304000_NS6detail35device_block_merge_mergepath_kernelINS1_37wrapped_merge_sort_block_merge_configINS0_14default_configEdN2at4cuda3cub6detail10OpaqueTypeILi8EEEEEPdSC_PSA_SD_jNS1_19radix_merge_compareILb0ELb0EdNS0_19identity_decomposerEEEEEvT0_T1_T2_T3_T4_SL_jT5_PKSL_NS1_7vsmem_tE
	.globl	_ZN7rocprim17ROCPRIM_304000_NS6detail35device_block_merge_mergepath_kernelINS1_37wrapped_merge_sort_block_merge_configINS0_14default_configEdN2at4cuda3cub6detail10OpaqueTypeILi8EEEEEPdSC_PSA_SD_jNS1_19radix_merge_compareILb0ELb0EdNS0_19identity_decomposerEEEEEvT0_T1_T2_T3_T4_SL_jT5_PKSL_NS1_7vsmem_tE
	.p2align	8
	.type	_ZN7rocprim17ROCPRIM_304000_NS6detail35device_block_merge_mergepath_kernelINS1_37wrapped_merge_sort_block_merge_configINS0_14default_configEdN2at4cuda3cub6detail10OpaqueTypeILi8EEEEEPdSC_PSA_SD_jNS1_19radix_merge_compareILb0ELb0EdNS0_19identity_decomposerEEEEEvT0_T1_T2_T3_T4_SL_jT5_PKSL_NS1_7vsmem_tE,@function
_ZN7rocprim17ROCPRIM_304000_NS6detail35device_block_merge_mergepath_kernelINS1_37wrapped_merge_sort_block_merge_configINS0_14default_configEdN2at4cuda3cub6detail10OpaqueTypeILi8EEEEEPdSC_PSA_SD_jNS1_19radix_merge_compareILb0ELb0EdNS0_19identity_decomposerEEEEEvT0_T1_T2_T3_T4_SL_jT5_PKSL_NS1_7vsmem_tE: ; @_ZN7rocprim17ROCPRIM_304000_NS6detail35device_block_merge_mergepath_kernelINS1_37wrapped_merge_sort_block_merge_configINS0_14default_configEdN2at4cuda3cub6detail10OpaqueTypeILi8EEEEEPdSC_PSA_SD_jNS1_19radix_merge_compareILb0ELb0EdNS0_19identity_decomposerEEEEEvT0_T1_T2_T3_T4_SL_jT5_PKSL_NS1_7vsmem_tE
; %bb.0:
	s_clause 0x1
	s_load_b64 s[2:3], s[0:1], 0x40
	s_load_b128 s[8:11], s[0:1], 0x20
	s_waitcnt lgkmcnt(0)
	s_mul_i32 s3, s3, s15
	s_delay_alu instid0(SALU_CYCLE_1) | instskip(NEXT) | instid1(SALU_CYCLE_1)
	s_add_i32 s3, s3, s14
	s_mul_i32 s2, s3, s2
	s_delay_alu instid0(SALU_CYCLE_1) | instskip(NEXT) | instid1(SALU_CYCLE_1)
	s_add_i32 s14, s2, s13
	s_cmp_ge_u32 s14, s10
	s_cbranch_scc1 .LBB153_40
; %bb.1:
	s_load_b64 s[2:3], s[0:1], 0x30
	s_lshr_b32 s4, s8, 10
	s_mov_b32 s15, 0
	s_cmp_lg_u32 s14, s4
                                        ; implicit-def: $vgpr2_vgpr3
	s_cselect_b32 s11, -1, 0
	s_lshl_b64 s[4:5], s[14:15], 2
	s_waitcnt lgkmcnt(0)
	s_add_u32 s2, s2, s4
	s_addc_u32 s3, s3, s5
	s_load_b64 s[12:13], s[2:3], 0x0
	s_lshr_b32 s2, s9, 9
	s_delay_alu instid0(SALU_CYCLE_1)
	s_and_b32 s10, s2, 0x7ffffe
	s_load_b256 s[0:7], s[0:1], 0x0
	s_sub_i32 s16, 0, s10
	s_lshl_b32 s10, s14, 10
	s_and_b32 s17, s14, s16
	s_or_b32 s16, s14, s16
	s_lshl_b32 s14, s17, 11
	s_lshl_b32 s17, s17, 10
	s_add_i32 s14, s14, s9
	s_sub_i32 s18, s10, s17
	s_sub_i32 s17, s14, s17
	s_add_i32 s14, s14, s18
	s_min_u32 s18, s8, s17
	s_add_i32 s17, s17, s9
	s_waitcnt lgkmcnt(0)
	s_sub_i32 s19, s14, s12
	s_sub_i32 s20, s14, s13
	s_min_u32 s14, s8, s19
	s_addk_i32 s20, 0x400
	s_cmp_eq_u32 s16, -1
	s_cselect_b32 s9, s17, s20
	s_cselect_b32 s13, s18, s13
	s_min_u32 s9, s9, s8
	s_sub_i32 s18, s13, s12
	s_sub_i32 s19, s9, s14
	s_mov_b32 s13, s15
	s_add_i32 s20, s19, s18
	s_delay_alu instid0(SALU_CYCLE_1) | instskip(SKIP_1) | instid1(SALU_CYCLE_1)
	v_cmp_gt_u32_e32 vcc_lo, s20, v0
	s_or_b32 s9, s11, vcc_lo
	s_and_saveexec_b32 s16, s9
	s_delay_alu instid0(SALU_CYCLE_1)
	s_xor_b32 s16, exec_lo, s16
	s_cbranch_execz .LBB153_3
; %bb.2:
	v_dual_mov_b32 v1, 0 :: v_dual_lshlrev_b32 v4, 3, v0
	s_lshl_b64 s[22:23], s[12:13], 3
	v_subrev_nc_u32_e32 v2, s18, v0
	s_add_u32 s17, s0, s22
	s_addc_u32 s21, s1, s23
	v_add_co_u32 v4, s17, s17, v4
	v_mov_b32_e32 v3, v1
	s_lshl_b64 s[22:23], s[14:15], 3
	v_add_co_ci_u32_e64 v5, null, s21, 0, s17
	s_add_u32 s0, s0, s22
	s_delay_alu instid0(VALU_DEP_2) | instskip(SKIP_1) | instid1(VALU_DEP_1)
	v_lshlrev_b64 v[2:3], 3, v[2:3]
	s_addc_u32 s1, s1, s23
	v_add_co_u32 v2, vcc_lo, s0, v2
	s_delay_alu instid0(VALU_DEP_2) | instskip(SKIP_1) | instid1(VALU_DEP_2)
	v_add_co_ci_u32_e32 v3, vcc_lo, s1, v3, vcc_lo
	v_cmp_gt_u32_e32 vcc_lo, s18, v0
	v_dual_cndmask_b32 v2, v2, v4 :: v_dual_cndmask_b32 v3, v3, v5
	global_load_b64 v[2:3], v[2:3], off
.LBB153_3:
	s_and_not1_saveexec_b32 s0, s16
; %bb.4:
	v_mov_b32_e32 v1, 0
                                        ; implicit-def: $vgpr2_vgpr3
; %bb.5:
	s_or_b32 exec_lo, exec_lo, s0
	v_min_u32_e32 v4, s20, v0
	v_lshlrev_b32_e32 v8, 3, v0
	s_mov_b32 s1, exec_lo
	s_delay_alu instid0(VALU_DEP_2)
	v_sub_nc_u32_e64 v6, v4, s19 clamp
	v_min_u32_e32 v5, s18, v4
	s_waitcnt vmcnt(0)
	ds_store_b64 v8, v[2:3]
	s_waitcnt lgkmcnt(0)
	s_barrier
	buffer_gl0_inv
	v_cmpx_lt_u32_e64 v6, v5
	s_cbranch_execz .LBB153_9
; %bb.6:
	v_lshlrev_b32_e32 v7, 3, v4
	s_mov_b32 s16, 0
	s_brev_b32 s17, 1
	s_mov_b32 s21, s16
	s_delay_alu instid0(VALU_DEP_1)
	v_lshl_add_u32 v7, s18, 3, v7
	s_set_inst_prefetch_distance 0x1
	.p2align	6
.LBB153_7:                              ; =>This Inner Loop Header: Depth=1
	v_add_nc_u32_e32 v9, v5, v6
	s_delay_alu instid0(VALU_DEP_1) | instskip(NEXT) | instid1(VALU_DEP_1)
	v_lshrrev_b32_e32 v13, 1, v9
	v_not_b32_e32 v9, v13
	v_lshlrev_b32_e32 v10, 3, v13
	s_delay_alu instid0(VALU_DEP_2)
	v_lshl_add_u32 v11, v9, 3, v7
	ds_load_b64 v[9:10], v10
	ds_load_b64 v[11:12], v11
	s_waitcnt lgkmcnt(1)
	v_cmp_ne_u64_e32 vcc_lo, s[16:17], v[9:10]
	s_waitcnt lgkmcnt(0)
	v_cmp_ne_u64_e64 s0, s[16:17], v[11:12]
	v_dual_cndmask_b32 v10, 0, v10 :: v_dual_cndmask_b32 v9, 0, v9
	s_delay_alu instid0(VALU_DEP_2) | instskip(SKIP_1) | instid1(VALU_DEP_3)
	v_cndmask_b32_e64 v12, 0, v12, s0
	v_cndmask_b32_e64 v11, 0, v11, s0
	v_ashrrev_i32_e32 v14, 31, v10
	s_delay_alu instid0(VALU_DEP_4) | instskip(NEXT) | instid1(VALU_DEP_4)
	v_cmp_lt_i64_e32 vcc_lo, -1, v[9:10]
	v_ashrrev_i32_e32 v15, 31, v12
	s_delay_alu instid0(VALU_DEP_3) | instskip(SKIP_2) | instid1(VALU_DEP_4)
	v_xor_b32_e32 v9, v14, v9
	v_cndmask_b32_e64 v16, -1, 0x80000000, vcc_lo
	v_cmp_lt_i64_e32 vcc_lo, -1, v[11:12]
	v_xor_b32_e32 v11, v15, v11
	s_delay_alu instid0(VALU_DEP_3) | instskip(SKIP_1) | instid1(VALU_DEP_1)
	v_xor_b32_e32 v10, v16, v10
	v_cndmask_b32_e64 v17, -1, 0x80000000, vcc_lo
	v_xor_b32_e32 v12, v17, v12
	s_delay_alu instid0(VALU_DEP_1) | instskip(SKIP_2) | instid1(VALU_DEP_2)
	v_cmp_gt_u64_e32 vcc_lo, v[9:10], v[11:12]
	v_add_nc_u32_e32 v9, 1, v13
	v_cndmask_b32_e32 v5, v5, v13, vcc_lo
	v_cndmask_b32_e32 v6, v9, v6, vcc_lo
	s_delay_alu instid0(VALU_DEP_1) | instskip(SKIP_1) | instid1(SALU_CYCLE_1)
	v_cmp_ge_u32_e32 vcc_lo, v6, v5
	s_or_b32 s21, vcc_lo, s21
	s_and_not1_b32 exec_lo, exec_lo, s21
	s_cbranch_execnz .LBB153_7
; %bb.8:
	s_set_inst_prefetch_distance 0x2
	s_or_b32 exec_lo, exec_lo, s21
.LBB153_9:
	s_delay_alu instid0(SALU_CYCLE_1) | instskip(SKIP_3) | instid1(VALU_DEP_3)
	s_or_b32 exec_lo, exec_lo, s1
	v_sub_nc_u32_e32 v4, v4, v6
	v_cmp_ge_u32_e32 vcc_lo, s18, v6
	v_mov_b32_e32 v9, 0
	v_add_nc_u32_e32 v7, s18, v4
	s_delay_alu instid0(VALU_DEP_1) | instskip(NEXT) | instid1(VALU_DEP_1)
	v_cmp_ge_u32_e64 s0, s20, v7
	s_or_b32 s0, vcc_lo, s0
	s_delay_alu instid0(SALU_CYCLE_1)
	s_and_saveexec_b32 s1, s0
	s_cbranch_execz .LBB153_17
; %bb.10:
	v_cmp_le_u32_e32 vcc_lo, s18, v6
	s_mov_b32 s16, exec_lo
                                        ; implicit-def: $vgpr2_vgpr3
	v_cmpx_gt_u32_e64 s18, v6
	s_cbranch_execz .LBB153_12
; %bb.11:
	v_lshlrev_b32_e32 v2, 3, v6
	ds_load_b64 v[2:3], v2
.LBB153_12:
	s_or_b32 exec_lo, exec_lo, s16
	v_cmp_le_u32_e64 s16, s20, v7
	s_mov_b32 s17, exec_lo
                                        ; implicit-def: $vgpr4_vgpr5
	v_cmpx_gt_u32_e64 s20, v7
	s_cbranch_execz .LBB153_14
; %bb.13:
	v_lshlrev_b32_e32 v4, 3, v7
	ds_load_b64 v[4:5], v4
.LBB153_14:
	s_or_b32 exec_lo, exec_lo, s17
	s_or_b32 s0, vcc_lo, s16
	s_delay_alu instid0(SALU_CYCLE_1) | instskip(NEXT) | instid1(SALU_CYCLE_1)
	s_xor_b32 s0, s0, -1
	s_and_saveexec_b32 s17, s0
	s_cbranch_execz .LBB153_16
; %bb.15:
	s_mov_b32 s20, 0
	s_brev_b32 s21, 1
	s_waitcnt lgkmcnt(0)
	v_cmp_ne_u64_e32 vcc_lo, s[20:21], v[2:3]
	v_cmp_ne_u64_e64 s0, s[20:21], v[4:5]
	v_dual_cndmask_b32 v10, 0, v3 :: v_dual_cndmask_b32 v9, 0, v2
	s_delay_alu instid0(VALU_DEP_2) | instskip(SKIP_2) | instid1(VALU_DEP_3)
	v_cndmask_b32_e64 v12, 0, v5, s0
	v_cndmask_b32_e64 v11, 0, v4, s0
	s_and_not1_b32 s0, s16, exec_lo
	v_ashrrev_i32_e32 v13, 31, v10
	v_cmp_lt_i64_e32 vcc_lo, -1, v[9:10]
	v_ashrrev_i32_e32 v16, 31, v12
	s_delay_alu instid0(VALU_DEP_3) | instskip(SKIP_2) | instid1(VALU_DEP_4)
	v_xor_b32_e32 v9, v13, v9
	v_cndmask_b32_e64 v14, -1, 0x80000000, vcc_lo
	v_cmp_lt_i64_e32 vcc_lo, -1, v[11:12]
	v_xor_b32_e32 v11, v16, v11
	s_delay_alu instid0(VALU_DEP_3) | instskip(SKIP_1) | instid1(VALU_DEP_1)
	v_xor_b32_e32 v10, v14, v10
	v_cndmask_b32_e64 v15, -1, 0x80000000, vcc_lo
	v_xor_b32_e32 v12, v15, v12
	s_delay_alu instid0(VALU_DEP_1) | instskip(SKIP_1) | instid1(SALU_CYCLE_1)
	v_cmp_le_u64_e32 vcc_lo, v[9:10], v[11:12]
	s_and_b32 s16, vcc_lo, exec_lo
	s_or_b32 s16, s0, s16
.LBB153_16:
	s_or_b32 exec_lo, exec_lo, s17
	v_cndmask_b32_e64 v9, v7, v6, s16
	s_waitcnt lgkmcnt(0)
	v_cndmask_b32_e64 v3, v5, v3, s16
	v_cndmask_b32_e64 v2, v4, v2, s16
.LBB153_17:
	s_or_b32 exec_lo, exec_lo, s1
	s_lshl_b64 s[12:13], s[12:13], 3
	v_cmp_le_u32_e64 s0, s18, v0
	s_add_u32 s1, s4, s12
	s_addc_u32 s12, s5, s13
	s_lshl_b64 s[14:15], s[14:15], 3
	s_delay_alu instid0(SALU_CYCLE_1)
	s_add_u32 s13, s4, s14
	s_addc_u32 s5, s5, s15
	s_and_b32 vcc_lo, exec_lo, s11
	s_barrier
	buffer_gl0_inv
	s_cbranch_vccz .LBB153_23
; %bb.18:
                                        ; implicit-def: $vgpr4_vgpr5
	s_and_saveexec_b32 s4, s0
	s_delay_alu instid0(SALU_CYCLE_1)
	s_xor_b32 s4, exec_lo, s4
; %bb.19:
	v_subrev_nc_u32_e32 v4, s18, v0
	v_mov_b32_e32 v5, 0
	s_delay_alu instid0(VALU_DEP_1) | instskip(NEXT) | instid1(VALU_DEP_1)
	v_lshlrev_b64 v[4:5], 3, v[4:5]
	v_add_co_u32 v4, vcc_lo, s13, v4
	s_delay_alu instid0(VALU_DEP_2)
	v_add_co_ci_u32_e32 v5, vcc_lo, s5, v5, vcc_lo
; %bb.20:
	s_and_not1_saveexec_b32 s4, s4
; %bb.21:
	v_lshlrev_b64 v[4:5], 3, v[0:1]
	s_delay_alu instid0(VALU_DEP_1) | instskip(NEXT) | instid1(VALU_DEP_2)
	v_add_co_u32 v4, vcc_lo, s1, v4
	v_add_co_ci_u32_e32 v5, vcc_lo, s12, v5, vcc_lo
; %bb.22:
	s_or_b32 exec_lo, exec_lo, s4
	s_mov_b32 s4, -1
	s_cbranch_execz .LBB153_24
	s_branch .LBB153_31
.LBB153_23:
	s_mov_b32 s4, 0
                                        ; implicit-def: $vgpr4_vgpr5
.LBB153_24:
                                        ; implicit-def: $vgpr4_vgpr5
	s_and_saveexec_b32 s14, s0
	s_delay_alu instid0(SALU_CYCLE_1)
	s_xor_b32 s0, exec_lo, s14
	s_cbranch_execz .LBB153_28
; %bb.25:
	v_subrev_nc_u32_e32 v6, s18, v0
	s_mov_b32 s15, s4
	s_mov_b32 s14, exec_lo
                                        ; implicit-def: $vgpr4_vgpr5
	s_delay_alu instid0(VALU_DEP_1)
	v_cmpx_gt_u32_e64 s19, v6
	s_xor_b32 s14, exec_lo, s14
; %bb.26:
	v_mov_b32_e32 v7, 0
	s_or_b32 s15, s4, exec_lo
	s_delay_alu instid0(VALU_DEP_1) | instskip(NEXT) | instid1(VALU_DEP_1)
	v_lshlrev_b64 v[4:5], 3, v[6:7]
	v_add_co_u32 v4, vcc_lo, s13, v4
	s_delay_alu instid0(VALU_DEP_2)
	v_add_co_ci_u32_e32 v5, vcc_lo, s5, v5, vcc_lo
; %bb.27:
	s_or_b32 exec_lo, exec_lo, s14
	s_delay_alu instid0(SALU_CYCLE_1) | instskip(SKIP_1) | instid1(SALU_CYCLE_1)
	s_and_not1_b32 s4, s4, exec_lo
	s_and_b32 s5, s15, exec_lo
	s_or_b32 s4, s4, s5
.LBB153_28:
	s_and_not1_saveexec_b32 s0, s0
; %bb.29:
	v_lshlrev_b64 v[4:5], 3, v[0:1]
	s_or_b32 s4, s4, exec_lo
	s_delay_alu instid0(VALU_DEP_1) | instskip(NEXT) | instid1(VALU_DEP_2)
	v_add_co_u32 v4, vcc_lo, s1, v4
	v_add_co_ci_u32_e32 v5, vcc_lo, s12, v5, vcc_lo
; %bb.30:
	s_or_b32 exec_lo, exec_lo, s0
.LBB153_31:
	s_and_saveexec_b32 s0, s4
	s_cbranch_execz .LBB153_33
; %bb.32:
	global_load_b64 v[4:5], v[4:5], off
	s_waitcnt vmcnt(0)
	ds_store_b64 v8, v[4:5]
.LBB153_33:
	s_or_b32 exec_lo, exec_lo, s0
	s_waitcnt lgkmcnt(0)
	s_barrier
	buffer_gl0_inv
	s_and_saveexec_b32 s0, s9
	s_cbranch_execz .LBB153_35
; %bb.34:
	v_dual_mov_b32 v7, 0 :: v_dual_lshlrev_b32 v4, 3, v9
	v_or_b32_e32 v6, s10, v0
	ds_load_b64 v[4:5], v4
	v_lshlrev_b64 v[6:7], 3, v[6:7]
	s_delay_alu instid0(VALU_DEP_1) | instskip(NEXT) | instid1(VALU_DEP_2)
	v_add_co_u32 v6, vcc_lo, s6, v6
	v_add_co_ci_u32_e32 v7, vcc_lo, s7, v7, vcc_lo
	s_waitcnt lgkmcnt(0)
	global_store_b64 v[6:7], v[4:5], off
.LBB153_35:
	s_or_b32 exec_lo, exec_lo, s0
	s_delay_alu instid0(SALU_CYCLE_1)
	s_and_b32 vcc_lo, exec_lo, s11
	s_mov_b32 s11, -1
	s_waitcnt_vscnt null, 0x0
	s_barrier
	buffer_gl0_inv
	s_barrier
	buffer_gl0_inv
	s_cbranch_vccz .LBB153_37
; %bb.36:
	ds_store_b64 v8, v[2:3]
	s_waitcnt lgkmcnt(0)
	s_barrier
	buffer_gl0_inv
	ds_load_b64 v[4:5], v8
	s_mov_b32 s11, 0
	v_lshlrev_b64 v[6:7], 3, v[0:1]
	s_lshl_b64 s[0:1], s[10:11], 3
	s_delay_alu instid0(SALU_CYCLE_1) | instskip(SKIP_1) | instid1(VALU_DEP_1)
	s_add_u32 s0, s2, s0
	s_addc_u32 s1, s3, s1
	v_add_co_u32 v6, vcc_lo, s0, v6
	s_delay_alu instid0(VALU_DEP_2)
	v_add_co_ci_u32_e32 v7, vcc_lo, s1, v7, vcc_lo
	s_waitcnt lgkmcnt(0)
	global_store_b64 v[6:7], v[4:5], off
.LBB153_37:
	s_and_not1_b32 vcc_lo, exec_lo, s11
	s_cbranch_vccnz .LBB153_40
; %bb.38:
	s_sub_i32 s0, s8, s10
	ds_store_b64 v8, v[2:3]
	v_cmp_gt_u32_e32 vcc_lo, s0, v0
	s_waitcnt lgkmcnt(0)
	s_waitcnt_vscnt null, 0x0
	s_barrier
	buffer_gl0_inv
	s_and_saveexec_b32 s0, vcc_lo
	s_cbranch_execz .LBB153_40
; %bb.39:
	ds_load_b64 v[2:3], v8
	s_mov_b32 s11, 0
	v_lshlrev_b64 v[0:1], 3, v[0:1]
	s_lshl_b64 s[0:1], s[10:11], 3
	s_delay_alu instid0(SALU_CYCLE_1) | instskip(SKIP_1) | instid1(VALU_DEP_1)
	s_add_u32 s0, s2, s0
	s_addc_u32 s1, s3, s1
	v_add_co_u32 v0, vcc_lo, s0, v0
	s_delay_alu instid0(VALU_DEP_2)
	v_add_co_ci_u32_e32 v1, vcc_lo, s1, v1, vcc_lo
	s_waitcnt lgkmcnt(0)
	global_store_b64 v[0:1], v[2:3], off
.LBB153_40:
	s_nop 0
	s_sendmsg sendmsg(MSG_DEALLOC_VGPRS)
	s_endpgm
	.section	.rodata,"a",@progbits
	.p2align	6, 0x0
	.amdhsa_kernel _ZN7rocprim17ROCPRIM_304000_NS6detail35device_block_merge_mergepath_kernelINS1_37wrapped_merge_sort_block_merge_configINS0_14default_configEdN2at4cuda3cub6detail10OpaqueTypeILi8EEEEEPdSC_PSA_SD_jNS1_19radix_merge_compareILb0ELb0EdNS0_19identity_decomposerEEEEEvT0_T1_T2_T3_T4_SL_jT5_PKSL_NS1_7vsmem_tE
		.amdhsa_group_segment_fixed_size 8208
		.amdhsa_private_segment_fixed_size 0
		.amdhsa_kernarg_size 320
		.amdhsa_user_sgpr_count 13
		.amdhsa_user_sgpr_dispatch_ptr 0
		.amdhsa_user_sgpr_queue_ptr 0
		.amdhsa_user_sgpr_kernarg_segment_ptr 1
		.amdhsa_user_sgpr_dispatch_id 0
		.amdhsa_user_sgpr_private_segment_size 0
		.amdhsa_wavefront_size32 1
		.amdhsa_uses_dynamic_stack 0
		.amdhsa_enable_private_segment 0
		.amdhsa_system_sgpr_workgroup_id_x 1
		.amdhsa_system_sgpr_workgroup_id_y 1
		.amdhsa_system_sgpr_workgroup_id_z 1
		.amdhsa_system_sgpr_workgroup_info 0
		.amdhsa_system_vgpr_workitem_id 0
		.amdhsa_next_free_vgpr 18
		.amdhsa_next_free_sgpr 24
		.amdhsa_reserve_vcc 1
		.amdhsa_float_round_mode_32 0
		.amdhsa_float_round_mode_16_64 0
		.amdhsa_float_denorm_mode_32 3
		.amdhsa_float_denorm_mode_16_64 3
		.amdhsa_dx10_clamp 1
		.amdhsa_ieee_mode 1
		.amdhsa_fp16_overflow 0
		.amdhsa_workgroup_processor_mode 1
		.amdhsa_memory_ordered 1
		.amdhsa_forward_progress 0
		.amdhsa_shared_vgpr_count 0
		.amdhsa_exception_fp_ieee_invalid_op 0
		.amdhsa_exception_fp_denorm_src 0
		.amdhsa_exception_fp_ieee_div_zero 0
		.amdhsa_exception_fp_ieee_overflow 0
		.amdhsa_exception_fp_ieee_underflow 0
		.amdhsa_exception_fp_ieee_inexact 0
		.amdhsa_exception_int_div_zero 0
	.end_amdhsa_kernel
	.section	.text._ZN7rocprim17ROCPRIM_304000_NS6detail35device_block_merge_mergepath_kernelINS1_37wrapped_merge_sort_block_merge_configINS0_14default_configEdN2at4cuda3cub6detail10OpaqueTypeILi8EEEEEPdSC_PSA_SD_jNS1_19radix_merge_compareILb0ELb0EdNS0_19identity_decomposerEEEEEvT0_T1_T2_T3_T4_SL_jT5_PKSL_NS1_7vsmem_tE,"axG",@progbits,_ZN7rocprim17ROCPRIM_304000_NS6detail35device_block_merge_mergepath_kernelINS1_37wrapped_merge_sort_block_merge_configINS0_14default_configEdN2at4cuda3cub6detail10OpaqueTypeILi8EEEEEPdSC_PSA_SD_jNS1_19radix_merge_compareILb0ELb0EdNS0_19identity_decomposerEEEEEvT0_T1_T2_T3_T4_SL_jT5_PKSL_NS1_7vsmem_tE,comdat
.Lfunc_end153:
	.size	_ZN7rocprim17ROCPRIM_304000_NS6detail35device_block_merge_mergepath_kernelINS1_37wrapped_merge_sort_block_merge_configINS0_14default_configEdN2at4cuda3cub6detail10OpaqueTypeILi8EEEEEPdSC_PSA_SD_jNS1_19radix_merge_compareILb0ELb0EdNS0_19identity_decomposerEEEEEvT0_T1_T2_T3_T4_SL_jT5_PKSL_NS1_7vsmem_tE, .Lfunc_end153-_ZN7rocprim17ROCPRIM_304000_NS6detail35device_block_merge_mergepath_kernelINS1_37wrapped_merge_sort_block_merge_configINS0_14default_configEdN2at4cuda3cub6detail10OpaqueTypeILi8EEEEEPdSC_PSA_SD_jNS1_19radix_merge_compareILb0ELb0EdNS0_19identity_decomposerEEEEEvT0_T1_T2_T3_T4_SL_jT5_PKSL_NS1_7vsmem_tE
                                        ; -- End function
	.section	.AMDGPU.csdata,"",@progbits
; Kernel info:
; codeLenInByte = 1668
; NumSgprs: 26
; NumVgprs: 18
; ScratchSize: 0
; MemoryBound: 1
; FloatMode: 240
; IeeeMode: 1
; LDSByteSize: 8208 bytes/workgroup (compile time only)
; SGPRBlocks: 3
; VGPRBlocks: 2
; NumSGPRsForWavesPerEU: 26
; NumVGPRsForWavesPerEU: 18
; Occupancy: 16
; WaveLimiterHint : 1
; COMPUTE_PGM_RSRC2:SCRATCH_EN: 0
; COMPUTE_PGM_RSRC2:USER_SGPR: 13
; COMPUTE_PGM_RSRC2:TRAP_HANDLER: 0
; COMPUTE_PGM_RSRC2:TGID_X_EN: 1
; COMPUTE_PGM_RSRC2:TGID_Y_EN: 1
; COMPUTE_PGM_RSRC2:TGID_Z_EN: 1
; COMPUTE_PGM_RSRC2:TIDIG_COMP_CNT: 0
	.section	.text._ZN7rocprim17ROCPRIM_304000_NS6detail33device_block_merge_oddeven_kernelINS1_37wrapped_merge_sort_block_merge_configINS0_14default_configEdN2at4cuda3cub6detail10OpaqueTypeILi8EEEEEPdSC_PSA_SD_jNS1_19radix_merge_compareILb0ELb0EdNS0_19identity_decomposerEEEEEvT0_T1_T2_T3_T4_SL_T5_,"axG",@progbits,_ZN7rocprim17ROCPRIM_304000_NS6detail33device_block_merge_oddeven_kernelINS1_37wrapped_merge_sort_block_merge_configINS0_14default_configEdN2at4cuda3cub6detail10OpaqueTypeILi8EEEEEPdSC_PSA_SD_jNS1_19radix_merge_compareILb0ELb0EdNS0_19identity_decomposerEEEEEvT0_T1_T2_T3_T4_SL_T5_,comdat
	.protected	_ZN7rocprim17ROCPRIM_304000_NS6detail33device_block_merge_oddeven_kernelINS1_37wrapped_merge_sort_block_merge_configINS0_14default_configEdN2at4cuda3cub6detail10OpaqueTypeILi8EEEEEPdSC_PSA_SD_jNS1_19radix_merge_compareILb0ELb0EdNS0_19identity_decomposerEEEEEvT0_T1_T2_T3_T4_SL_T5_ ; -- Begin function _ZN7rocprim17ROCPRIM_304000_NS6detail33device_block_merge_oddeven_kernelINS1_37wrapped_merge_sort_block_merge_configINS0_14default_configEdN2at4cuda3cub6detail10OpaqueTypeILi8EEEEEPdSC_PSA_SD_jNS1_19radix_merge_compareILb0ELb0EdNS0_19identity_decomposerEEEEEvT0_T1_T2_T3_T4_SL_T5_
	.globl	_ZN7rocprim17ROCPRIM_304000_NS6detail33device_block_merge_oddeven_kernelINS1_37wrapped_merge_sort_block_merge_configINS0_14default_configEdN2at4cuda3cub6detail10OpaqueTypeILi8EEEEEPdSC_PSA_SD_jNS1_19radix_merge_compareILb0ELb0EdNS0_19identity_decomposerEEEEEvT0_T1_T2_T3_T4_SL_T5_
	.p2align	8
	.type	_ZN7rocprim17ROCPRIM_304000_NS6detail33device_block_merge_oddeven_kernelINS1_37wrapped_merge_sort_block_merge_configINS0_14default_configEdN2at4cuda3cub6detail10OpaqueTypeILi8EEEEEPdSC_PSA_SD_jNS1_19radix_merge_compareILb0ELb0EdNS0_19identity_decomposerEEEEEvT0_T1_T2_T3_T4_SL_T5_,@function
_ZN7rocprim17ROCPRIM_304000_NS6detail33device_block_merge_oddeven_kernelINS1_37wrapped_merge_sort_block_merge_configINS0_14default_configEdN2at4cuda3cub6detail10OpaqueTypeILi8EEEEEPdSC_PSA_SD_jNS1_19radix_merge_compareILb0ELb0EdNS0_19identity_decomposerEEEEEvT0_T1_T2_T3_T4_SL_T5_: ; @_ZN7rocprim17ROCPRIM_304000_NS6detail33device_block_merge_oddeven_kernelINS1_37wrapped_merge_sort_block_merge_configINS0_14default_configEdN2at4cuda3cub6detail10OpaqueTypeILi8EEEEEPdSC_PSA_SD_jNS1_19radix_merge_compareILb0ELb0EdNS0_19identity_decomposerEEEEEvT0_T1_T2_T3_T4_SL_T5_
; %bb.0:
	s_load_b64 s[16:17], s[0:1], 0x20
	s_waitcnt lgkmcnt(0)
	s_lshr_b32 s2, s16, 8
	s_delay_alu instid0(SALU_CYCLE_1) | instskip(SKIP_4) | instid1(SALU_CYCLE_1)
	s_cmp_lg_u32 s15, s2
	s_cselect_b32 s4, -1, 0
	s_cmp_eq_u32 s15, s2
	s_cselect_b32 s3, -1, 0
	s_lshl_b32 s12, s15, 8
	s_sub_i32 s2, s16, s12
	s_delay_alu instid0(SALU_CYCLE_1) | instskip(NEXT) | instid1(VALU_DEP_1)
	v_cmp_gt_u32_e64 s2, s2, v0
	s_or_b32 s4, s4, s2
	s_delay_alu instid0(SALU_CYCLE_1)
	s_and_saveexec_b32 s5, s4
	s_cbranch_execz .LBB154_26
; %bb.1:
	s_load_b256 s[4:11], s[0:1], 0x0
	s_mov_b32 s13, 0
	v_lshlrev_b32_e32 v3, 3, v0
	s_lshl_b64 s[0:1], s[12:13], 3
	v_add_nc_u32_e32 v7, s12, v0
	s_waitcnt lgkmcnt(0)
	s_add_u32 s18, s4, s0
	s_addc_u32 s19, s5, s1
	s_add_u32 s0, s8, s0
	s_addc_u32 s1, s9, s1
	s_clause 0x1
	global_load_b64 v[1:2], v3, s[0:1]
	global_load_b64 v[3:4], v3, s[18:19]
	s_lshr_b32 s0, s17, 8
	s_delay_alu instid0(SALU_CYCLE_1) | instskip(NEXT) | instid1(SALU_CYCLE_1)
	s_sub_i32 s1, 0, s0
	s_and_b32 s1, s15, s1
	s_delay_alu instid0(SALU_CYCLE_1) | instskip(SKIP_4) | instid1(SALU_CYCLE_1)
	s_and_b32 s0, s1, s0
	s_lshl_b32 s9, s1, 8
	s_sub_i32 s1, 0, s17
	s_cmp_eq_u32 s0, 0
	s_cselect_b32 s0, -1, 0
	s_and_b32 s8, s0, exec_lo
	s_cselect_b32 s1, s17, s1
	s_delay_alu instid0(SALU_CYCLE_1) | instskip(NEXT) | instid1(SALU_CYCLE_1)
	s_add_i32 s1, s1, s9
	s_cmp_lt_u32 s1, s16
	s_cbranch_scc1 .LBB154_6
; %bb.2:
	s_and_b32 vcc_lo, exec_lo, s3
	s_cbranch_vccz .LBB154_7
; %bb.3:
	s_mov_b32 s8, 0
	s_mov_b32 s12, exec_lo
                                        ; implicit-def: $vgpr5_vgpr6
	v_cmpx_gt_u32_e64 s16, v7
	s_cbranch_execz .LBB154_5
; %bb.4:
	v_mov_b32_e32 v8, 0
	s_mov_b32 s13, exec_lo
	s_delay_alu instid0(VALU_DEP_1) | instskip(NEXT) | instid1(VALU_DEP_1)
	v_lshlrev_b64 v[5:6], 3, v[7:8]
	v_add_co_u32 v8, vcc_lo, s6, v5
	s_delay_alu instid0(VALU_DEP_2)
	v_add_co_ci_u32_e32 v9, vcc_lo, s7, v6, vcc_lo
	v_add_co_u32 v5, vcc_lo, s10, v5
	v_add_co_ci_u32_e32 v6, vcc_lo, s11, v6, vcc_lo
	s_waitcnt vmcnt(0)
	global_store_b64 v[8:9], v[3:4], off
.LBB154_5:
	s_or_b32 exec_lo, exec_lo, s12
	s_delay_alu instid0(SALU_CYCLE_1)
	s_and_b32 vcc_lo, exec_lo, s8
	s_cbranch_vccnz .LBB154_8
	s_branch .LBB154_9
.LBB154_6:
                                        ; implicit-def: $vgpr5_vgpr6
	s_cbranch_execnz .LBB154_10
	s_branch .LBB154_24
.LBB154_7:
                                        ; implicit-def: $vgpr5_vgpr6
	s_cbranch_execz .LBB154_9
.LBB154_8:
	v_mov_b32_e32 v8, 0
	s_or_b32 s13, s13, exec_lo
	s_delay_alu instid0(VALU_DEP_1) | instskip(NEXT) | instid1(VALU_DEP_1)
	v_lshlrev_b64 v[5:6], 3, v[7:8]
	v_add_co_u32 v8, vcc_lo, s6, v5
	s_delay_alu instid0(VALU_DEP_2)
	v_add_co_ci_u32_e32 v9, vcc_lo, s7, v6, vcc_lo
	v_add_co_u32 v5, vcc_lo, s10, v5
	v_add_co_ci_u32_e32 v6, vcc_lo, s11, v6, vcc_lo
	s_waitcnt vmcnt(0)
	global_store_b64 v[8:9], v[3:4], off
.LBB154_9:
	s_branch .LBB154_24
.LBB154_10:
	s_min_u32 s8, s1, s16
	s_and_b32 vcc_lo, exec_lo, s3
	s_add_i32 s12, s9, s8
	s_min_u32 s9, s9, s8
	v_subrev_nc_u32_e32 v0, s12, v7
	s_add_i32 s12, s8, s17
	s_delay_alu instid0(VALU_DEP_1)
	v_add_nc_u32_e32 v0, s9, v0
	s_min_u32 s9, s12, s16
	s_cbranch_vccz .LBB154_18
; %bb.11:
                                        ; implicit-def: $vgpr5_vgpr6
	s_and_saveexec_b32 s12, s2
	s_cbranch_execz .LBB154_17
; %bb.12:
	v_mov_b32_e32 v9, s8
	s_cmp_ge_u32 s1, s9
	s_cbranch_scc1 .LBB154_16
; %bb.13:
	s_mov_b32 s2, 0
	s_brev_b32 s3, 1
	v_dual_mov_b32 v10, s9 :: v_dual_mov_b32 v9, s8
	s_waitcnt vmcnt(0)
	v_cmp_ne_u64_e32 vcc_lo, s[2:3], v[3:4]
	s_mov_b32 s14, s2
	v_dual_cndmask_b32 v6, 0, v4 :: v_dual_cndmask_b32 v5, 0, v3
	s_delay_alu instid0(VALU_DEP_1) | instskip(NEXT) | instid1(VALU_DEP_2)
	v_ashrrev_i32_e32 v7, 31, v6
	v_cmp_lt_i64_e32 vcc_lo, -1, v[5:6]
	s_delay_alu instid0(VALU_DEP_2) | instskip(SKIP_1) | instid1(VALU_DEP_1)
	v_xor_b32_e32 v5, v7, v5
	v_cndmask_b32_e64 v8, -1, 0x80000000, vcc_lo
	v_xor_b32_e32 v6, v8, v6
	v_mov_b32_e32 v8, 0
	s_set_inst_prefetch_distance 0x1
	.p2align	6
.LBB154_14:                             ; =>This Inner Loop Header: Depth=1
	v_add_nc_u32_e32 v7, v9, v10
	s_delay_alu instid0(VALU_DEP_1) | instskip(NEXT) | instid1(VALU_DEP_1)
	v_lshrrev_b32_e32 v7, 1, v7
	v_lshlrev_b64 v[11:12], 3, v[7:8]
	s_delay_alu instid0(VALU_DEP_1) | instskip(NEXT) | instid1(VALU_DEP_2)
	v_add_co_u32 v11, vcc_lo, s4, v11
	v_add_co_ci_u32_e32 v12, vcc_lo, s5, v12, vcc_lo
	global_load_b64 v[11:12], v[11:12], off
	s_waitcnt vmcnt(0)
	v_cmp_ne_u64_e32 vcc_lo, s[2:3], v[11:12]
	v_dual_cndmask_b32 v12, 0, v12 :: v_dual_cndmask_b32 v11, 0, v11
	s_delay_alu instid0(VALU_DEP_1) | instskip(NEXT) | instid1(VALU_DEP_2)
	v_ashrrev_i32_e32 v13, 31, v12
	v_cmp_lt_i64_e32 vcc_lo, -1, v[11:12]
	s_delay_alu instid0(VALU_DEP_2) | instskip(SKIP_1) | instid1(VALU_DEP_1)
	v_xor_b32_e32 v11, v13, v11
	v_cndmask_b32_e64 v14, -1, 0x80000000, vcc_lo
	v_xor_b32_e32 v12, v14, v12
	s_delay_alu instid0(VALU_DEP_1) | instskip(SKIP_4) | instid1(VALU_DEP_1)
	v_cmp_gt_u64_e32 vcc_lo, v[5:6], v[11:12]
	v_cndmask_b32_e64 v13, 0, 1, vcc_lo
	v_cmp_le_u64_e32 vcc_lo, v[11:12], v[5:6]
	v_add_nc_u32_e32 v12, 1, v7
	v_cndmask_b32_e64 v11, 0, 1, vcc_lo
	v_cndmask_b32_e64 v11, v11, v13, s0
	s_delay_alu instid0(VALU_DEP_1) | instskip(NEXT) | instid1(VALU_DEP_1)
	v_and_b32_e32 v11, 1, v11
	v_cmp_eq_u32_e32 vcc_lo, 1, v11
	v_dual_cndmask_b32 v10, v7, v10 :: v_dual_cndmask_b32 v9, v9, v12
	s_delay_alu instid0(VALU_DEP_1) | instskip(SKIP_1) | instid1(SALU_CYCLE_1)
	v_cmp_ge_u32_e32 vcc_lo, v9, v10
	s_or_b32 s14, vcc_lo, s14
	s_and_not1_b32 exec_lo, exec_lo, s14
	s_cbranch_execnz .LBB154_14
; %bb.15:
	s_set_inst_prefetch_distance 0x2
	s_or_b32 exec_lo, exec_lo, s14
.LBB154_16:
	s_delay_alu instid0(VALU_DEP_1) | instskip(SKIP_1) | instid1(VALU_DEP_1)
	v_dual_mov_b32 v6, 0 :: v_dual_add_nc_u32 v5, v9, v0
	s_or_b32 s13, s13, exec_lo
	v_lshlrev_b64 v[5:6], 3, v[5:6]
	s_delay_alu instid0(VALU_DEP_1) | instskip(NEXT) | instid1(VALU_DEP_2)
	v_add_co_u32 v7, vcc_lo, s6, v5
	v_add_co_ci_u32_e32 v8, vcc_lo, s7, v6, vcc_lo
	v_add_co_u32 v5, vcc_lo, s10, v5
	v_add_co_ci_u32_e32 v6, vcc_lo, s11, v6, vcc_lo
	s_waitcnt vmcnt(0)
	global_store_b64 v[7:8], v[3:4], off
.LBB154_17:
	s_or_b32 exec_lo, exec_lo, s12
	s_branch .LBB154_24
.LBB154_18:
                                        ; implicit-def: $vgpr5_vgpr6
	s_cbranch_execz .LBB154_24
; %bb.19:
	v_mov_b32_e32 v9, s8
	s_cmp_ge_u32 s1, s9
	s_cbranch_scc1 .LBB154_23
; %bb.20:
	s_mov_b32 s2, 0
	s_brev_b32 s3, 1
	v_dual_mov_b32 v10, s9 :: v_dual_mov_b32 v9, s8
	s_waitcnt vmcnt(0)
	v_cmp_ne_u64_e32 vcc_lo, s[2:3], v[3:4]
	s_mov_b32 s1, s2
	v_dual_cndmask_b32 v6, 0, v4 :: v_dual_cndmask_b32 v5, 0, v3
	s_delay_alu instid0(VALU_DEP_1) | instskip(NEXT) | instid1(VALU_DEP_2)
	v_ashrrev_i32_e32 v7, 31, v6
	v_cmp_lt_i64_e32 vcc_lo, -1, v[5:6]
	s_delay_alu instid0(VALU_DEP_2) | instskip(SKIP_1) | instid1(VALU_DEP_1)
	v_xor_b32_e32 v5, v7, v5
	v_cndmask_b32_e64 v8, -1, 0x80000000, vcc_lo
	v_xor_b32_e32 v6, v8, v6
	v_mov_b32_e32 v8, 0
	s_set_inst_prefetch_distance 0x1
	.p2align	6
.LBB154_21:                             ; =>This Inner Loop Header: Depth=1
	v_add_nc_u32_e32 v7, v9, v10
	s_delay_alu instid0(VALU_DEP_1) | instskip(NEXT) | instid1(VALU_DEP_1)
	v_lshrrev_b32_e32 v7, 1, v7
	v_lshlrev_b64 v[11:12], 3, v[7:8]
	s_delay_alu instid0(VALU_DEP_1) | instskip(NEXT) | instid1(VALU_DEP_2)
	v_add_co_u32 v11, vcc_lo, s4, v11
	v_add_co_ci_u32_e32 v12, vcc_lo, s5, v12, vcc_lo
	global_load_b64 v[11:12], v[11:12], off
	s_waitcnt vmcnt(0)
	v_cmp_ne_u64_e32 vcc_lo, s[2:3], v[11:12]
	v_dual_cndmask_b32 v12, 0, v12 :: v_dual_cndmask_b32 v11, 0, v11
	s_delay_alu instid0(VALU_DEP_1) | instskip(NEXT) | instid1(VALU_DEP_2)
	v_ashrrev_i32_e32 v13, 31, v12
	v_cmp_lt_i64_e32 vcc_lo, -1, v[11:12]
	s_delay_alu instid0(VALU_DEP_2) | instskip(SKIP_1) | instid1(VALU_DEP_1)
	v_xor_b32_e32 v11, v13, v11
	v_cndmask_b32_e64 v14, -1, 0x80000000, vcc_lo
	v_xor_b32_e32 v12, v14, v12
	s_delay_alu instid0(VALU_DEP_1) | instskip(SKIP_4) | instid1(VALU_DEP_1)
	v_cmp_gt_u64_e32 vcc_lo, v[5:6], v[11:12]
	v_cndmask_b32_e64 v13, 0, 1, vcc_lo
	v_cmp_le_u64_e32 vcc_lo, v[11:12], v[5:6]
	v_add_nc_u32_e32 v12, 1, v7
	v_cndmask_b32_e64 v11, 0, 1, vcc_lo
	v_cndmask_b32_e64 v11, v11, v13, s0
	s_delay_alu instid0(VALU_DEP_1) | instskip(NEXT) | instid1(VALU_DEP_1)
	v_and_b32_e32 v11, 1, v11
	v_cmp_eq_u32_e32 vcc_lo, 1, v11
	v_dual_cndmask_b32 v10, v7, v10 :: v_dual_cndmask_b32 v9, v9, v12
	s_delay_alu instid0(VALU_DEP_1) | instskip(SKIP_1) | instid1(SALU_CYCLE_1)
	v_cmp_ge_u32_e32 vcc_lo, v9, v10
	s_or_b32 s1, vcc_lo, s1
	s_and_not1_b32 exec_lo, exec_lo, s1
	s_cbranch_execnz .LBB154_21
; %bb.22:
	s_set_inst_prefetch_distance 0x2
	s_or_b32 exec_lo, exec_lo, s1
.LBB154_23:
	s_delay_alu instid0(VALU_DEP_1) | instskip(SKIP_1) | instid1(VALU_DEP_1)
	v_dual_mov_b32 v6, 0 :: v_dual_add_nc_u32 v5, v9, v0
	s_mov_b32 s13, -1
	v_lshlrev_b64 v[5:6], 3, v[5:6]
	s_delay_alu instid0(VALU_DEP_1) | instskip(NEXT) | instid1(VALU_DEP_2)
	v_add_co_u32 v7, vcc_lo, s6, v5
	v_add_co_ci_u32_e32 v8, vcc_lo, s7, v6, vcc_lo
	v_add_co_u32 v5, vcc_lo, s10, v5
	v_add_co_ci_u32_e32 v6, vcc_lo, s11, v6, vcc_lo
	s_waitcnt vmcnt(0)
	global_store_b64 v[7:8], v[3:4], off
.LBB154_24:
	s_and_b32 exec_lo, exec_lo, s13
	s_cbranch_execz .LBB154_26
; %bb.25:
	s_waitcnt vmcnt(1)
	global_store_b64 v[5:6], v[1:2], off
.LBB154_26:
	s_nop 0
	s_sendmsg sendmsg(MSG_DEALLOC_VGPRS)
	s_endpgm
	.section	.rodata,"a",@progbits
	.p2align	6, 0x0
	.amdhsa_kernel _ZN7rocprim17ROCPRIM_304000_NS6detail33device_block_merge_oddeven_kernelINS1_37wrapped_merge_sort_block_merge_configINS0_14default_configEdN2at4cuda3cub6detail10OpaqueTypeILi8EEEEEPdSC_PSA_SD_jNS1_19radix_merge_compareILb0ELb0EdNS0_19identity_decomposerEEEEEvT0_T1_T2_T3_T4_SL_T5_
		.amdhsa_group_segment_fixed_size 0
		.amdhsa_private_segment_fixed_size 0
		.amdhsa_kernarg_size 44
		.amdhsa_user_sgpr_count 15
		.amdhsa_user_sgpr_dispatch_ptr 0
		.amdhsa_user_sgpr_queue_ptr 0
		.amdhsa_user_sgpr_kernarg_segment_ptr 1
		.amdhsa_user_sgpr_dispatch_id 0
		.amdhsa_user_sgpr_private_segment_size 0
		.amdhsa_wavefront_size32 1
		.amdhsa_uses_dynamic_stack 0
		.amdhsa_enable_private_segment 0
		.amdhsa_system_sgpr_workgroup_id_x 1
		.amdhsa_system_sgpr_workgroup_id_y 0
		.amdhsa_system_sgpr_workgroup_id_z 0
		.amdhsa_system_sgpr_workgroup_info 0
		.amdhsa_system_vgpr_workitem_id 0
		.amdhsa_next_free_vgpr 15
		.amdhsa_next_free_sgpr 20
		.amdhsa_reserve_vcc 1
		.amdhsa_float_round_mode_32 0
		.amdhsa_float_round_mode_16_64 0
		.amdhsa_float_denorm_mode_32 3
		.amdhsa_float_denorm_mode_16_64 3
		.amdhsa_dx10_clamp 1
		.amdhsa_ieee_mode 1
		.amdhsa_fp16_overflow 0
		.amdhsa_workgroup_processor_mode 1
		.amdhsa_memory_ordered 1
		.amdhsa_forward_progress 0
		.amdhsa_shared_vgpr_count 0
		.amdhsa_exception_fp_ieee_invalid_op 0
		.amdhsa_exception_fp_denorm_src 0
		.amdhsa_exception_fp_ieee_div_zero 0
		.amdhsa_exception_fp_ieee_overflow 0
		.amdhsa_exception_fp_ieee_underflow 0
		.amdhsa_exception_fp_ieee_inexact 0
		.amdhsa_exception_int_div_zero 0
	.end_amdhsa_kernel
	.section	.text._ZN7rocprim17ROCPRIM_304000_NS6detail33device_block_merge_oddeven_kernelINS1_37wrapped_merge_sort_block_merge_configINS0_14default_configEdN2at4cuda3cub6detail10OpaqueTypeILi8EEEEEPdSC_PSA_SD_jNS1_19radix_merge_compareILb0ELb0EdNS0_19identity_decomposerEEEEEvT0_T1_T2_T3_T4_SL_T5_,"axG",@progbits,_ZN7rocprim17ROCPRIM_304000_NS6detail33device_block_merge_oddeven_kernelINS1_37wrapped_merge_sort_block_merge_configINS0_14default_configEdN2at4cuda3cub6detail10OpaqueTypeILi8EEEEEPdSC_PSA_SD_jNS1_19radix_merge_compareILb0ELb0EdNS0_19identity_decomposerEEEEEvT0_T1_T2_T3_T4_SL_T5_,comdat
.Lfunc_end154:
	.size	_ZN7rocprim17ROCPRIM_304000_NS6detail33device_block_merge_oddeven_kernelINS1_37wrapped_merge_sort_block_merge_configINS0_14default_configEdN2at4cuda3cub6detail10OpaqueTypeILi8EEEEEPdSC_PSA_SD_jNS1_19radix_merge_compareILb0ELb0EdNS0_19identity_decomposerEEEEEvT0_T1_T2_T3_T4_SL_T5_, .Lfunc_end154-_ZN7rocprim17ROCPRIM_304000_NS6detail33device_block_merge_oddeven_kernelINS1_37wrapped_merge_sort_block_merge_configINS0_14default_configEdN2at4cuda3cub6detail10OpaqueTypeILi8EEEEEPdSC_PSA_SD_jNS1_19radix_merge_compareILb0ELb0EdNS0_19identity_decomposerEEEEEvT0_T1_T2_T3_T4_SL_T5_
                                        ; -- End function
	.section	.AMDGPU.csdata,"",@progbits
; Kernel info:
; codeLenInByte = 1156
; NumSgprs: 22
; NumVgprs: 15
; ScratchSize: 0
; MemoryBound: 0
; FloatMode: 240
; IeeeMode: 1
; LDSByteSize: 0 bytes/workgroup (compile time only)
; SGPRBlocks: 2
; VGPRBlocks: 1
; NumSGPRsForWavesPerEU: 22
; NumVGPRsForWavesPerEU: 15
; Occupancy: 16
; WaveLimiterHint : 0
; COMPUTE_PGM_RSRC2:SCRATCH_EN: 0
; COMPUTE_PGM_RSRC2:USER_SGPR: 15
; COMPUTE_PGM_RSRC2:TRAP_HANDLER: 0
; COMPUTE_PGM_RSRC2:TGID_X_EN: 1
; COMPUTE_PGM_RSRC2:TGID_Y_EN: 0
; COMPUTE_PGM_RSRC2:TGID_Z_EN: 0
; COMPUTE_PGM_RSRC2:TIDIG_COMP_CNT: 0
	.section	.text._ZN7rocprim17ROCPRIM_304000_NS6detail26onesweep_histograms_kernelINS1_34wrapped_radix_sort_onesweep_configINS0_14default_configEdN2at4cuda3cub6detail10OpaqueTypeILi8EEEEELb0EPKdmNS0_19identity_decomposerEEEvT1_PT2_SG_SG_T3_jj,"axG",@progbits,_ZN7rocprim17ROCPRIM_304000_NS6detail26onesweep_histograms_kernelINS1_34wrapped_radix_sort_onesweep_configINS0_14default_configEdN2at4cuda3cub6detail10OpaqueTypeILi8EEEEELb0EPKdmNS0_19identity_decomposerEEEvT1_PT2_SG_SG_T3_jj,comdat
	.protected	_ZN7rocprim17ROCPRIM_304000_NS6detail26onesweep_histograms_kernelINS1_34wrapped_radix_sort_onesweep_configINS0_14default_configEdN2at4cuda3cub6detail10OpaqueTypeILi8EEEEELb0EPKdmNS0_19identity_decomposerEEEvT1_PT2_SG_SG_T3_jj ; -- Begin function _ZN7rocprim17ROCPRIM_304000_NS6detail26onesweep_histograms_kernelINS1_34wrapped_radix_sort_onesweep_configINS0_14default_configEdN2at4cuda3cub6detail10OpaqueTypeILi8EEEEELb0EPKdmNS0_19identity_decomposerEEEvT1_PT2_SG_SG_T3_jj
	.globl	_ZN7rocprim17ROCPRIM_304000_NS6detail26onesweep_histograms_kernelINS1_34wrapped_radix_sort_onesweep_configINS0_14default_configEdN2at4cuda3cub6detail10OpaqueTypeILi8EEEEELb0EPKdmNS0_19identity_decomposerEEEvT1_PT2_SG_SG_T3_jj
	.p2align	8
	.type	_ZN7rocprim17ROCPRIM_304000_NS6detail26onesweep_histograms_kernelINS1_34wrapped_radix_sort_onesweep_configINS0_14default_configEdN2at4cuda3cub6detail10OpaqueTypeILi8EEEEELb0EPKdmNS0_19identity_decomposerEEEvT1_PT2_SG_SG_T3_jj,@function
_ZN7rocprim17ROCPRIM_304000_NS6detail26onesweep_histograms_kernelINS1_34wrapped_radix_sort_onesweep_configINS0_14default_configEdN2at4cuda3cub6detail10OpaqueTypeILi8EEEEELb0EPKdmNS0_19identity_decomposerEEEvT1_PT2_SG_SG_T3_jj: ; @_ZN7rocprim17ROCPRIM_304000_NS6detail26onesweep_histograms_kernelINS1_34wrapped_radix_sort_onesweep_configINS0_14default_configEdN2at4cuda3cub6detail10OpaqueTypeILi8EEEEELb0EPKdmNS0_19identity_decomposerEEEvT1_PT2_SG_SG_T3_jj
; %bb.0:
	s_clause 0x1
	s_load_b256 s[4:11], s[0:1], 0x0
	s_load_b64 s[12:13], s[0:1], 0x24
	s_mov_b32 s2, s15
	s_mov_b32 s3, 0
	v_lshlrev_b32_e32 v12, 3, v0
	s_lshl_b64 s[0:1], s[2:3], 15
	s_waitcnt lgkmcnt(0)
	v_cmp_ge_u64_e64 s9, s[2:3], s[10:11]
	s_add_u32 s4, s4, s0
	s_addc_u32 s5, s5, s1
	s_mov_b32 s0, -1
	s_delay_alu instid0(VALU_DEP_1)
	s_and_b32 vcc_lo, exec_lo, s9
	s_cbranch_vccz .LBB155_32
; %bb.1:
	s_lshl_b32 s0, s10, 12
                                        ; implicit-def: $vgpr1_vgpr2_vgpr3_vgpr4_vgpr5_vgpr6_vgpr7_vgpr8
	s_delay_alu instid0(SALU_CYCLE_1) | instskip(SKIP_1) | instid1(VALU_DEP_1)
	s_sub_i32 s3, s8, s0
	v_add_co_u32 v9, s0, s4, v12
	v_add_co_ci_u32_e64 v10, null, s5, 0, s0
	v_cmp_gt_u32_e64 s2, s3, v0
	s_delay_alu instid0(VALU_DEP_1)
	s_and_saveexec_b32 s0, s2
	s_cbranch_execz .LBB155_3
; %bb.2:
	global_load_b64 v[1:2], v[9:10], off
.LBB155_3:
	s_or_b32 exec_lo, exec_lo, s0
	v_or_b32_e32 v11, 0x400, v0
	s_delay_alu instid0(VALU_DEP_1) | instskip(NEXT) | instid1(VALU_DEP_1)
	v_cmp_gt_u32_e64 s1, s3, v11
	s_and_saveexec_b32 s0, s1
	s_cbranch_execz .LBB155_5
; %bb.4:
	v_add_co_u32 v3, vcc_lo, 0x2000, v9
	v_add_co_ci_u32_e32 v4, vcc_lo, 0, v10, vcc_lo
	global_load_b64 v[3:4], v[3:4], off
.LBB155_5:
	s_or_b32 exec_lo, exec_lo, s0
	v_or_b32_e32 v11, 0x800, v0
	s_delay_alu instid0(VALU_DEP_1) | instskip(NEXT) | instid1(VALU_DEP_1)
	v_cmp_gt_u32_e64 s0, s3, v11
	s_and_saveexec_b32 s8, s0
	s_cbranch_execz .LBB155_7
; %bb.6:
	v_add_co_u32 v5, vcc_lo, 0x4000, v9
	v_add_co_ci_u32_e32 v6, vcc_lo, 0, v10, vcc_lo
	global_load_b64 v[5:6], v[5:6], off
.LBB155_7:
	s_or_b32 exec_lo, exec_lo, s8
	v_or_b32_e32 v11, 0xc00, v0
	s_delay_alu instid0(VALU_DEP_1)
	v_cmp_gt_u32_e32 vcc_lo, s3, v11
	s_and_saveexec_b32 s8, vcc_lo
	s_cbranch_execz .LBB155_9
; %bb.8:
	v_add_co_u32 v7, s3, 0x6000, v9
	s_delay_alu instid0(VALU_DEP_1)
	v_add_co_ci_u32_e64 v8, s3, 0, v10, s3
	global_load_b64 v[7:8], v[7:8], off
.LBB155_9:
	s_or_b32 exec_lo, exec_lo, s8
	v_dual_mov_b32 v10, 0 :: v_dual_lshlrev_b32 v9, 2, v0
	s_cmp_gt_u32 s13, s12
	ds_store_2addr_stride64_b32 v9, v10, v10 offset1:16
	ds_store_2addr_stride64_b32 v9, v10, v10 offset0:32 offset1:48
	ds_store_2addr_stride64_b32 v9, v10, v10 offset0:64 offset1:80
	;; [unrolled: 1-line block ×3, first 2 shown]
	s_cselect_b32 s8, -1, 0
	s_cmp_le_u32 s13, s12
	s_waitcnt vmcnt(0) lgkmcnt(0)
	s_barrier
	buffer_gl0_inv
	s_cbranch_scc1 .LBB155_26
; %bb.10:
	v_cmp_lt_i64_e64 s3, -1, v[1:2]
	v_ashrrev_i32_e32 v10, 31, v2
	s_mov_b32 s10, -1
	s_brev_b32 s11, -2
	s_sub_i32 s9, s13, s12
	s_delay_alu instid0(VALU_DEP_1) | instskip(SKIP_2) | instid1(VALU_DEP_2)
	v_xor_b32_e32 v1, v10, v1
	v_cndmask_b32_e64 v9, -1, 0x80000000, s3
	v_mov_b32_e32 v10, 1
	v_xor_b32_e32 v2, v9, v2
	v_and_b32_e32 v9, 3, v0
	s_delay_alu instid0(VALU_DEP_2) | instskip(NEXT) | instid1(VALU_DEP_2)
	v_cmp_ne_u64_e64 s3, s[10:11], v[1:2]
	v_lshlrev_b32_e32 v9, 2, v9
	s_mov_b32 s10, s12
	s_delay_alu instid0(VALU_DEP_1) | instskip(NEXT) | instid1(VALU_DEP_3)
	v_mov_b32_e32 v11, v9
	v_cndmask_b32_e64 v2, 0x80000000, v2, s3
	v_cndmask_b32_e64 v1, 0, v1, s3
	s_mov_b32 s3, s9
	s_branch .LBB155_12
	.p2align	6
.LBB155_11:                             ;   in Loop: Header=BB155_12 Depth=1
	s_or_b32 exec_lo, exec_lo, s11
	v_add_nc_u32_e32 v11, 0x1000, v11
	s_add_i32 s10, s10, 8
	s_add_i32 s3, s3, -8
	s_cmp_ge_u32 s10, s13
	s_cbranch_scc1 .LBB155_14
.LBB155_12:                             ; =>This Inner Loop Header: Depth=1
	s_and_saveexec_b32 s11, s2
	s_cbranch_execz .LBB155_11
; %bb.13:                               ;   in Loop: Header=BB155_12 Depth=1
	v_lshrrev_b64 v[13:14], s10, v[1:2]
	s_min_u32 s14, s3, 8
	s_delay_alu instid0(VALU_DEP_1) | instid1(SALU_CYCLE_1)
	v_bfe_u32 v13, v13, 0, s14
	s_delay_alu instid0(VALU_DEP_1)
	v_lshl_add_u32 v13, v13, 4, v11
	ds_add_u32 v13, v10
	s_branch .LBB155_11
.LBB155_14:
	v_cmp_lt_i64_e64 s2, -1, v[3:4]
	v_ashrrev_i32_e32 v10, 31, v4
	s_delay_alu instid0(VALU_DEP_2) | instskip(SKIP_2) | instid1(VALU_DEP_1)
	v_cndmask_b32_e64 v1, -1, 0x80000000, s2
	s_mov_b32 s2, -1
	s_brev_b32 s3, -2
	v_xor_b32_e32 v2, v1, v4
	v_xor_b32_e32 v1, v10, v3
	v_dual_mov_b32 v3, 1 :: v_dual_mov_b32 v4, v9
	s_delay_alu instid0(VALU_DEP_2) | instskip(SKIP_1) | instid1(VALU_DEP_1)
	v_cmp_ne_u64_e64 s2, s[2:3], v[1:2]
	s_mov_b32 s3, s12
	v_cndmask_b32_e64 v2, 0x80000000, v2, s2
	v_cndmask_b32_e64 v1, 0, v1, s2
	s_mov_b32 s2, s9
	s_branch .LBB155_16
	.p2align	6
.LBB155_15:                             ;   in Loop: Header=BB155_16 Depth=1
	s_or_b32 exec_lo, exec_lo, s10
	v_add_nc_u32_e32 v4, 0x1000, v4
	s_add_i32 s3, s3, 8
	s_add_i32 s2, s2, -8
	s_cmp_lt_u32 s3, s13
	s_cbranch_scc0 .LBB155_18
.LBB155_16:                             ; =>This Inner Loop Header: Depth=1
	s_and_saveexec_b32 s10, s1
	s_cbranch_execz .LBB155_15
; %bb.17:                               ;   in Loop: Header=BB155_16 Depth=1
	v_lshrrev_b64 v[10:11], s3, v[1:2]
	s_min_u32 s11, s2, 8
	s_delay_alu instid0(VALU_DEP_1) | instid1(SALU_CYCLE_1)
	v_bfe_u32 v10, v10, 0, s11
	s_delay_alu instid0(VALU_DEP_1)
	v_lshl_add_u32 v10, v10, 4, v4
	ds_add_u32 v10, v3
	s_branch .LBB155_15
.LBB155_18:
	v_cmp_lt_i64_e64 s1, -1, v[5:6]
	v_ashrrev_i32_e32 v3, 31, v6
	s_mov_b32 s2, -1
	s_brev_b32 s3, -2
	v_mov_b32_e32 v4, v9
	s_delay_alu instid0(VALU_DEP_3) | instskip(NEXT) | instid1(VALU_DEP_1)
	v_cndmask_b32_e64 v1, -1, 0x80000000, s1
	v_xor_b32_e32 v2, v1, v6
	v_xor_b32_e32 v1, v3, v5
	v_mov_b32_e32 v3, 1
	s_delay_alu instid0(VALU_DEP_2) | instskip(SKIP_1) | instid1(VALU_DEP_1)
	v_cmp_ne_u64_e64 s1, s[2:3], v[1:2]
	s_mov_b32 s2, s12
	v_cndmask_b32_e64 v2, 0x80000000, v2, s1
	v_cndmask_b32_e64 v1, 0, v1, s1
	s_mov_b32 s1, s9
	s_branch .LBB155_20
	.p2align	6
.LBB155_19:                             ;   in Loop: Header=BB155_20 Depth=1
	s_or_b32 exec_lo, exec_lo, s3
	v_add_nc_u32_e32 v4, 0x1000, v4
	s_add_i32 s2, s2, 8
	s_add_i32 s1, s1, -8
	s_cmp_lt_u32 s2, s13
	s_cbranch_scc0 .LBB155_22
.LBB155_20:                             ; =>This Inner Loop Header: Depth=1
	s_and_saveexec_b32 s3, s0
	s_cbranch_execz .LBB155_19
; %bb.21:                               ;   in Loop: Header=BB155_20 Depth=1
	v_lshrrev_b64 v[5:6], s2, v[1:2]
	s_min_u32 s10, s1, 8
	s_delay_alu instid0(VALU_DEP_1) | instid1(SALU_CYCLE_1)
	v_bfe_u32 v5, v5, 0, s10
	s_delay_alu instid0(VALU_DEP_1)
	v_lshl_add_u32 v5, v5, 4, v4
	ds_add_u32 v5, v3
	s_branch .LBB155_19
.LBB155_22:
	v_cmp_lt_i64_e64 s0, -1, v[7:8]
	v_ashrrev_i32_e32 v3, 31, v8
	s_delay_alu instid0(VALU_DEP_2) | instskip(SKIP_2) | instid1(VALU_DEP_1)
	v_cndmask_b32_e64 v1, -1, 0x80000000, s0
	s_mov_b32 s0, -1
	s_brev_b32 s1, -2
	v_xor_b32_e32 v2, v1, v8
	v_xor_b32_e32 v1, v3, v7
	v_mov_b32_e32 v3, 1
	s_delay_alu instid0(VALU_DEP_2) | instskip(NEXT) | instid1(VALU_DEP_1)
	v_cmp_ne_u64_e64 s0, s[0:1], v[1:2]
	v_cndmask_b32_e64 v2, 0x80000000, v2, s0
	v_cndmask_b32_e64 v1, 0, v1, s0
	s_mov_b32 s0, s12
	s_branch .LBB155_24
	.p2align	6
.LBB155_23:                             ;   in Loop: Header=BB155_24 Depth=1
	s_or_b32 exec_lo, exec_lo, s1
	v_add_nc_u32_e32 v9, 0x1000, v9
	s_add_i32 s0, s0, 8
	s_add_i32 s9, s9, -8
	s_cmp_lt_u32 s0, s13
	s_cbranch_scc0 .LBB155_26
.LBB155_24:                             ; =>This Inner Loop Header: Depth=1
	s_and_saveexec_b32 s1, vcc_lo
	s_cbranch_execz .LBB155_23
; %bb.25:                               ;   in Loop: Header=BB155_24 Depth=1
	v_lshrrev_b64 v[4:5], s0, v[1:2]
	s_min_u32 s2, s9, 8
	s_delay_alu instid0(VALU_DEP_1) | instid1(SALU_CYCLE_1)
	v_bfe_u32 v4, v4, 0, s2
	s_delay_alu instid0(VALU_DEP_1)
	v_lshl_add_u32 v4, v4, 4, v9
	ds_add_u32 v4, v3
	s_branch .LBB155_23
.LBB155_26:
	s_and_b32 vcc_lo, exec_lo, s8
	s_waitcnt lgkmcnt(0)
	s_barrier
	buffer_gl0_inv
	s_cbranch_vccz .LBB155_31
; %bb.27:
	v_cmp_gt_u32_e32 vcc_lo, 0x100, v0
	v_dual_mov_b32 v2, 0 :: v_dual_lshlrev_b32 v3, 4, v0
	v_mov_b32_e32 v1, v0
	s_mov_b32 s1, s12
	s_set_inst_prefetch_distance 0x1
	s_branch .LBB155_29
	.p2align	6
.LBB155_28:                             ;   in Loop: Header=BB155_29 Depth=1
	s_or_b32 exec_lo, exec_lo, s2
	v_add_nc_u32_e32 v1, 0x100, v1
	v_add_nc_u32_e32 v3, 0x1000, v3
	s_add_i32 s1, s1, 8
	s_delay_alu instid0(SALU_CYCLE_1)
	s_cmp_lt_u32 s1, s13
	s_cbranch_scc0 .LBB155_31
.LBB155_29:                             ; =>This Inner Loop Header: Depth=1
	s_and_saveexec_b32 s2, vcc_lo
	s_cbranch_execz .LBB155_28
; %bb.30:                               ;   in Loop: Header=BB155_29 Depth=1
	ds_load_2addr_b32 v[4:5], v3 offset1:1
	ds_load_2addr_b32 v[6:7], v3 offset0:2 offset1:3
	v_lshlrev_b64 v[8:9], 3, v[1:2]
	s_waitcnt lgkmcnt(1)
	v_add_nc_u32_e32 v10, v5, v4
	s_delay_alu instid0(VALU_DEP_2) | instskip(NEXT) | instid1(VALU_DEP_1)
	v_add_co_u32 v4, s0, s6, v8
	v_add_co_ci_u32_e64 v5, s0, s7, v9, s0
	s_waitcnt lgkmcnt(0)
	s_delay_alu instid0(VALU_DEP_3)
	v_add3_u32 v6, v10, v6, v7
	v_mov_b32_e32 v7, v2
	global_atomic_add_u64 v[4:5], v[6:7], off
	s_branch .LBB155_28
.LBB155_31:
	s_set_inst_prefetch_distance 0x2
	s_mov_b32 s0, 0
.LBB155_32:
	s_delay_alu instid0(SALU_CYCLE_1)
	s_and_b32 vcc_lo, exec_lo, s0
	s_cbranch_vccz .LBB155_52
; %bb.33:
	v_add_co_u32 v5, s0, s4, v12
	s_delay_alu instid0(VALU_DEP_1) | instskip(SKIP_1) | instid1(VALU_DEP_2)
	v_add_co_ci_u32_e64 v6, null, s5, 0, s0
	s_cmp_lg_u32 s12, 0
	v_add_co_u32 v1, vcc_lo, 0x2000, v5
	s_delay_alu instid0(VALU_DEP_2)
	v_add_co_ci_u32_e32 v2, vcc_lo, 0, v6, vcc_lo
	v_add_co_u32 v3, vcc_lo, 0x4000, v5
	v_add_co_ci_u32_e32 v4, vcc_lo, 0, v6, vcc_lo
	v_add_co_u32 v10, vcc_lo, 0x6000, v5
	v_add_co_ci_u32_e32 v11, vcc_lo, 0, v6, vcc_lo
	s_clause 0x3
	global_load_b64 v[6:7], v[1:2], off
	global_load_b64 v[4:5], v[3:4], off
	global_load_b64 v[8:9], v12, s[4:5]
	global_load_b64 v[2:3], v[10:11], off
	s_cselect_b32 s0, -1, 0
	s_cmp_lg_u32 s13, 64
	v_lshlrev_b32_e32 v13, 2, v0
	s_cselect_b32 s1, -1, 0
	s_delay_alu instid0(SALU_CYCLE_1) | instskip(NEXT) | instid1(SALU_CYCLE_1)
	s_or_b32 s0, s0, s1
	s_and_b32 vcc_lo, exec_lo, s0
	s_mov_b32 s0, -1
	s_cbranch_vccz .LBB155_49
; %bb.34:
	v_mov_b32_e32 v1, 0
	s_cmp_gt_u32 s13, s12
	ds_store_2addr_stride64_b32 v13, v1, v1 offset1:16
	ds_store_2addr_stride64_b32 v13, v1, v1 offset0:32 offset1:48
	ds_store_2addr_stride64_b32 v13, v1, v1 offset0:64 offset1:80
	;; [unrolled: 1-line block ×3, first 2 shown]
	s_cselect_b32 s0, -1, 0
	s_cmp_le_u32 s13, s12
	s_waitcnt vmcnt(0) lgkmcnt(0)
	s_waitcnt_vscnt null, 0x0
	s_barrier
	buffer_gl0_inv
	s_cbranch_scc1 .LBB155_43
; %bb.35:
	v_cmp_lt_i64_e32 vcc_lo, -1, v[8:9]
	v_ashrrev_i32_e32 v10, 31, v9
	s_mov_b32 s2, -1
	s_brev_b32 s3, -2
	s_sub_i32 s1, s13, s12
	v_mov_b32_e32 v14, 1
	v_cndmask_b32_e64 v1, -1, 0x80000000, vcc_lo
	v_xor_b32_e32 v10, v10, v8
	s_delay_alu instid0(VALU_DEP_2) | instskip(SKIP_1) | instid1(VALU_DEP_2)
	v_xor_b32_e32 v11, v1, v9
	v_and_b32_e32 v1, 3, v0
	v_cmp_ne_u64_e32 vcc_lo, s[2:3], v[10:11]
	s_delay_alu instid0(VALU_DEP_2)
	v_lshlrev_b32_e32 v1, 2, v1
	s_mov_b32 s2, s1
	s_mov_b32 s3, s12
	v_cndmask_b32_e32 v10, 0, v10, vcc_lo
	v_cndmask_b32_e32 v11, 0x80000000, v11, vcc_lo
	v_mov_b32_e32 v15, v1
.LBB155_36:                             ; =>This Inner Loop Header: Depth=1
	s_delay_alu instid0(VALU_DEP_2) | instskip(SKIP_4) | instid1(VALU_DEP_1)
	v_lshrrev_b64 v[16:17], s3, v[10:11]
	s_min_u32 s4, s2, 8
	s_add_i32 s3, s3, 8
	s_add_i32 s2, s2, -8
	s_cmp_ge_u32 s3, s13
	v_bfe_u32 v16, v16, 0, s4
	s_delay_alu instid0(VALU_DEP_1)
	v_lshl_add_u32 v16, v16, 4, v15
	v_add_nc_u32_e32 v15, 0x1000, v15
	ds_add_u32 v16, v14
	s_cbranch_scc0 .LBB155_36
; %bb.37:
	v_cmp_lt_i64_e32 vcc_lo, -1, v[6:7]
	v_ashrrev_i32_e32 v14, 31, v7
	s_mov_b32 s2, -1
	s_brev_b32 s3, -2
	v_mov_b32_e32 v15, v1
	v_cndmask_b32_e64 v10, -1, 0x80000000, vcc_lo
	s_delay_alu instid0(VALU_DEP_1) | instskip(SKIP_1) | instid1(VALU_DEP_1)
	v_xor_b32_e32 v11, v10, v7
	v_xor_b32_e32 v10, v14, v6
	v_cmp_ne_u64_e32 vcc_lo, s[2:3], v[10:11]
	v_mov_b32_e32 v14, 1
	s_mov_b32 s2, s1
	s_mov_b32 s3, s12
	v_cndmask_b32_e32 v11, 0x80000000, v11, vcc_lo
	v_cndmask_b32_e32 v10, 0, v10, vcc_lo
.LBB155_38:                             ; =>This Inner Loop Header: Depth=1
	s_delay_alu instid0(VALU_DEP_1) | instskip(SKIP_4) | instid1(VALU_DEP_1)
	v_lshrrev_b64 v[16:17], s3, v[10:11]
	s_min_u32 s4, s2, 8
	s_add_i32 s3, s3, 8
	s_add_i32 s2, s2, -8
	s_cmp_lt_u32 s3, s13
	v_bfe_u32 v16, v16, 0, s4
	s_delay_alu instid0(VALU_DEP_1)
	v_lshl_add_u32 v16, v16, 4, v15
	v_add_nc_u32_e32 v15, 0x1000, v15
	ds_add_u32 v16, v14
	s_cbranch_scc1 .LBB155_38
; %bb.39:
	v_cmp_lt_i64_e32 vcc_lo, -1, v[4:5]
	v_ashrrev_i32_e32 v14, 31, v5
	s_mov_b32 s2, -1
	s_brev_b32 s3, -2
	v_mov_b32_e32 v15, v1
	v_cndmask_b32_e64 v10, -1, 0x80000000, vcc_lo
	s_delay_alu instid0(VALU_DEP_1) | instskip(SKIP_1) | instid1(VALU_DEP_1)
	v_xor_b32_e32 v11, v10, v5
	v_xor_b32_e32 v10, v14, v4
	v_cmp_ne_u64_e32 vcc_lo, s[2:3], v[10:11]
	v_mov_b32_e32 v14, 1
	s_mov_b32 s2, s1
	s_mov_b32 s3, s12
	v_cndmask_b32_e32 v11, 0x80000000, v11, vcc_lo
	v_cndmask_b32_e32 v10, 0, v10, vcc_lo
.LBB155_40:                             ; =>This Inner Loop Header: Depth=1
	s_delay_alu instid0(VALU_DEP_1) | instskip(SKIP_4) | instid1(VALU_DEP_1)
	v_lshrrev_b64 v[16:17], s3, v[10:11]
	s_min_u32 s4, s2, 8
	s_add_i32 s3, s3, 8
	s_add_i32 s2, s2, -8
	s_cmp_lt_u32 s3, s13
	v_bfe_u32 v16, v16, 0, s4
	s_delay_alu instid0(VALU_DEP_1)
	v_lshl_add_u32 v16, v16, 4, v15
	v_add_nc_u32_e32 v15, 0x1000, v15
	ds_add_u32 v16, v14
	s_cbranch_scc1 .LBB155_40
; %bb.41:
	v_cmp_lt_i64_e32 vcc_lo, -1, v[2:3]
	v_ashrrev_i32_e32 v14, 31, v3
	s_mov_b32 s2, -1
	s_brev_b32 s3, -2
	v_cndmask_b32_e64 v10, -1, 0x80000000, vcc_lo
	s_delay_alu instid0(VALU_DEP_1) | instskip(SKIP_2) | instid1(VALU_DEP_2)
	v_xor_b32_e32 v11, v10, v3
	v_xor_b32_e32 v10, v14, v2
	v_mov_b32_e32 v14, 1
	v_cmp_ne_u64_e32 vcc_lo, s[2:3], v[10:11]
	s_mov_b32 s2, s12
	v_cndmask_b32_e32 v11, 0x80000000, v11, vcc_lo
	v_cndmask_b32_e32 v10, 0, v10, vcc_lo
.LBB155_42:                             ; =>This Inner Loop Header: Depth=1
	s_delay_alu instid0(VALU_DEP_1) | instskip(SKIP_4) | instid1(VALU_DEP_1)
	v_lshrrev_b64 v[15:16], s2, v[10:11]
	s_min_u32 s3, s1, 8
	s_add_i32 s2, s2, 8
	s_add_i32 s1, s1, -8
	s_cmp_lt_u32 s2, s13
	v_bfe_u32 v15, v15, 0, s3
	s_delay_alu instid0(VALU_DEP_1)
	v_lshl_add_u32 v15, v15, 4, v1
	v_add_nc_u32_e32 v1, 0x1000, v1
	ds_add_u32 v15, v14
	s_cbranch_scc1 .LBB155_42
.LBB155_43:
	s_and_b32 vcc_lo, exec_lo, s0
	s_waitcnt lgkmcnt(0)
	s_barrier
	buffer_gl0_inv
	s_cbranch_vccz .LBB155_48
; %bb.44:
	v_cmp_gt_u32_e32 vcc_lo, 0x100, v0
	v_dual_mov_b32 v10, v0 :: v_dual_lshlrev_b32 v1, 4, v0
	v_mov_b32_e32 v11, 0
	s_set_inst_prefetch_distance 0x1
	s_branch .LBB155_46
	.p2align	6
.LBB155_45:                             ;   in Loop: Header=BB155_46 Depth=1
	s_or_b32 exec_lo, exec_lo, s1
	v_add_nc_u32_e32 v10, 0x100, v10
	v_add_nc_u32_e32 v1, 0x1000, v1
	s_add_i32 s12, s12, 8
	s_delay_alu instid0(SALU_CYCLE_1)
	s_cmp_ge_u32 s12, s13
	s_cbranch_scc1 .LBB155_48
.LBB155_46:                             ; =>This Inner Loop Header: Depth=1
	s_and_saveexec_b32 s1, vcc_lo
	s_cbranch_execz .LBB155_45
; %bb.47:                               ;   in Loop: Header=BB155_46 Depth=1
	ds_load_2addr_b32 v[14:15], v1 offset1:1
	ds_load_2addr_b32 v[16:17], v1 offset0:2 offset1:3
	v_lshlrev_b64 v[18:19], 3, v[10:11]
	s_waitcnt lgkmcnt(1)
	v_add_nc_u32_e32 v20, v15, v14
	s_delay_alu instid0(VALU_DEP_2) | instskip(NEXT) | instid1(VALU_DEP_1)
	v_add_co_u32 v14, s0, s6, v18
	v_add_co_ci_u32_e64 v15, s0, s7, v19, s0
	s_waitcnt lgkmcnt(0)
	s_delay_alu instid0(VALU_DEP_3)
	v_add3_u32 v16, v20, v16, v17
	v_mov_b32_e32 v17, v11
	global_atomic_add_u64 v[14:15], v[16:17], off
	s_branch .LBB155_45
.LBB155_48:
	s_set_inst_prefetch_distance 0x2
	s_mov_b32 s0, 0
.LBB155_49:
	s_delay_alu instid0(SALU_CYCLE_1)
	s_and_b32 vcc_lo, exec_lo, s0
	s_cbranch_vccz .LBB155_52
; %bb.50:
	s_waitcnt vmcnt(1)
	v_cmp_lt_i64_e32 vcc_lo, -1, v[8:9]
	v_ashrrev_i32_e32 v11, 31, v9
	s_mov_b32 s2, -1
	s_brev_b32 s3, -2
	v_cmp_lt_i64_e64 s0, -1, v[4:5]
	s_waitcnt vmcnt(0)
	v_ashrrev_i32_e32 v16, 31, v3
	v_cndmask_b32_e64 v10, -1, 0x80000000, vcc_lo
	v_cmp_lt_i64_e32 vcc_lo, -1, v[6:7]
	v_xor_b32_e32 v8, v11, v8
	v_ashrrev_i32_e32 v11, 31, v7
	s_delay_alu instid0(VALU_DEP_4) | instskip(SKIP_1) | instid1(VALU_DEP_3)
	v_xor_b32_e32 v9, v10, v9
	v_cndmask_b32_e64 v10, -1, 0x80000000, vcc_lo
	v_xor_b32_e32 v6, v11, v6
	s_delay_alu instid0(VALU_DEP_3) | instskip(SKIP_1) | instid1(VALU_DEP_4)
	v_cmp_ne_u64_e32 vcc_lo, s[2:3], v[8:9]
	v_mov_b32_e32 v1, 0
	v_xor_b32_e32 v7, v10, v7
	v_cndmask_b32_e64 v10, -1, 0x80000000, s0
	s_mov_b32 s0, exec_lo
	v_cndmask_b32_e32 v8, 0, v8, vcc_lo
	v_cndmask_b32_e32 v9, 0x80000000, v9, vcc_lo
	v_cmp_lt_i64_e32 vcc_lo, -1, v[2:3]
	ds_store_2addr_stride64_b32 v13, v1, v1 offset1:16
	ds_store_2addr_stride64_b32 v13, v1, v1 offset0:32 offset1:48
	ds_store_2addr_stride64_b32 v13, v1, v1 offset0:64 offset1:80
	ds_store_2addr_stride64_b32 v13, v1, v1 offset0:96 offset1:112
	v_ashrrev_i32_e32 v13, 31, v5
	v_xor_b32_e32 v5, v10, v5
	v_and_b32_e32 v10, 3, v0
	v_lshrrev_b32_e32 v14, 6, v8
	v_lshrrev_b32_e32 v15, 14, v8
	v_xor_b32_e32 v4, v13, v4
	v_cndmask_b32_e64 v13, -1, 0x80000000, vcc_lo
	v_cmp_ne_u64_e32 vcc_lo, s[2:3], v[6:7]
	v_lshlrev_b32_e32 v11, 2, v8
	v_xor_b32_e32 v2, v16, v2
	s_waitcnt lgkmcnt(0)
	s_waitcnt_vscnt null, 0x0
	v_xor_b32_e32 v3, v13, v3
	v_and_or_b32 v13, 0x3fc, v14, v10
	v_cndmask_b32_e32 v6, 0, v6, vcc_lo
	v_and_or_b32 v14, 0x3fc, v15, v10
	v_lshrrev_b32_e32 v15, 22, v8
	v_alignbit_b32 v8, v9, v8, 30
	v_cndmask_b32_e32 v7, 0x80000000, v7, vcc_lo
	v_cmp_ne_u64_e32 vcc_lo, s[2:3], v[4:5]
	v_and_or_b32 v11, 0x3fc, v11, v10
	v_dual_mov_b32 v17, 1 :: v_dual_lshlrev_b32 v14, 2, v14
	v_and_or_b32 v8, 0x3fc, v8, v10
	v_and_or_b32 v15, 0x3fc, v15, v10
	s_delay_alu instid0(VALU_DEP_4) | instskip(NEXT) | instid1(VALU_DEP_3)
	v_dual_cndmask_b32 v4, 0, v4 :: v_dual_lshlrev_b32 v11, 2, v11
	v_dual_cndmask_b32 v5, 0x80000000, v5 :: v_dual_lshlrev_b32 v8, 2, v8
	v_cmp_ne_u64_e32 vcc_lo, s[2:3], v[2:3]
	v_lshlrev_b32_e32 v13, 2, v13
	s_barrier
	buffer_gl0_inv
	v_cndmask_b32_e32 v2, 0, v2, vcc_lo
	ds_add_u32 v11, v17
	ds_add_u32 v13, v17 offset:4096
	v_lshlrev_b32_e32 v11, 2, v15
	v_lshrrev_b32_e32 v13, 6, v9
	ds_add_u32 v14, v17 offset:8192
	v_lshrrev_b32_e32 v14, 14, v9
	v_lshrrev_b32_e32 v9, 22, v9
	ds_add_u32 v11, v17 offset:12288
	v_and_or_b32 v11, 0x3fc, v13, v10
	ds_add_u32 v8, v17 offset:16384
	v_and_or_b32 v13, 0x3fc, v14, v10
	v_dual_cndmask_b32 v3, 0x80000000, v3 :: v_dual_lshlrev_b32 v8, 2, v6
	v_lshlrev_b32_e32 v11, 2, v11
	v_and_or_b32 v9, 0x3fc, v9, v10
	s_delay_alu instid0(VALU_DEP_4)
	v_lshlrev_b32_e32 v13, 2, v13
	ds_add_u32 v11, v17 offset:20480
	ds_add_u32 v13, v17 offset:24576
	v_lshrrev_b32_e32 v11, 6, v6
	v_and_or_b32 v8, 0x3fc, v8, v10
	v_lshrrev_b32_e32 v13, 14, v6
	v_lshrrev_b32_e32 v14, 22, v6
	v_lshlrev_b32_e32 v9, 2, v9
	v_and_or_b32 v11, 0x3fc, v11, v10
	v_lshlrev_b32_e32 v8, 2, v8
	v_and_or_b32 v13, 0x3fc, v13, v10
	v_and_or_b32 v14, 0x3fc, v14, v10
	ds_add_u32 v9, v17 offset:28672
	v_lshlrev_b32_e32 v9, 2, v11
	ds_add_u32 v8, v17
	v_lshlrev_b32_e32 v8, 2, v13
	v_alignbit_b32 v6, v7, v6, 30
	v_lshlrev_b32_e32 v11, 2, v14
	ds_add_u32 v9, v17 offset:4096
	ds_add_u32 v8, v17 offset:8192
	;; [unrolled: 1-line block ×3, first 2 shown]
	v_and_or_b32 v6, 0x3fc, v6, v10
	v_lshrrev_b32_e32 v8, 6, v7
	v_lshrrev_b32_e32 v9, 14, v7
	;; [unrolled: 1-line block ×3, first 2 shown]
	v_lshlrev_b32_e32 v11, 2, v4
	v_lshlrev_b32_e32 v6, 2, v6
	v_and_or_b32 v8, 0x3fc, v8, v10
	v_and_or_b32 v9, 0x3fc, v9, v10
	;; [unrolled: 1-line block ×3, first 2 shown]
	ds_add_u32 v6, v17 offset:16384
	v_lshlrev_b32_e32 v6, 2, v8
	v_and_or_b32 v8, 0x3fc, v11, v10
	v_lshlrev_b32_e32 v9, 2, v9
	v_lshrrev_b32_e32 v11, 6, v4
	ds_add_u32 v6, v17 offset:20480
	v_lshlrev_b32_e32 v6, 2, v7
	v_lshlrev_b32_e32 v7, 2, v8
	ds_add_u32 v9, v17 offset:24576
	v_and_or_b32 v8, 0x3fc, v11, v10
	v_lshrrev_b32_e32 v9, 14, v4
	ds_add_u32 v6, v17 offset:28672
	ds_add_u32 v7, v17
	v_lshrrev_b32_e32 v6, 22, v4
	v_alignbit_b32 v4, v5, v4, 30
	v_lshlrev_b32_e32 v7, 2, v8
	v_and_or_b32 v8, 0x3fc, v9, v10
	v_lshrrev_b32_e32 v9, 6, v5
	v_and_or_b32 v6, 0x3fc, v6, v10
	v_and_or_b32 v4, 0x3fc, v4, v10
	ds_add_u32 v7, v17 offset:4096
	v_lshlrev_b32_e32 v7, 2, v8
	v_and_or_b32 v8, 0x3fc, v9, v10
	v_lshlrev_b32_e32 v6, 2, v6
	v_lshlrev_b32_e32 v4, 2, v4
	ds_add_u32 v7, v17 offset:8192
	v_lshlrev_b32_e32 v7, 2, v8
	ds_add_u32 v6, v17 offset:12288
	ds_add_u32 v4, v17 offset:16384
	;; [unrolled: 1-line block ×3, first 2 shown]
	v_lshrrev_b32_e32 v4, 14, v5
	v_lshrrev_b32_e32 v5, 22, v5
	v_lshlrev_b32_e32 v6, 2, v2
	v_lshrrev_b32_e32 v7, 6, v2
	v_lshrrev_b32_e32 v8, 14, v2
	v_and_or_b32 v4, 0x3fc, v4, v10
	v_and_or_b32 v5, 0x3fc, v5, v10
	v_and_or_b32 v6, 0x3fc, v6, v10
	v_and_or_b32 v7, 0x3fc, v7, v10
	v_and_or_b32 v8, 0x3fc, v8, v10
	v_lshlrev_b32_e32 v4, 2, v4
	v_lshlrev_b32_e32 v5, 2, v5
	;; [unrolled: 1-line block ×5, first 2 shown]
	ds_add_u32 v4, v17 offset:24576
	ds_add_u32 v5, v17 offset:28672
	ds_add_u32 v6, v17
	ds_add_u32 v7, v17 offset:4096
	ds_add_u32 v8, v17 offset:8192
	v_lshrrev_b32_e32 v4, 22, v2
	v_alignbit_b32 v2, v3, v2, 30
	v_lshrrev_b32_e32 v5, 6, v3
	v_lshrrev_b32_e32 v6, 14, v3
	;; [unrolled: 1-line block ×3, first 2 shown]
	v_and_or_b32 v4, 0x3fc, v4, v10
	v_and_or_b32 v2, 0x3fc, v2, v10
	;; [unrolled: 1-line block ×5, first 2 shown]
	v_lshlrev_b32_e32 v4, 2, v4
	v_lshlrev_b32_e32 v2, 2, v2
	;; [unrolled: 1-line block ×5, first 2 shown]
	ds_add_u32 v4, v17 offset:12288
	ds_add_u32 v2, v17 offset:16384
	;; [unrolled: 1-line block ×5, first 2 shown]
	s_waitcnt lgkmcnt(0)
	s_barrier
	buffer_gl0_inv
	v_cmpx_gt_u32_e32 0x100, v0
	s_cbranch_execz .LBB155_52
; %bb.51:
	v_lshlrev_b32_e32 v6, 4, v0
	ds_load_2addr_b32 v[2:3], v6 offset1:1
	ds_load_2addr_b32 v[4:5], v6 offset0:2 offset1:3
	s_waitcnt lgkmcnt(1)
	v_add_nc_u32_e32 v0, v3, v2
	v_add_nc_u32_e32 v2, 0x1000, v6
	s_waitcnt lgkmcnt(0)
	s_delay_alu instid0(VALU_DEP_2)
	v_add3_u32 v0, v0, v4, v5
	v_add_nc_u32_e32 v4, 0x1008, v6
	global_atomic_add_u64 v12, v[0:1], s[6:7]
	ds_load_2addr_b32 v[2:3], v2 offset1:1
	ds_load_2addr_b32 v[4:5], v4 offset1:1
	s_waitcnt lgkmcnt(1)
	v_add_nc_u32_e32 v0, v3, v2
	v_add_nc_u32_e32 v2, 0x2000, v6
	s_waitcnt lgkmcnt(0)
	s_delay_alu instid0(VALU_DEP_2)
	v_add3_u32 v0, v0, v4, v5
	v_add_nc_u32_e32 v4, 0x2008, v6
	global_atomic_add_u64 v12, v[0:1], s[6:7] offset:2048
	ds_load_2addr_b32 v[2:3], v2 offset1:1
	ds_load_2addr_b32 v[4:5], v4 offset1:1
	s_waitcnt lgkmcnt(1)
	v_add_nc_u32_e32 v0, v3, v2
	v_or_b32_e32 v2, 0x1000, v12
	v_add_nc_u32_e32 v3, 0x3000, v6
	s_waitcnt lgkmcnt(0)
	s_delay_alu instid0(VALU_DEP_3)
	v_add3_u32 v0, v0, v4, v5
	v_add_nc_u32_e32 v4, 0x3008, v6
	global_atomic_add_u64 v2, v[0:1], s[6:7]
	ds_load_2addr_b32 v[2:3], v3 offset1:1
	ds_load_2addr_b32 v[4:5], v4 offset1:1
	s_waitcnt lgkmcnt(1)
	v_add_nc_u32_e32 v0, v3, v2
	v_or_b32_e32 v2, 0x1800, v12
	v_or_b32_e32 v3, 0x4000, v6
	s_waitcnt lgkmcnt(0)
	s_delay_alu instid0(VALU_DEP_3)
	v_add3_u32 v0, v0, v4, v5
	v_or_b32_e32 v4, 0x4008, v6
	global_atomic_add_u64 v2, v[0:1], s[6:7]
	ds_load_2addr_b32 v[2:3], v3 offset1:1
	ds_load_2addr_b32 v[4:5], v4 offset1:1
	s_waitcnt lgkmcnt(1)
	v_add_nc_u32_e32 v0, v3, v2
	v_or_b32_e32 v2, 0x2000, v12
	v_add_nc_u32_e32 v3, 0x5000, v6
	s_waitcnt lgkmcnt(0)
	s_delay_alu instid0(VALU_DEP_3)
	v_add3_u32 v0, v0, v4, v5
	v_add_nc_u32_e32 v4, 0x5008, v6
	global_atomic_add_u64 v2, v[0:1], s[6:7]
	ds_load_2addr_b32 v[2:3], v3 offset1:1
	ds_load_2addr_b32 v[4:5], v4 offset1:1
	s_waitcnt lgkmcnt(1)
	v_add_nc_u32_e32 v0, v3, v2
	v_or_b32_e32 v2, 0x2800, v12
	v_add_nc_u32_e32 v3, 0x6000, v6
	s_waitcnt lgkmcnt(0)
	s_delay_alu instid0(VALU_DEP_3)
	v_add3_u32 v0, v0, v4, v5
	v_add_nc_u32_e32 v4, 0x6008, v6
	global_atomic_add_u64 v2, v[0:1], s[6:7]
	ds_load_2addr_b32 v[2:3], v3 offset1:1
	ds_load_2addr_b32 v[4:5], v4 offset1:1
	s_waitcnt lgkmcnt(1)
	v_add_nc_u32_e32 v0, v3, v2
	v_or_b32_e32 v2, 0x3000, v12
	v_add_nc_u32_e32 v3, 0x7000, v6
	s_waitcnt lgkmcnt(0)
	s_delay_alu instid0(VALU_DEP_3)
	v_add3_u32 v0, v0, v4, v5
	v_add_nc_u32_e32 v4, 0x7008, v6
	global_atomic_add_u64 v2, v[0:1], s[6:7]
	ds_load_2addr_b32 v[2:3], v3 offset1:1
	ds_load_2addr_b32 v[4:5], v4 offset1:1
	s_waitcnt lgkmcnt(1)
	v_add_nc_u32_e32 v0, v3, v2
	v_or_b32_e32 v2, 0x3800, v12
	s_waitcnt lgkmcnt(0)
	s_delay_alu instid0(VALU_DEP_2)
	v_add3_u32 v0, v0, v4, v5
	global_atomic_add_u64 v2, v[0:1], s[6:7]
.LBB155_52:
	s_nop 0
	s_sendmsg sendmsg(MSG_DEALLOC_VGPRS)
	s_endpgm
	.section	.rodata,"a",@progbits
	.p2align	6, 0x0
	.amdhsa_kernel _ZN7rocprim17ROCPRIM_304000_NS6detail26onesweep_histograms_kernelINS1_34wrapped_radix_sort_onesweep_configINS0_14default_configEdN2at4cuda3cub6detail10OpaqueTypeILi8EEEEELb0EPKdmNS0_19identity_decomposerEEEvT1_PT2_SG_SG_T3_jj
		.amdhsa_group_segment_fixed_size 32768
		.amdhsa_private_segment_fixed_size 0
		.amdhsa_kernarg_size 44
		.amdhsa_user_sgpr_count 15
		.amdhsa_user_sgpr_dispatch_ptr 0
		.amdhsa_user_sgpr_queue_ptr 0
		.amdhsa_user_sgpr_kernarg_segment_ptr 1
		.amdhsa_user_sgpr_dispatch_id 0
		.amdhsa_user_sgpr_private_segment_size 0
		.amdhsa_wavefront_size32 1
		.amdhsa_uses_dynamic_stack 0
		.amdhsa_enable_private_segment 0
		.amdhsa_system_sgpr_workgroup_id_x 1
		.amdhsa_system_sgpr_workgroup_id_y 0
		.amdhsa_system_sgpr_workgroup_id_z 0
		.amdhsa_system_sgpr_workgroup_info 0
		.amdhsa_system_vgpr_workitem_id 0
		.amdhsa_next_free_vgpr 21
		.amdhsa_next_free_sgpr 16
		.amdhsa_reserve_vcc 1
		.amdhsa_float_round_mode_32 0
		.amdhsa_float_round_mode_16_64 0
		.amdhsa_float_denorm_mode_32 3
		.amdhsa_float_denorm_mode_16_64 3
		.amdhsa_dx10_clamp 1
		.amdhsa_ieee_mode 1
		.amdhsa_fp16_overflow 0
		.amdhsa_workgroup_processor_mode 1
		.amdhsa_memory_ordered 1
		.amdhsa_forward_progress 0
		.amdhsa_shared_vgpr_count 0
		.amdhsa_exception_fp_ieee_invalid_op 0
		.amdhsa_exception_fp_denorm_src 0
		.amdhsa_exception_fp_ieee_div_zero 0
		.amdhsa_exception_fp_ieee_overflow 0
		.amdhsa_exception_fp_ieee_underflow 0
		.amdhsa_exception_fp_ieee_inexact 0
		.amdhsa_exception_int_div_zero 0
	.end_amdhsa_kernel
	.section	.text._ZN7rocprim17ROCPRIM_304000_NS6detail26onesweep_histograms_kernelINS1_34wrapped_radix_sort_onesweep_configINS0_14default_configEdN2at4cuda3cub6detail10OpaqueTypeILi8EEEEELb0EPKdmNS0_19identity_decomposerEEEvT1_PT2_SG_SG_T3_jj,"axG",@progbits,_ZN7rocprim17ROCPRIM_304000_NS6detail26onesweep_histograms_kernelINS1_34wrapped_radix_sort_onesweep_configINS0_14default_configEdN2at4cuda3cub6detail10OpaqueTypeILi8EEEEELb0EPKdmNS0_19identity_decomposerEEEvT1_PT2_SG_SG_T3_jj,comdat
.Lfunc_end155:
	.size	_ZN7rocprim17ROCPRIM_304000_NS6detail26onesweep_histograms_kernelINS1_34wrapped_radix_sort_onesweep_configINS0_14default_configEdN2at4cuda3cub6detail10OpaqueTypeILi8EEEEELb0EPKdmNS0_19identity_decomposerEEEvT1_PT2_SG_SG_T3_jj, .Lfunc_end155-_ZN7rocprim17ROCPRIM_304000_NS6detail26onesweep_histograms_kernelINS1_34wrapped_radix_sort_onesweep_configINS0_14default_configEdN2at4cuda3cub6detail10OpaqueTypeILi8EEEEELb0EPKdmNS0_19identity_decomposerEEEvT1_PT2_SG_SG_T3_jj
                                        ; -- End function
	.section	.AMDGPU.csdata,"",@progbits
; Kernel info:
; codeLenInByte = 4076
; NumSgprs: 18
; NumVgprs: 21
; ScratchSize: 0
; MemoryBound: 1
; FloatMode: 240
; IeeeMode: 1
; LDSByteSize: 32768 bytes/workgroup (compile time only)
; SGPRBlocks: 2
; VGPRBlocks: 2
; NumSGPRsForWavesPerEU: 18
; NumVGPRsForWavesPerEU: 21
; Occupancy: 16
; WaveLimiterHint : 1
; COMPUTE_PGM_RSRC2:SCRATCH_EN: 0
; COMPUTE_PGM_RSRC2:USER_SGPR: 15
; COMPUTE_PGM_RSRC2:TRAP_HANDLER: 0
; COMPUTE_PGM_RSRC2:TGID_X_EN: 1
; COMPUTE_PGM_RSRC2:TGID_Y_EN: 0
; COMPUTE_PGM_RSRC2:TGID_Z_EN: 0
; COMPUTE_PGM_RSRC2:TIDIG_COMP_CNT: 0
	.section	.text._ZN7rocprim17ROCPRIM_304000_NS6detail25onesweep_iteration_kernelINS1_34wrapped_radix_sort_onesweep_configINS0_14default_configEdN2at4cuda3cub6detail10OpaqueTypeILi8EEEEELb0EPKdPdPKSA_PSA_mNS0_19identity_decomposerEEEvT1_T2_T3_T4_jPT5_SO_PNS1_23onesweep_lookback_stateET6_jjj,"axG",@progbits,_ZN7rocprim17ROCPRIM_304000_NS6detail25onesweep_iteration_kernelINS1_34wrapped_radix_sort_onesweep_configINS0_14default_configEdN2at4cuda3cub6detail10OpaqueTypeILi8EEEEELb0EPKdPdPKSA_PSA_mNS0_19identity_decomposerEEEvT1_T2_T3_T4_jPT5_SO_PNS1_23onesweep_lookback_stateET6_jjj,comdat
	.protected	_ZN7rocprim17ROCPRIM_304000_NS6detail25onesweep_iteration_kernelINS1_34wrapped_radix_sort_onesweep_configINS0_14default_configEdN2at4cuda3cub6detail10OpaqueTypeILi8EEEEELb0EPKdPdPKSA_PSA_mNS0_19identity_decomposerEEEvT1_T2_T3_T4_jPT5_SO_PNS1_23onesweep_lookback_stateET6_jjj ; -- Begin function _ZN7rocprim17ROCPRIM_304000_NS6detail25onesweep_iteration_kernelINS1_34wrapped_radix_sort_onesweep_configINS0_14default_configEdN2at4cuda3cub6detail10OpaqueTypeILi8EEEEELb0EPKdPdPKSA_PSA_mNS0_19identity_decomposerEEEvT1_T2_T3_T4_jPT5_SO_PNS1_23onesweep_lookback_stateET6_jjj
	.globl	_ZN7rocprim17ROCPRIM_304000_NS6detail25onesweep_iteration_kernelINS1_34wrapped_radix_sort_onesweep_configINS0_14default_configEdN2at4cuda3cub6detail10OpaqueTypeILi8EEEEELb0EPKdPdPKSA_PSA_mNS0_19identity_decomposerEEEvT1_T2_T3_T4_jPT5_SO_PNS1_23onesweep_lookback_stateET6_jjj
	.p2align	8
	.type	_ZN7rocprim17ROCPRIM_304000_NS6detail25onesweep_iteration_kernelINS1_34wrapped_radix_sort_onesweep_configINS0_14default_configEdN2at4cuda3cub6detail10OpaqueTypeILi8EEEEELb0EPKdPdPKSA_PSA_mNS0_19identity_decomposerEEEvT1_T2_T3_T4_jPT5_SO_PNS1_23onesweep_lookback_stateET6_jjj,@function
_ZN7rocprim17ROCPRIM_304000_NS6detail25onesweep_iteration_kernelINS1_34wrapped_radix_sort_onesweep_configINS0_14default_configEdN2at4cuda3cub6detail10OpaqueTypeILi8EEEEELb0EPKdPdPKSA_PSA_mNS0_19identity_decomposerEEEvT1_T2_T3_T4_jPT5_SO_PNS1_23onesweep_lookback_stateET6_jjj: ; @_ZN7rocprim17ROCPRIM_304000_NS6detail25onesweep_iteration_kernelINS1_34wrapped_radix_sort_onesweep_configINS0_14default_configEdN2at4cuda3cub6detail10OpaqueTypeILi8EEEEELb0EPKdPdPKSA_PSA_mNS0_19identity_decomposerEEEvT1_T2_T3_T4_jPT5_SO_PNS1_23onesweep_lookback_stateET6_jjj
; %bb.0:
	s_clause 0x3
	s_load_b128 s[28:31], s[0:1], 0x44
	s_load_b256 s[16:23], s[0:1], 0x0
	s_load_b128 s[24:27], s[0:1], 0x28
	s_load_b64 s[12:13], s[0:1], 0x38
	v_and_b32_e32 v9, 0x3ff, v0
	v_mbcnt_lo_u32_b32 v18, -1, 0
	s_waitcnt lgkmcnt(0)
	s_cmp_ge_u32 s15, s30
	s_cbranch_scc0 .LBB156_66
; %bb.1:
	s_load_b32 s14, s[0:1], 0x20
	s_mov_b32 s4, -1
	s_brev_b32 s5, -2
	s_mov_b32 s6, s4
	s_mov_b32 s7, s5
	;; [unrolled: 1-line block ×6, first 2 shown]
	v_lshlrev_b32_e32 v21, 2, v9
	s_lshl_b32 s2, s15, 12
	s_mov_b32 s3, 0
	s_lshl_b32 s33, s30, 12
	v_lshlrev_b32_e32 v19, 3, v18
	v_and_b32_e32 v1, 0xf80, v21
	s_lshl_b64 s[30:31], s[2:3], 3
	s_delay_alu instid0(VALU_DEP_1)
	v_lshlrev_b32_e32 v20, 3, v1
	s_waitcnt lgkmcnt(0)
	s_sub_i32 s34, s14, s33
	s_add_u32 s2, s16, s30
	v_or_b32_e32 v12, v18, v1
	s_addc_u32 s3, s17, s31
	v_add_co_u32 v1, s2, s2, v19
	s_delay_alu instid0(VALU_DEP_1) | instskip(NEXT) | instid1(VALU_DEP_3)
	v_add_co_ci_u32_e64 v2, null, s3, 0, s2
	v_cmp_gt_u32_e32 vcc_lo, s34, v12
	s_delay_alu instid0(VALU_DEP_3) | instskip(NEXT) | instid1(VALU_DEP_1)
	v_add_co_u32 v10, s2, v1, v20
	v_add_co_ci_u32_e64 v11, s2, 0, v2, s2
	v_dual_mov_b32 v1, s4 :: v_dual_mov_b32 v2, s5
	v_dual_mov_b32 v3, s6 :: v_dual_mov_b32 v8, s11
	;; [unrolled: 1-line block ×4, first 2 shown]
	s_and_saveexec_b32 s2, vcc_lo
	s_cbranch_execz .LBB156_3
; %bb.2:
	global_load_b64 v[1:2], v[10:11], off
	v_bfrev_b32_e32 v4, -2
	s_delay_alu instid0(VALU_DEP_1) | instskip(NEXT) | instid1(VALU_DEP_1)
	v_dual_mov_b32 v3, -1 :: v_dual_mov_b32 v6, v4
	v_dual_mov_b32 v5, v3 :: v_dual_mov_b32 v8, v4
	v_mov_b32_e32 v7, v3
.LBB156_3:
	s_or_b32 exec_lo, exec_lo, s2
	v_add_nc_u32_e32 v13, 32, v12
	s_delay_alu instid0(VALU_DEP_1) | instskip(NEXT) | instid1(VALU_DEP_1)
	v_cmp_gt_u32_e64 s2, s34, v13
	s_and_saveexec_b32 s3, s2
	s_cbranch_execz .LBB156_5
; %bb.4:
	global_load_b64 v[3:4], v[10:11], off offset:256
.LBB156_5:
	s_or_b32 exec_lo, exec_lo, s3
	v_add_nc_u32_e32 v13, 64, v12
	s_delay_alu instid0(VALU_DEP_1) | instskip(NEXT) | instid1(VALU_DEP_1)
	v_cmp_gt_u32_e64 s3, s34, v13
	s_and_saveexec_b32 s4, s3
	s_cbranch_execz .LBB156_7
; %bb.6:
	global_load_b64 v[5:6], v[10:11], off offset:512
.LBB156_7:
	;; [unrolled: 9-line block ×3, first 2 shown]
	s_or_b32 exec_lo, exec_lo, s5
	s_clause 0x1
	s_load_b32 s5, s[0:1], 0x5c
	s_load_b32 s14, s[0:1], 0x50
	s_add_u32 s6, s0, 0x50
	s_addc_u32 s7, s1, 0
	s_waitcnt vmcnt(0)
	v_ashrrev_i32_e32 v11, 31, v2
	s_mov_b32 s8, -1
	s_brev_b32 s9, -2
	s_waitcnt lgkmcnt(0)
	s_lshr_b32 s10, s5, 16
	s_cmp_lt_u32 s15, s14
	s_cselect_b32 s5, 12, 18
	s_delay_alu instid0(SALU_CYCLE_1) | instskip(SKIP_3) | instid1(VALU_DEP_2)
	s_add_u32 s6, s6, s5
	v_cmp_lt_i64_e64 s5, -1, v[1:2]
	v_xor_b32_e32 v1, v11, v1
	s_addc_u32 s7, s7, 0
	v_cndmask_b32_e64 v10, -1, 0x80000000, s5
	s_delay_alu instid0(VALU_DEP_1) | instskip(NEXT) | instid1(VALU_DEP_1)
	v_xor_b32_e32 v2, v10, v2
	v_cmp_ne_u64_e64 s5, s[8:9], v[1:2]
	s_delay_alu instid0(VALU_DEP_1) | instskip(SKIP_2) | instid1(SALU_CYCLE_1)
	v_cndmask_b32_e64 v11, 0x80000000, v2, s5
	v_cndmask_b32_e64 v10, 0, v1, s5
	s_lshl_b32 s5, -1, s29
	s_not_b32 s33, s5
	s_delay_alu instid0(VALU_DEP_1) | instskip(NEXT) | instid1(VALU_DEP_1)
	v_lshrrev_b64 v[10:11], s28, v[10:11]
	v_and_b32_e32 v14, s33, v10
	v_mov_b32_e32 v12, 0
	v_bfe_u32 v10, v0, 10, 10
	s_delay_alu instid0(VALU_DEP_3)
	v_and_b32_e32 v11, 1, v14
	global_load_u16 v13, v12, s[6:7]
	v_lshlrev_b32_e32 v15, 30, v14
	v_lshlrev_b32_e32 v16, 29, v14
	;; [unrolled: 1-line block ×3, first 2 shown]
	v_add_co_u32 v11, s5, v11, -1
	s_delay_alu instid0(VALU_DEP_1)
	v_cndmask_b32_e64 v22, 0, 1, s5
	v_not_b32_e32 v26, v15
	v_cmp_gt_i32_e64 s6, 0, v15
	v_not_b32_e32 v15, v16
	v_lshlrev_b32_e32 v23, 27, v14
	v_cmp_ne_u32_e64 s5, 0, v22
	v_ashrrev_i32_e32 v26, 31, v26
	v_lshlrev_b32_e32 v24, 26, v14
	v_ashrrev_i32_e32 v15, 31, v15
	v_lshlrev_b32_e32 v25, 25, v14
	v_xor_b32_e32 v11, s5, v11
	v_cmp_gt_i32_e64 s5, 0, v16
	v_not_b32_e32 v16, v17
	v_xor_b32_e32 v26, s6, v26
	v_cmp_gt_i32_e64 s6, 0, v17
	v_and_b32_e32 v11, exec_lo, v11
	v_not_b32_e32 v17, v23
	v_ashrrev_i32_e32 v16, 31, v16
	v_xor_b32_e32 v15, s5, v15
	v_cmp_gt_i32_e64 s5, 0, v23
	v_and_b32_e32 v11, v11, v26
	v_not_b32_e32 v23, v24
	v_ashrrev_i32_e32 v17, 31, v17
	v_xor_b32_e32 v16, s6, v16
	v_lshlrev_b32_e32 v22, 24, v14
	v_and_b32_e32 v11, v11, v15
	v_cmp_gt_i32_e64 s6, 0, v24
	v_not_b32_e32 v15, v25
	v_ashrrev_i32_e32 v23, 31, v23
	v_xor_b32_e32 v17, s5, v17
	v_and_b32_e32 v11, v11, v16
	v_cmp_gt_i32_e64 s5, 0, v25
	v_not_b32_e32 v16, v22
	v_ashrrev_i32_e32 v15, 31, v15
	v_xor_b32_e32 v23, s6, v23
	v_and_b32_e32 v11, v11, v17
	v_bfe_u32 v17, v0, 20, 10
	v_cmp_gt_i32_e64 s6, 0, v22
	v_ashrrev_i32_e32 v16, 31, v16
	v_xor_b32_e32 v15, s5, v15
	v_and_b32_e32 v11, v11, v23
	v_mad_u32_u24 v17, v17, s10, v10
	v_mul_u32_u24_e32 v22, 9, v9
	v_xor_b32_e32 v16, s6, v16
	s_delay_alu instid0(VALU_DEP_4) | instskip(NEXT) | instid1(VALU_DEP_3)
	v_and_b32_e32 v15, v11, v15
	v_lshlrev_b32_e32 v23, 2, v22
	ds_store_2addr_b32 v23, v12, v12 offset0:32 offset1:33
	ds_store_2addr_b32 v23, v12, v12 offset0:34 offset1:35
	;; [unrolled: 1-line block ×4, first 2 shown]
	ds_store_b32 v23, v12 offset:160
	v_lshl_add_u32 v12, v14, 5, v14
	s_waitcnt vmcnt(0) lgkmcnt(0)
	s_barrier
	buffer_gl0_inv
	; wave barrier
	v_mad_u64_u32 v[10:11], null, v17, v13, v[9:10]
	v_and_b32_e32 v11, v15, v16
	s_delay_alu instid0(VALU_DEP_1) | instskip(NEXT) | instid1(VALU_DEP_3)
	v_mbcnt_lo_u32_b32 v22, v11, 0
	v_lshrrev_b32_e32 v10, 5, v10
	v_cmp_ne_u32_e64 s6, 0, v11
	s_delay_alu instid0(VALU_DEP_3) | instskip(NEXT) | instid1(VALU_DEP_3)
	v_cmp_eq_u32_e64 s5, 0, v22
	v_add_lshl_u32 v24, v12, v10, 2
	s_delay_alu instid0(VALU_DEP_2) | instskip(NEXT) | instid1(SALU_CYCLE_1)
	s_and_b32 s6, s6, s5
	s_and_saveexec_b32 s5, s6
	s_cbranch_execz .LBB156_11
; %bb.10:
	v_bcnt_u32_b32 v11, v11, 0
	ds_store_b32 v24, v11 offset:128
.LBB156_11:
	s_or_b32 exec_lo, exec_lo, s5
	v_cmp_lt_i64_e64 s5, -1, v[3:4]
	v_ashrrev_i32_e32 v12, 31, v4
	; wave barrier
	s_delay_alu instid0(VALU_DEP_1) | instskip(NEXT) | instid1(VALU_DEP_3)
	v_xor_b32_e32 v3, v12, v3
	v_cndmask_b32_e64 v11, -1, 0x80000000, s5
	s_delay_alu instid0(VALU_DEP_1) | instskip(NEXT) | instid1(VALU_DEP_1)
	v_xor_b32_e32 v4, v11, v4
	v_cmp_ne_u64_e64 s5, s[8:9], v[3:4]
	s_delay_alu instid0(VALU_DEP_1) | instskip(SKIP_1) | instid1(VALU_DEP_1)
	v_cndmask_b32_e64 v12, 0x80000000, v4, s5
	v_cndmask_b32_e64 v11, 0, v3, s5
	v_lshrrev_b64 v[11:12], s28, v[11:12]
	s_delay_alu instid0(VALU_DEP_1) | instskip(NEXT) | instid1(VALU_DEP_1)
	v_and_b32_e32 v11, s33, v11
	v_and_b32_e32 v12, 1, v11
	v_lshlrev_b32_e32 v13, 30, v11
	v_lshlrev_b32_e32 v14, 29, v11
	;; [unrolled: 1-line block ×4, first 2 shown]
	v_add_co_u32 v12, s5, v12, -1
	s_delay_alu instid0(VALU_DEP_1)
	v_cndmask_b32_e64 v16, 0, 1, s5
	v_not_b32_e32 v27, v13
	v_cmp_gt_i32_e64 s6, 0, v13
	v_not_b32_e32 v13, v14
	v_lshlrev_b32_e32 v25, 26, v11
	v_cmp_ne_u32_e64 s5, 0, v16
	v_ashrrev_i32_e32 v27, 31, v27
	v_lshlrev_b32_e32 v26, 25, v11
	v_ashrrev_i32_e32 v13, 31, v13
	v_lshlrev_b32_e32 v16, 24, v11
	v_xor_b32_e32 v12, s5, v12
	v_cmp_gt_i32_e64 s5, 0, v14
	v_not_b32_e32 v14, v15
	v_xor_b32_e32 v27, s6, v27
	v_cmp_gt_i32_e64 s6, 0, v15
	v_and_b32_e32 v12, exec_lo, v12
	v_not_b32_e32 v15, v17
	v_ashrrev_i32_e32 v14, 31, v14
	v_xor_b32_e32 v13, s5, v13
	v_cmp_gt_i32_e64 s5, 0, v17
	v_and_b32_e32 v12, v12, v27
	v_not_b32_e32 v17, v25
	v_ashrrev_i32_e32 v15, 31, v15
	v_xor_b32_e32 v14, s6, v14
	v_cmp_gt_i32_e64 s6, 0, v25
	v_and_b32_e32 v12, v12, v13
	v_not_b32_e32 v13, v26
	v_ashrrev_i32_e32 v17, 31, v17
	v_xor_b32_e32 v15, s5, v15
	v_cmp_gt_i32_e64 s5, 0, v26
	v_and_b32_e32 v12, v12, v14
	v_not_b32_e32 v14, v16
	v_ashrrev_i32_e32 v13, 31, v13
	v_xor_b32_e32 v17, s6, v17
	v_lshl_add_u32 v11, v11, 5, v11
	v_and_b32_e32 v12, v12, v15
	v_cmp_gt_i32_e64 s6, 0, v16
	v_ashrrev_i32_e32 v14, 31, v14
	v_xor_b32_e32 v13, s5, v13
	v_add_lshl_u32 v27, v11, v10, 2
	v_and_b32_e32 v12, v12, v17
	s_delay_alu instid0(VALU_DEP_4) | instskip(SKIP_2) | instid1(VALU_DEP_1)
	v_xor_b32_e32 v11, s6, v14
	ds_load_b32 v25, v27 offset:128
	v_and_b32_e32 v12, v12, v13
	; wave barrier
	v_and_b32_e32 v11, v12, v11
	s_delay_alu instid0(VALU_DEP_1) | instskip(SKIP_1) | instid1(VALU_DEP_2)
	v_mbcnt_lo_u32_b32 v26, v11, 0
	v_cmp_ne_u32_e64 s6, 0, v11
	v_cmp_eq_u32_e64 s5, 0, v26
	s_delay_alu instid0(VALU_DEP_1) | instskip(NEXT) | instid1(SALU_CYCLE_1)
	s_and_b32 s6, s6, s5
	s_and_saveexec_b32 s5, s6
	s_cbranch_execz .LBB156_13
; %bb.12:
	s_waitcnt lgkmcnt(0)
	v_bcnt_u32_b32 v11, v11, v25
	ds_store_b32 v27, v11 offset:128
.LBB156_13:
	s_or_b32 exec_lo, exec_lo, s5
	v_cmp_lt_i64_e64 s5, -1, v[5:6]
	v_ashrrev_i32_e32 v12, 31, v6
	; wave barrier
	s_delay_alu instid0(VALU_DEP_1) | instskip(NEXT) | instid1(VALU_DEP_3)
	v_xor_b32_e32 v5, v12, v5
	v_cndmask_b32_e64 v11, -1, 0x80000000, s5
	s_delay_alu instid0(VALU_DEP_1) | instskip(NEXT) | instid1(VALU_DEP_1)
	v_xor_b32_e32 v6, v11, v6
	v_cmp_ne_u64_e64 s5, s[8:9], v[5:6]
	s_delay_alu instid0(VALU_DEP_1) | instskip(SKIP_1) | instid1(VALU_DEP_1)
	v_cndmask_b32_e64 v12, 0x80000000, v6, s5
	v_cndmask_b32_e64 v11, 0, v5, s5
	v_lshrrev_b64 v[11:12], s28, v[11:12]
	s_delay_alu instid0(VALU_DEP_1) | instskip(NEXT) | instid1(VALU_DEP_1)
	v_and_b32_e32 v11, s33, v11
	v_and_b32_e32 v12, 1, v11
	v_lshlrev_b32_e32 v13, 30, v11
	v_lshlrev_b32_e32 v14, 29, v11
	;; [unrolled: 1-line block ×4, first 2 shown]
	v_add_co_u32 v12, s5, v12, -1
	s_delay_alu instid0(VALU_DEP_1)
	v_cndmask_b32_e64 v16, 0, 1, s5
	v_not_b32_e32 v30, v13
	v_cmp_gt_i32_e64 s6, 0, v13
	v_not_b32_e32 v13, v14
	v_lshlrev_b32_e32 v28, 26, v11
	v_cmp_ne_u32_e64 s5, 0, v16
	v_ashrrev_i32_e32 v30, 31, v30
	v_lshlrev_b32_e32 v29, 25, v11
	v_ashrrev_i32_e32 v13, 31, v13
	v_lshlrev_b32_e32 v16, 24, v11
	v_xor_b32_e32 v12, s5, v12
	v_cmp_gt_i32_e64 s5, 0, v14
	v_not_b32_e32 v14, v15
	v_xor_b32_e32 v30, s6, v30
	v_cmp_gt_i32_e64 s6, 0, v15
	v_and_b32_e32 v12, exec_lo, v12
	v_not_b32_e32 v15, v17
	v_ashrrev_i32_e32 v14, 31, v14
	v_xor_b32_e32 v13, s5, v13
	v_cmp_gt_i32_e64 s5, 0, v17
	v_and_b32_e32 v12, v12, v30
	v_not_b32_e32 v17, v28
	v_ashrrev_i32_e32 v15, 31, v15
	v_xor_b32_e32 v14, s6, v14
	v_cmp_gt_i32_e64 s6, 0, v28
	v_and_b32_e32 v12, v12, v13
	;; [unrolled: 5-line block ×3, first 2 shown]
	v_not_b32_e32 v14, v16
	v_ashrrev_i32_e32 v13, 31, v13
	v_xor_b32_e32 v17, s6, v17
	v_lshl_add_u32 v11, v11, 5, v11
	v_and_b32_e32 v12, v12, v15
	v_cmp_gt_i32_e64 s6, 0, v16
	v_ashrrev_i32_e32 v14, 31, v14
	v_xor_b32_e32 v13, s5, v13
	v_add_lshl_u32 v30, v11, v10, 2
	v_and_b32_e32 v12, v12, v17
	s_delay_alu instid0(VALU_DEP_4) | instskip(SKIP_2) | instid1(VALU_DEP_1)
	v_xor_b32_e32 v11, s6, v14
	ds_load_b32 v28, v30 offset:128
	v_and_b32_e32 v12, v12, v13
	; wave barrier
	v_and_b32_e32 v11, v12, v11
	s_delay_alu instid0(VALU_DEP_1) | instskip(SKIP_1) | instid1(VALU_DEP_2)
	v_mbcnt_lo_u32_b32 v29, v11, 0
	v_cmp_ne_u32_e64 s6, 0, v11
	v_cmp_eq_u32_e64 s5, 0, v29
	s_delay_alu instid0(VALU_DEP_1) | instskip(NEXT) | instid1(SALU_CYCLE_1)
	s_and_b32 s6, s6, s5
	s_and_saveexec_b32 s5, s6
	s_cbranch_execz .LBB156_15
; %bb.14:
	s_waitcnt lgkmcnt(0)
	v_bcnt_u32_b32 v11, v11, v28
	ds_store_b32 v30, v11 offset:128
.LBB156_15:
	s_or_b32 exec_lo, exec_lo, s5
	v_cmp_lt_i64_e64 s5, -1, v[7:8]
	v_ashrrev_i32_e32 v12, 31, v8
	; wave barrier
	v_add_nc_u32_e32 v34, 0x80, v23
	s_delay_alu instid0(VALU_DEP_2) | instskip(NEXT) | instid1(VALU_DEP_4)
	v_xor_b32_e32 v7, v12, v7
	v_cndmask_b32_e64 v11, -1, 0x80000000, s5
	s_delay_alu instid0(VALU_DEP_1) | instskip(NEXT) | instid1(VALU_DEP_1)
	v_xor_b32_e32 v8, v11, v8
	v_cmp_ne_u64_e64 s5, s[8:9], v[7:8]
	s_delay_alu instid0(VALU_DEP_1) | instskip(SKIP_1) | instid1(VALU_DEP_1)
	v_cndmask_b32_e64 v12, 0x80000000, v8, s5
	v_cndmask_b32_e64 v11, 0, v7, s5
	v_lshrrev_b64 v[11:12], s28, v[11:12]
	s_delay_alu instid0(VALU_DEP_1) | instskip(NEXT) | instid1(VALU_DEP_1)
	v_and_b32_e32 v11, s33, v11
	v_and_b32_e32 v12, 1, v11
	v_lshlrev_b32_e32 v13, 30, v11
	v_lshlrev_b32_e32 v14, 29, v11
	;; [unrolled: 1-line block ×4, first 2 shown]
	v_add_co_u32 v12, s5, v12, -1
	s_delay_alu instid0(VALU_DEP_1)
	v_cndmask_b32_e64 v16, 0, 1, s5
	v_not_b32_e32 v33, v13
	v_cmp_gt_i32_e64 s6, 0, v13
	v_not_b32_e32 v13, v14
	v_lshlrev_b32_e32 v31, 26, v11
	v_cmp_ne_u32_e64 s5, 0, v16
	v_ashrrev_i32_e32 v33, 31, v33
	v_lshlrev_b32_e32 v32, 25, v11
	v_ashrrev_i32_e32 v13, 31, v13
	v_lshlrev_b32_e32 v16, 24, v11
	v_xor_b32_e32 v12, s5, v12
	v_cmp_gt_i32_e64 s5, 0, v14
	v_not_b32_e32 v14, v15
	v_xor_b32_e32 v33, s6, v33
	v_cmp_gt_i32_e64 s6, 0, v15
	v_and_b32_e32 v12, exec_lo, v12
	v_not_b32_e32 v15, v17
	v_ashrrev_i32_e32 v14, 31, v14
	v_xor_b32_e32 v13, s5, v13
	v_cmp_gt_i32_e64 s5, 0, v17
	v_and_b32_e32 v12, v12, v33
	v_not_b32_e32 v17, v31
	v_ashrrev_i32_e32 v15, 31, v15
	v_xor_b32_e32 v14, s6, v14
	v_cmp_gt_i32_e64 s6, 0, v31
	v_and_b32_e32 v12, v12, v13
	;; [unrolled: 5-line block ×3, first 2 shown]
	v_not_b32_e32 v14, v16
	v_ashrrev_i32_e32 v13, 31, v13
	v_xor_b32_e32 v17, s6, v17
	v_lshl_add_u32 v11, v11, 5, v11
	v_and_b32_e32 v12, v12, v15
	v_cmp_gt_i32_e64 s6, 0, v16
	v_ashrrev_i32_e32 v14, 31, v14
	v_xor_b32_e32 v13, s5, v13
	v_add_lshl_u32 v33, v11, v10, 2
	v_and_b32_e32 v12, v12, v17
	s_delay_alu instid0(VALU_DEP_4) | instskip(SKIP_2) | instid1(VALU_DEP_1)
	v_xor_b32_e32 v10, s6, v14
	ds_load_b32 v31, v33 offset:128
	v_and_b32_e32 v11, v12, v13
	; wave barrier
	v_and_b32_e32 v10, v11, v10
	s_delay_alu instid0(VALU_DEP_1) | instskip(SKIP_1) | instid1(VALU_DEP_2)
	v_mbcnt_lo_u32_b32 v32, v10, 0
	v_cmp_ne_u32_e64 s6, 0, v10
	v_cmp_eq_u32_e64 s5, 0, v32
	s_delay_alu instid0(VALU_DEP_1) | instskip(NEXT) | instid1(SALU_CYCLE_1)
	s_and_b32 s6, s6, s5
	s_and_saveexec_b32 s5, s6
	s_cbranch_execz .LBB156_17
; %bb.16:
	s_waitcnt lgkmcnt(0)
	v_bcnt_u32_b32 v10, v10, v31
	ds_store_b32 v33, v10 offset:128
.LBB156_17:
	s_or_b32 exec_lo, exec_lo, s5
	; wave barrier
	s_waitcnt lgkmcnt(0)
	s_barrier
	buffer_gl0_inv
	ds_load_2addr_b32 v[16:17], v23 offset0:32 offset1:33
	ds_load_2addr_b32 v[14:15], v34 offset0:2 offset1:3
	;; [unrolled: 1-line block ×4, first 2 shown]
	ds_load_b32 v35, v34 offset:32
	v_and_b32_e32 v38, 16, v18
	v_and_b32_e32 v39, 31, v9
	s_mov_b32 s11, exec_lo
	s_delay_alu instid0(VALU_DEP_2) | instskip(SKIP_3) | instid1(VALU_DEP_1)
	v_cmp_eq_u32_e64 s9, 0, v38
	s_waitcnt lgkmcnt(3)
	v_add3_u32 v36, v17, v16, v14
	s_waitcnt lgkmcnt(2)
	v_add3_u32 v36, v36, v15, v12
	s_waitcnt lgkmcnt(1)
	s_delay_alu instid0(VALU_DEP_1) | instskip(SKIP_1) | instid1(VALU_DEP_1)
	v_add3_u32 v36, v36, v13, v10
	s_waitcnt lgkmcnt(0)
	v_add3_u32 v35, v36, v11, v35
	v_and_b32_e32 v36, 15, v18
	s_delay_alu instid0(VALU_DEP_2) | instskip(NEXT) | instid1(VALU_DEP_2)
	v_mov_b32_dpp v37, v35 row_shr:1 row_mask:0xf bank_mask:0xf
	v_cmp_eq_u32_e64 s5, 0, v36
	v_cmp_lt_u32_e64 s6, 1, v36
	v_cmp_lt_u32_e64 s7, 3, v36
	;; [unrolled: 1-line block ×3, first 2 shown]
	s_delay_alu instid0(VALU_DEP_4) | instskip(NEXT) | instid1(VALU_DEP_1)
	v_cndmask_b32_e64 v37, v37, 0, s5
	v_add_nc_u32_e32 v35, v37, v35
	s_delay_alu instid0(VALU_DEP_1) | instskip(NEXT) | instid1(VALU_DEP_1)
	v_mov_b32_dpp v37, v35 row_shr:2 row_mask:0xf bank_mask:0xf
	v_cndmask_b32_e64 v37, 0, v37, s6
	s_delay_alu instid0(VALU_DEP_1) | instskip(NEXT) | instid1(VALU_DEP_1)
	v_add_nc_u32_e32 v35, v35, v37
	v_mov_b32_dpp v37, v35 row_shr:4 row_mask:0xf bank_mask:0xf
	s_delay_alu instid0(VALU_DEP_1) | instskip(NEXT) | instid1(VALU_DEP_1)
	v_cndmask_b32_e64 v37, 0, v37, s7
	v_add_nc_u32_e32 v35, v35, v37
	s_delay_alu instid0(VALU_DEP_1) | instskip(NEXT) | instid1(VALU_DEP_1)
	v_mov_b32_dpp v37, v35 row_shr:8 row_mask:0xf bank_mask:0xf
	v_cndmask_b32_e64 v36, 0, v37, s8
	v_bfe_i32 v37, v18, 4, 1
	s_delay_alu instid0(VALU_DEP_2) | instskip(SKIP_4) | instid1(VALU_DEP_2)
	v_add_nc_u32_e32 v35, v35, v36
	ds_swizzle_b32 v36, v35 offset:swizzle(BROADCAST,32,15)
	s_waitcnt lgkmcnt(0)
	v_and_b32_e32 v37, v37, v36
	v_lshrrev_b32_e32 v36, 5, v9
	v_add_nc_u32_e32 v35, v35, v37
	v_cmpx_eq_u32_e32 31, v39
	s_cbranch_execz .LBB156_19
; %bb.18:
	s_delay_alu instid0(VALU_DEP_3)
	v_lshlrev_b32_e32 v37, 2, v36
	ds_store_b32 v37, v35
.LBB156_19:
	s_or_b32 exec_lo, exec_lo, s11
	v_cmp_lt_u32_e64 s10, 31, v9
	s_mov_b32 s35, exec_lo
	s_waitcnt lgkmcnt(0)
	s_barrier
	buffer_gl0_inv
	v_cmpx_gt_u32_e32 32, v9
	s_cbranch_execz .LBB156_21
; %bb.20:
	ds_load_b32 v37, v21
	s_waitcnt lgkmcnt(0)
	v_mov_b32_dpp v38, v37 row_shr:1 row_mask:0xf bank_mask:0xf
	s_delay_alu instid0(VALU_DEP_1) | instskip(NEXT) | instid1(VALU_DEP_1)
	v_cndmask_b32_e64 v38, v38, 0, s5
	v_add_nc_u32_e32 v37, v38, v37
	s_delay_alu instid0(VALU_DEP_1) | instskip(NEXT) | instid1(VALU_DEP_1)
	v_mov_b32_dpp v38, v37 row_shr:2 row_mask:0xf bank_mask:0xf
	v_cndmask_b32_e64 v38, 0, v38, s6
	s_delay_alu instid0(VALU_DEP_1) | instskip(NEXT) | instid1(VALU_DEP_1)
	v_add_nc_u32_e32 v37, v37, v38
	v_mov_b32_dpp v38, v37 row_shr:4 row_mask:0xf bank_mask:0xf
	s_delay_alu instid0(VALU_DEP_1) | instskip(NEXT) | instid1(VALU_DEP_1)
	v_cndmask_b32_e64 v38, 0, v38, s7
	v_add_nc_u32_e32 v37, v37, v38
	s_delay_alu instid0(VALU_DEP_1) | instskip(NEXT) | instid1(VALU_DEP_1)
	v_mov_b32_dpp v38, v37 row_shr:8 row_mask:0xf bank_mask:0xf
	v_cndmask_b32_e64 v38, 0, v38, s8
	s_delay_alu instid0(VALU_DEP_1) | instskip(SKIP_3) | instid1(VALU_DEP_1)
	v_add_nc_u32_e32 v37, v37, v38
	ds_swizzle_b32 v38, v37 offset:swizzle(BROADCAST,32,15)
	s_waitcnt lgkmcnt(0)
	v_cndmask_b32_e64 v38, v38, 0, s9
	v_add_nc_u32_e32 v37, v37, v38
	ds_store_b32 v21, v37
.LBB156_21:
	s_or_b32 exec_lo, exec_lo, s35
	v_mov_b32_e32 v21, 0
	s_waitcnt lgkmcnt(0)
	s_barrier
	buffer_gl0_inv
	s_and_saveexec_b32 s5, s10
	s_cbranch_execz .LBB156_23
; %bb.22:
	v_lshl_add_u32 v21, v36, 2, -4
	ds_load_b32 v21, v21
.LBB156_23:
	s_or_b32 exec_lo, exec_lo, s5
	v_add_nc_u32_e32 v36, -1, v18
	s_waitcnt lgkmcnt(0)
	v_add_nc_u32_e32 v35, v21, v35
	s_delay_alu instid0(VALU_DEP_2) | instskip(NEXT) | instid1(VALU_DEP_1)
	v_cmp_gt_i32_e64 s5, 0, v36
	v_cndmask_b32_e64 v36, v36, v18, s5
	v_cmp_eq_u32_e64 s5, 0, v18
	s_delay_alu instid0(VALU_DEP_2) | instskip(SKIP_4) | instid1(VALU_DEP_1)
	v_lshlrev_b32_e32 v36, 2, v36
	ds_bpermute_b32 v35, v36, v35
	s_waitcnt lgkmcnt(0)
	v_cndmask_b32_e64 v21, v35, v21, s5
	v_cmp_ne_u32_e64 s5, 0, v9
	v_cndmask_b32_e64 v21, 0, v21, s5
	v_cmp_gt_u32_e64 s5, 0x100, v9
	s_delay_alu instid0(VALU_DEP_2) | instskip(NEXT) | instid1(VALU_DEP_1)
	v_add_nc_u32_e32 v16, v21, v16
	v_add_nc_u32_e32 v17, v16, v17
	s_delay_alu instid0(VALU_DEP_1) | instskip(NEXT) | instid1(VALU_DEP_1)
	v_add_nc_u32_e32 v14, v17, v14
	v_add_nc_u32_e32 v15, v14, v15
	s_delay_alu instid0(VALU_DEP_1) | instskip(NEXT) | instid1(VALU_DEP_1)
	;; [unrolled: 3-line block ×3, first 2 shown]
	v_add_nc_u32_e32 v10, v13, v10
	v_add_nc_u32_e32 v11, v10, v11
	ds_store_2addr_b32 v23, v21, v16 offset0:32 offset1:33
	ds_store_2addr_b32 v34, v17, v14 offset0:2 offset1:3
	;; [unrolled: 1-line block ×4, first 2 shown]
	ds_store_b32 v34, v11 offset:32
	s_waitcnt lgkmcnt(0)
	s_barrier
	buffer_gl0_inv
	ds_load_b32 v14, v24 offset:128
	ds_load_b32 v15, v27 offset:128
	;; [unrolled: 1-line block ×4, first 2 shown]
                                        ; implicit-def: $vgpr12
                                        ; implicit-def: $vgpr13
	s_and_saveexec_b32 s7, s5
	s_cbranch_execz .LBB156_27
; %bb.24:
	v_mul_u32_u24_e32 v12, 33, v9
	s_mov_b32 s8, exec_lo
	s_delay_alu instid0(VALU_DEP_1)
	v_dual_mov_b32 v13, 0x1000 :: v_dual_lshlrev_b32 v16, 2, v12
	ds_load_b32 v12, v16 offset:128
	v_cmpx_ne_u32_e32 0xff, v9
	s_cbranch_execz .LBB156_26
; %bb.25:
	ds_load_b32 v13, v16 offset:260
.LBB156_26:
	s_or_b32 exec_lo, exec_lo, s8
	s_waitcnt lgkmcnt(0)
	v_sub_nc_u32_e32 v13, v13, v12
.LBB156_27:
	s_or_b32 exec_lo, exec_lo, s7
	v_add_nc_u32_e32 v17, v32, v31
	v_add_nc_u32_e32 v16, v26, v25
	;; [unrolled: 1-line block ×3, first 2 shown]
	s_waitcnt lgkmcnt(3)
	v_add_lshl_u32 v14, v14, v22, 3
	s_waitcnt lgkmcnt(0)
	v_add_lshl_u32 v17, v17, v10, 3
	v_add_lshl_u32 v15, v16, v15, 3
	;; [unrolled: 1-line block ×3, first 2 shown]
	s_barrier
	buffer_gl0_inv
	ds_store_b64 v14, v[1:2] offset:2048
	ds_store_b64 v15, v[3:4] offset:2048
	;; [unrolled: 1-line block ×4, first 2 shown]
	s_waitcnt lgkmcnt(0)
	s_barrier
	buffer_gl0_inv
	s_and_saveexec_b32 s7, s5
	s_cbranch_execz .LBB156_37
; %bb.28:
	v_lshl_or_b32 v3, s15, 8, v9
	v_dual_mov_b32 v4, 0 :: v_dual_mov_b32 v7, 0
	s_mov_b32 s8, 0
	s_mov_b32 s9, s15
	s_delay_alu instid0(VALU_DEP_1) | instskip(SKIP_1) | instid1(VALU_DEP_2)
	v_lshlrev_b64 v[1:2], 2, v[3:4]
	v_or_b32_e32 v3, 2.0, v13
	v_add_co_u32 v1, s6, s12, v1
	s_delay_alu instid0(VALU_DEP_1)
	v_add_co_ci_u32_e64 v2, s6, s13, v2, s6
                                        ; implicit-def: $sgpr6
	global_store_b32 v[1:2], v3, off
	s_branch .LBB156_30
	.p2align	6
.LBB156_29:                             ;   in Loop: Header=BB156_30 Depth=1
	s_or_b32 exec_lo, exec_lo, s10
	v_and_b32_e32 v5, 0x3fffffff, v8
	v_cmp_eq_u32_e64 s6, 0x80000000, v3
	s_delay_alu instid0(VALU_DEP_2) | instskip(NEXT) | instid1(VALU_DEP_2)
	v_add_nc_u32_e32 v7, v5, v7
	s_and_b32 s10, exec_lo, s6
	s_delay_alu instid0(SALU_CYCLE_1) | instskip(NEXT) | instid1(SALU_CYCLE_1)
	s_or_b32 s8, s10, s8
	s_and_not1_b32 exec_lo, exec_lo, s8
	s_cbranch_execz .LBB156_36
.LBB156_30:                             ; =>This Loop Header: Depth=1
                                        ;     Child Loop BB156_33 Depth 2
	s_or_b32 s6, s6, exec_lo
	s_cmp_eq_u32 s9, 0
	s_cbranch_scc1 .LBB156_35
; %bb.31:                               ;   in Loop: Header=BB156_30 Depth=1
	s_add_i32 s9, s9, -1
	s_mov_b32 s10, exec_lo
	v_lshl_or_b32 v3, s9, 8, v9
	s_delay_alu instid0(VALU_DEP_1) | instskip(NEXT) | instid1(VALU_DEP_1)
	v_lshlrev_b64 v[5:6], 2, v[3:4]
	v_add_co_u32 v5, s6, s12, v5
	s_delay_alu instid0(VALU_DEP_1) | instskip(SKIP_3) | instid1(VALU_DEP_1)
	v_add_co_ci_u32_e64 v6, s6, s13, v6, s6
	global_load_b32 v8, v[5:6], off glc
	s_waitcnt vmcnt(0)
	v_and_b32_e32 v3, -2.0, v8
	v_cmpx_eq_u32_e32 0, v3
	s_cbranch_execz .LBB156_29
; %bb.32:                               ;   in Loop: Header=BB156_30 Depth=1
	s_mov_b32 s11, 0
.LBB156_33:                             ;   Parent Loop BB156_30 Depth=1
                                        ; =>  This Inner Loop Header: Depth=2
	global_load_b32 v8, v[5:6], off glc
	s_waitcnt vmcnt(0)
	v_and_b32_e32 v3, -2.0, v8
	s_delay_alu instid0(VALU_DEP_1) | instskip(NEXT) | instid1(VALU_DEP_1)
	v_cmp_ne_u32_e64 s6, 0, v3
	s_or_b32 s11, s6, s11
	s_delay_alu instid0(SALU_CYCLE_1)
	s_and_not1_b32 exec_lo, exec_lo, s11
	s_cbranch_execnz .LBB156_33
; %bb.34:                               ;   in Loop: Header=BB156_30 Depth=1
	s_or_b32 exec_lo, exec_lo, s11
	s_branch .LBB156_29
.LBB156_35:                             ;   in Loop: Header=BB156_30 Depth=1
                                        ; implicit-def: $sgpr9
	s_and_b32 s10, exec_lo, s6
	s_delay_alu instid0(SALU_CYCLE_1) | instskip(NEXT) | instid1(SALU_CYCLE_1)
	s_or_b32 s8, s10, s8
	s_and_not1_b32 exec_lo, exec_lo, s8
	s_cbranch_execnz .LBB156_30
.LBB156_36:
	s_or_b32 exec_lo, exec_lo, s8
	v_add_nc_u32_e32 v3, v7, v13
	v_lshlrev_b32_e32 v4, 3, v9
	s_delay_alu instid0(VALU_DEP_2) | instskip(SKIP_3) | instid1(VALU_DEP_1)
	v_or_b32_e32 v3, 0x80000000, v3
	global_store_b32 v[1:2], v3, off
	global_load_b64 v[1:2], v4, s[24:25]
	v_sub_co_u32 v3, s6, v7, v12
	v_sub_co_ci_u32_e64 v5, null, 0, 0, s6
	s_waitcnt vmcnt(0)
	s_delay_alu instid0(VALU_DEP_2) | instskip(NEXT) | instid1(VALU_DEP_1)
	v_add_co_u32 v1, s6, v3, v1
	v_add_co_ci_u32_e64 v2, s6, v5, v2, s6
	ds_store_b64 v4, v[1:2]
.LBB156_37:
	s_or_b32 exec_lo, exec_lo, s7
	v_cmp_gt_u32_e64 s6, s34, v9
	v_lshlrev_b32_e32 v21, 3, v9
	s_waitcnt lgkmcnt(0)
	s_waitcnt_vscnt null, 0x0
	s_barrier
	buffer_gl0_inv
	s_and_saveexec_b32 s8, s6
	s_cbranch_execz .LBB156_39
; %bb.38:
	ds_load_b64 v[1:2], v21 offset:2048
	s_mov_b32 s10, -1
	s_brev_b32 s11, -2
	s_waitcnt lgkmcnt(0)
	v_cmp_ne_u64_e64 s7, s[10:11], v[1:2]
	v_ashrrev_i32_e32 v5, 31, v2
	s_delay_alu instid0(VALU_DEP_1) | instskip(NEXT) | instid1(VALU_DEP_3)
	v_not_b32_e32 v5, v5
	v_cndmask_b32_e64 v4, 0x80000000, v2, s7
	v_cndmask_b32_e64 v3, 0, v1, s7
	v_cmp_lt_i64_e64 s7, -1, v[1:2]
	s_delay_alu instid0(VALU_DEP_4) | instskip(NEXT) | instid1(VALU_DEP_3)
	v_xor_b32_e32 v1, v5, v1
	v_lshrrev_b64 v[3:4], s28, v[3:4]
	s_delay_alu instid0(VALU_DEP_3) | instskip(NEXT) | instid1(VALU_DEP_2)
	v_cndmask_b32_e64 v6, 0x80000000, -1, s7
	v_and_b32_e32 v3, s33, v3
	s_delay_alu instid0(VALU_DEP_2) | instskip(NEXT) | instid1(VALU_DEP_2)
	v_xor_b32_e32 v2, v6, v2
	v_lshlrev_b32_e32 v3, 3, v3
	ds_load_b64 v[3:4], v3
	s_waitcnt lgkmcnt(0)
	v_lshlrev_b64 v[3:4], 3, v[3:4]
	s_delay_alu instid0(VALU_DEP_1) | instskip(NEXT) | instid1(VALU_DEP_1)
	v_add_co_u32 v3, s7, s18, v3
	v_add_co_ci_u32_e64 v4, s7, s19, v4, s7
	s_delay_alu instid0(VALU_DEP_2) | instskip(NEXT) | instid1(VALU_DEP_1)
	v_add_co_u32 v3, s7, v3, v21
	v_add_co_ci_u32_e64 v4, s7, 0, v4, s7
	global_store_b64 v[3:4], v[1:2], off
.LBB156_39:
	s_or_b32 exec_lo, exec_lo, s8
	v_or_b32_e32 v1, 0x400, v9
	s_delay_alu instid0(VALU_DEP_1) | instskip(SKIP_1) | instid1(VALU_DEP_2)
	v_cmp_gt_u32_e64 s7, s34, v1
	v_lshlrev_b32_e32 v22, 3, v1
	s_and_saveexec_b32 s9, s7
	s_cbranch_execz .LBB156_41
; %bb.40:
	ds_load_b64 v[1:2], v21 offset:10240
	s_mov_b32 s10, -1
	s_brev_b32 s11, -2
	s_waitcnt lgkmcnt(0)
	v_cmp_ne_u64_e64 s8, s[10:11], v[1:2]
	v_ashrrev_i32_e32 v5, 31, v2
	s_delay_alu instid0(VALU_DEP_1) | instskip(NEXT) | instid1(VALU_DEP_3)
	v_not_b32_e32 v5, v5
	v_cndmask_b32_e64 v4, 0x80000000, v2, s8
	v_cndmask_b32_e64 v3, 0, v1, s8
	v_cmp_lt_i64_e64 s8, -1, v[1:2]
	s_delay_alu instid0(VALU_DEP_4) | instskip(NEXT) | instid1(VALU_DEP_3)
	v_xor_b32_e32 v1, v5, v1
	v_lshrrev_b64 v[3:4], s28, v[3:4]
	s_delay_alu instid0(VALU_DEP_3) | instskip(NEXT) | instid1(VALU_DEP_2)
	v_cndmask_b32_e64 v6, 0x80000000, -1, s8
	v_and_b32_e32 v3, s33, v3
	s_delay_alu instid0(VALU_DEP_2) | instskip(NEXT) | instid1(VALU_DEP_2)
	v_xor_b32_e32 v2, v6, v2
	v_lshlrev_b32_e32 v3, 3, v3
	ds_load_b64 v[3:4], v3
	s_waitcnt lgkmcnt(0)
	v_lshlrev_b64 v[3:4], 3, v[3:4]
	s_delay_alu instid0(VALU_DEP_1) | instskip(NEXT) | instid1(VALU_DEP_1)
	v_add_co_u32 v3, s8, s18, v3
	v_add_co_ci_u32_e64 v4, s8, s19, v4, s8
	s_delay_alu instid0(VALU_DEP_2) | instskip(NEXT) | instid1(VALU_DEP_1)
	v_add_co_u32 v3, s8, v3, v22
	v_add_co_ci_u32_e64 v4, s8, 0, v4, s8
	global_store_b64 v[3:4], v[1:2], off
.LBB156_41:
	s_or_b32 exec_lo, exec_lo, s9
	v_or_b32_e32 v1, 0x800, v9
	s_delay_alu instid0(VALU_DEP_1) | instskip(SKIP_1) | instid1(VALU_DEP_2)
	v_cmp_gt_u32_e64 s8, s34, v1
	v_lshlrev_b32_e32 v23, 3, v1
	;; [unrolled: 39-line block ×3, first 2 shown]
	s_and_saveexec_b32 s11, s9
	s_cbranch_execz .LBB156_45
; %bb.44:
	ds_load_b64 v[1:2], v21 offset:26624
	s_mov_b32 s34, -1
	s_brev_b32 s35, -2
	s_waitcnt lgkmcnt(0)
	v_cmp_ne_u64_e64 s10, s[34:35], v[1:2]
	v_ashrrev_i32_e32 v5, 31, v2
	s_delay_alu instid0(VALU_DEP_1) | instskip(NEXT) | instid1(VALU_DEP_3)
	v_not_b32_e32 v5, v5
	v_cndmask_b32_e64 v4, 0x80000000, v2, s10
	v_cndmask_b32_e64 v3, 0, v1, s10
	v_cmp_lt_i64_e64 s10, -1, v[1:2]
	s_delay_alu instid0(VALU_DEP_4) | instskip(NEXT) | instid1(VALU_DEP_3)
	v_xor_b32_e32 v1, v5, v1
	v_lshrrev_b64 v[3:4], s28, v[3:4]
	s_delay_alu instid0(VALU_DEP_3) | instskip(NEXT) | instid1(VALU_DEP_2)
	v_cndmask_b32_e64 v6, 0x80000000, -1, s10
	v_and_b32_e32 v3, s33, v3
	s_delay_alu instid0(VALU_DEP_2) | instskip(NEXT) | instid1(VALU_DEP_2)
	v_xor_b32_e32 v2, v6, v2
	v_lshlrev_b32_e32 v3, 3, v3
	ds_load_b64 v[3:4], v3
	s_waitcnt lgkmcnt(0)
	v_lshlrev_b64 v[3:4], 3, v[3:4]
	s_delay_alu instid0(VALU_DEP_1) | instskip(NEXT) | instid1(VALU_DEP_1)
	v_add_co_u32 v3, s10, s18, v3
	v_add_co_ci_u32_e64 v4, s10, s19, v4, s10
	s_delay_alu instid0(VALU_DEP_2) | instskip(NEXT) | instid1(VALU_DEP_1)
	v_add_co_u32 v3, s10, v3, v24
	v_add_co_ci_u32_e64 v4, s10, 0, v4, s10
	global_store_b64 v[3:4], v[1:2], off
.LBB156_45:
	s_or_b32 exec_lo, exec_lo, s11
	s_add_u32 s10, s20, s30
	s_addc_u32 s11, s21, s31
	v_add_co_u32 v1, s10, s10, v19
	s_delay_alu instid0(VALU_DEP_1) | instskip(NEXT) | instid1(VALU_DEP_2)
	v_add_co_ci_u32_e64 v2, null, s11, 0, s10
	v_add_co_u32 v10, s10, v1, v20
	s_delay_alu instid0(VALU_DEP_1) | instskip(SKIP_1) | instid1(SALU_CYCLE_1)
	v_add_co_ci_u32_e64 v11, s10, 0, v2, s10
                                        ; implicit-def: $vgpr1_vgpr2
	s_and_saveexec_b32 s10, vcc_lo
	s_xor_b32 s10, exec_lo, s10
	s_cbranch_execnz .LBB156_103
; %bb.46:
	s_or_b32 exec_lo, exec_lo, s10
                                        ; implicit-def: $vgpr3_vgpr4
	s_and_saveexec_b32 s10, s2
	s_cbranch_execnz .LBB156_104
.LBB156_47:
	s_or_b32 exec_lo, exec_lo, s10
                                        ; implicit-def: $vgpr5_vgpr6
	s_and_saveexec_b32 s2, s3
	s_cbranch_execnz .LBB156_105
.LBB156_48:
	s_or_b32 exec_lo, exec_lo, s2
                                        ; implicit-def: $vgpr7_vgpr8
	s_and_saveexec_b32 s2, s4
	s_cbranch_execz .LBB156_50
.LBB156_49:
	global_load_b64 v[7:8], v[10:11], off offset:768
.LBB156_50:
	s_or_b32 exec_lo, exec_lo, s2
	v_dual_mov_b32 v10, 0 :: v_dual_mov_b32 v19, 0
	s_and_saveexec_b32 s2, s6
	s_cbranch_execz .LBB156_52
; %bb.51:
	ds_load_b64 v[19:20], v21 offset:2048
	s_mov_b32 s10, -1
	s_brev_b32 s11, -2
	s_waitcnt lgkmcnt(0)
	v_cmp_ne_u64_e32 vcc_lo, s[10:11], v[19:20]
	v_cndmask_b32_e32 v20, 0x80000000, v20, vcc_lo
	v_cndmask_b32_e32 v19, 0, v19, vcc_lo
	s_delay_alu instid0(VALU_DEP_1) | instskip(NEXT) | instid1(VALU_DEP_1)
	v_lshrrev_b64 v[19:20], s28, v[19:20]
	v_and_b32_e32 v19, s33, v19
.LBB156_52:
	s_or_b32 exec_lo, exec_lo, s2
	s_and_saveexec_b32 s2, s7
	s_cbranch_execz .LBB156_54
; %bb.53:
	ds_load_b64 v[10:11], v21 offset:10240
	s_mov_b32 s10, -1
	s_brev_b32 s11, -2
	s_waitcnt lgkmcnt(0)
	v_cmp_ne_u64_e32 vcc_lo, s[10:11], v[10:11]
	v_cndmask_b32_e32 v11, 0x80000000, v11, vcc_lo
	v_cndmask_b32_e32 v10, 0, v10, vcc_lo
	s_delay_alu instid0(VALU_DEP_1) | instskip(NEXT) | instid1(VALU_DEP_1)
	v_lshrrev_b64 v[10:11], s28, v[10:11]
	v_and_b32_e32 v10, s33, v10
.LBB156_54:
	s_or_b32 exec_lo, exec_lo, s2
	v_dual_mov_b32 v11, 0 :: v_dual_mov_b32 v20, 0
	s_and_saveexec_b32 s2, s8
	s_cbranch_execz .LBB156_56
; %bb.55:
	ds_load_b64 v[25:26], v21 offset:18432
	s_mov_b32 s10, -1
	s_brev_b32 s11, -2
	s_waitcnt lgkmcnt(0)
	v_cmp_ne_u64_e32 vcc_lo, s[10:11], v[25:26]
	v_cndmask_b32_e32 v26, 0x80000000, v26, vcc_lo
	v_cndmask_b32_e32 v25, 0, v25, vcc_lo
	s_delay_alu instid0(VALU_DEP_1) | instskip(NEXT) | instid1(VALU_DEP_1)
	v_lshrrev_b64 v[25:26], s28, v[25:26]
	v_and_b32_e32 v20, s33, v25
.LBB156_56:
	s_or_b32 exec_lo, exec_lo, s2
	s_and_saveexec_b32 s2, s9
	s_cbranch_execz .LBB156_58
; %bb.57:
	ds_load_b64 v[25:26], v21 offset:26624
	s_mov_b32 s10, -1
	s_brev_b32 s11, -2
	s_waitcnt lgkmcnt(0)
	v_cmp_ne_u64_e32 vcc_lo, s[10:11], v[25:26]
	v_cndmask_b32_e32 v26, 0x80000000, v26, vcc_lo
	v_cndmask_b32_e32 v25, 0, v25, vcc_lo
	s_delay_alu instid0(VALU_DEP_1) | instskip(NEXT) | instid1(VALU_DEP_1)
	v_lshrrev_b64 v[25:26], s28, v[25:26]
	v_and_b32_e32 v11, s33, v25
.LBB156_58:
	s_or_b32 exec_lo, exec_lo, s2
	s_waitcnt vmcnt(0)
	s_waitcnt_vscnt null, 0x0
	s_barrier
	buffer_gl0_inv
	ds_store_b64 v14, v[1:2] offset:2048
	ds_store_b64 v15, v[3:4] offset:2048
	;; [unrolled: 1-line block ×4, first 2 shown]
	s_waitcnt lgkmcnt(0)
	s_barrier
	buffer_gl0_inv
	s_and_saveexec_b32 s2, s6
	s_cbranch_execnz .LBB156_106
; %bb.59:
	s_or_b32 exec_lo, exec_lo, s2
	s_and_saveexec_b32 s2, s7
	s_cbranch_execnz .LBB156_107
.LBB156_60:
	s_or_b32 exec_lo, exec_lo, s2
	s_and_saveexec_b32 s2, s8
	s_cbranch_execnz .LBB156_108
.LBB156_61:
	s_or_b32 exec_lo, exec_lo, s2
	s_and_saveexec_b32 s2, s9
	s_cbranch_execz .LBB156_63
.LBB156_62:
	v_lshlrev_b32_e32 v1, 3, v11
	ds_load_b64 v[1:2], v1
	ds_load_b64 v[3:4], v21 offset:26624
	s_waitcnt lgkmcnt(1)
	v_lshlrev_b64 v[1:2], 3, v[1:2]
	s_delay_alu instid0(VALU_DEP_1) | instskip(NEXT) | instid1(VALU_DEP_2)
	v_add_co_u32 v1, vcc_lo, s22, v1
	v_add_co_ci_u32_e32 v2, vcc_lo, s23, v2, vcc_lo
	s_delay_alu instid0(VALU_DEP_2) | instskip(NEXT) | instid1(VALU_DEP_2)
	v_add_co_u32 v1, vcc_lo, v1, v24
	v_add_co_ci_u32_e32 v2, vcc_lo, 0, v2, vcc_lo
	s_waitcnt lgkmcnt(0)
	global_store_b64 v[1:2], v[3:4], off
.LBB156_63:
	s_or_b32 exec_lo, exec_lo, s2
	s_add_i32 s14, s14, -1
	s_mov_b32 s2, 0
	s_cmp_eq_u32 s15, s14
	s_mov_b32 s8, 0
	s_cselect_b32 s3, -1, 0
                                        ; implicit-def: $vgpr1_vgpr2
	s_delay_alu instid0(SALU_CYCLE_1) | instskip(NEXT) | instid1(SALU_CYCLE_1)
	s_and_b32 s3, s5, s3
	s_and_saveexec_b32 s4, s3
	s_delay_alu instid0(SALU_CYCLE_1)
	s_xor_b32 s3, exec_lo, s4
; %bb.64:
	v_add_co_u32 v1, s4, v12, v13
	v_mov_b32_e32 v10, 0
	v_add_co_ci_u32_e64 v2, null, 0, 0, s4
	s_mov_b32 s8, exec_lo
; %bb.65:
	s_or_b32 exec_lo, exec_lo, s3
	s_delay_alu instid0(SALU_CYCLE_1)
	s_and_b32 vcc_lo, exec_lo, s2
	s_cbranch_vccnz .LBB156_67
	s_branch .LBB156_100
.LBB156_66:
	s_mov_b32 s8, 0
                                        ; implicit-def: $vgpr1_vgpr2
	s_cbranch_execz .LBB156_100
.LBB156_67:
	v_lshlrev_b32_e32 v21, 2, v9
	s_lshl_b32 s2, s15, 12
	s_mov_b32 s3, 0
	v_lshlrev_b32_e32 v19, 3, v18
	s_lshl_b64 s[6:7], s[2:3], 3
	v_and_b32_e32 v1, 0xf80, v21
	s_add_u32 s2, s16, s6
	s_addc_u32 s3, s17, s7
	s_delay_alu instid0(VALU_DEP_1) | instskip(SKIP_1) | instid1(VALU_DEP_1)
	v_dual_mov_b32 v13, 0 :: v_dual_lshlrev_b32 v20, 3, v1
	v_add_co_u32 v1, s2, s2, v19
	v_add_co_ci_u32_e64 v2, null, s3, 0, s2
	s_delay_alu instid0(VALU_DEP_2) | instskip(NEXT) | instid1(VALU_DEP_2)
	v_add_co_u32 v1, vcc_lo, v1, v20
	v_add_co_ci_u32_e32 v2, vcc_lo, 0, v2, vcc_lo
	global_load_b64 v[10:11], v[1:2], off
	s_clause 0x1
	s_load_b32 s2, s[0:1], 0x5c
	s_load_b32 s9, s[0:1], 0x50
	s_add_u32 s0, s0, 0x50
	s_addc_u32 s1, s1, 0
	s_waitcnt lgkmcnt(0)
	s_lshr_b32 s4, s2, 16
	s_cmp_lt_u32 s15, s9
	s_cselect_b32 s2, 12, 18
	s_delay_alu instid0(SALU_CYCLE_1)
	s_add_u32 s0, s0, s2
	s_addc_u32 s1, s1, 0
	global_load_u16 v14, v13, s[0:1]
	s_clause 0x2
	global_load_b64 v[3:4], v[1:2], off offset:256
	global_load_b64 v[7:8], v[1:2], off offset:512
	;; [unrolled: 1-line block ×3, first 2 shown]
	s_mov_b32 s2, -1
	s_brev_b32 s3, -2
	s_lshl_b32 s0, -1, s29
	s_delay_alu instid0(SALU_CYCLE_1) | instskip(SKIP_4) | instid1(VALU_DEP_1)
	s_not_b32 s10, s0
	s_waitcnt vmcnt(4)
	v_cmp_lt_i64_e32 vcc_lo, -1, v[10:11]
	v_ashrrev_i32_e32 v12, 31, v11
	v_cndmask_b32_e64 v1, -1, 0x80000000, vcc_lo
	v_xor_b32_e32 v2, v1, v11
	s_delay_alu instid0(VALU_DEP_3) | instskip(NEXT) | instid1(VALU_DEP_1)
	v_xor_b32_e32 v1, v12, v10
	v_cmp_ne_u64_e32 vcc_lo, s[2:3], v[1:2]
	v_cndmask_b32_e32 v11, 0x80000000, v2, vcc_lo
	v_cndmask_b32_e32 v10, 0, v1, vcc_lo
	s_delay_alu instid0(VALU_DEP_1) | instskip(NEXT) | instid1(VALU_DEP_1)
	v_lshrrev_b64 v[10:11], s28, v[10:11]
	v_and_b32_e32 v15, s10, v10
	v_bfe_u32 v10, v0, 10, 10
	v_bfe_u32 v0, v0, 20, 10
	s_delay_alu instid0(VALU_DEP_3)
	v_lshlrev_b32_e32 v12, 30, v15
	v_and_b32_e32 v11, 1, v15
	v_lshlrev_b32_e32 v16, 29, v15
	v_lshlrev_b32_e32 v17, 28, v15
	;; [unrolled: 1-line block ×3, first 2 shown]
	v_not_b32_e32 v26, v12
	v_add_co_u32 v11, s0, v11, -1
	s_delay_alu instid0(VALU_DEP_1)
	v_cndmask_b32_e64 v22, 0, 1, s0
	v_cmp_gt_i32_e64 s0, 0, v12
	v_not_b32_e32 v12, v16
	v_ashrrev_i32_e32 v26, 31, v26
	v_lshlrev_b32_e32 v24, 26, v15
	v_cmp_ne_u32_e32 vcc_lo, 0, v22
	v_lshlrev_b32_e32 v25, 25, v15
	v_ashrrev_i32_e32 v12, 31, v12
	v_xor_b32_e32 v26, s0, v26
	v_cmp_gt_i32_e64 s0, 0, v17
	v_xor_b32_e32 v11, vcc_lo, v11
	v_cmp_gt_i32_e32 vcc_lo, 0, v16
	v_not_b32_e32 v16, v17
	v_not_b32_e32 v17, v23
	v_lshlrev_b32_e32 v22, 24, v15
	v_and_b32_e32 v11, exec_lo, v11
	v_xor_b32_e32 v12, vcc_lo, v12
	v_ashrrev_i32_e32 v16, 31, v16
	v_cmp_gt_i32_e32 vcc_lo, 0, v23
	v_not_b32_e32 v23, v24
	v_and_b32_e32 v11, v11, v26
	v_ashrrev_i32_e32 v17, 31, v17
	v_xor_b32_e32 v16, s0, v16
	v_cmp_gt_i32_e64 s0, 0, v24
	v_ashrrev_i32_e32 v23, 31, v23
	v_and_b32_e32 v11, v11, v12
	v_not_b32_e32 v12, v25
	v_xor_b32_e32 v17, vcc_lo, v17
	v_cmp_gt_i32_e32 vcc_lo, 0, v25
	v_xor_b32_e32 v23, s0, v23
	v_and_b32_e32 v11, v11, v16
	v_not_b32_e32 v16, v22
	v_ashrrev_i32_e32 v12, 31, v12
	v_cmp_gt_i32_e64 s0, 0, v22
	v_mad_u32_u24 v0, v0, s4, v10
	v_and_b32_e32 v11, v11, v17
	v_ashrrev_i32_e32 v16, 31, v16
	v_xor_b32_e32 v12, vcc_lo, v12
	v_mul_u32_u24_e32 v17, 9, v9
	s_delay_alu instid0(VALU_DEP_4) | instskip(NEXT) | instid1(VALU_DEP_4)
	v_and_b32_e32 v11, v11, v23
	v_xor_b32_e32 v10, s0, v16
	s_delay_alu instid0(VALU_DEP_3)
	v_lshlrev_b32_e32 v22, 2, v17
	ds_store_2addr_b32 v22, v13, v13 offset0:32 offset1:33
	ds_store_2addr_b32 v22, v13, v13 offset0:34 offset1:35
	ds_store_2addr_b32 v22, v13, v13 offset0:36 offset1:37
	ds_store_2addr_b32 v22, v13, v13 offset0:38 offset1:39
	v_and_b32_e32 v16, v11, v12
	s_waitcnt vmcnt(3)
	v_mad_u64_u32 v[11:12], null, v0, v14, v[9:10]
	ds_store_b32 v22, v13 offset:160
	s_waitcnt vmcnt(0) lgkmcnt(0)
	s_waitcnt_vscnt null, 0x0
	v_and_b32_e32 v10, v16, v10
	s_barrier
	buffer_gl0_inv
	v_lshrrev_b32_e32 v12, 5, v11
	v_mbcnt_lo_u32_b32 v0, v10, 0
	v_lshl_add_u32 v11, v15, 5, v15
	v_cmp_ne_u32_e64 s0, 0, v10
	; wave barrier
	s_delay_alu instid0(VALU_DEP_3) | instskip(NEXT) | instid1(VALU_DEP_3)
	v_cmp_eq_u32_e32 vcc_lo, 0, v0
	v_add_lshl_u32 v23, v12, v11, 2
	s_delay_alu instid0(VALU_DEP_3) | instskip(NEXT) | instid1(SALU_CYCLE_1)
	s_and_b32 s1, s0, vcc_lo
	s_and_saveexec_b32 s0, s1
	s_cbranch_execz .LBB156_69
; %bb.68:
	v_bcnt_u32_b32 v10, v10, 0
	ds_store_b32 v23, v10 offset:128
.LBB156_69:
	s_or_b32 exec_lo, exec_lo, s0
	v_cmp_lt_i64_e32 vcc_lo, -1, v[3:4]
	v_ashrrev_i32_e32 v11, 31, v4
	; wave barrier
	s_delay_alu instid0(VALU_DEP_1) | instskip(SKIP_1) | instid1(VALU_DEP_1)
	v_xor_b32_e32 v3, v11, v3
	v_cndmask_b32_e64 v10, -1, 0x80000000, vcc_lo
	v_xor_b32_e32 v4, v10, v4
	s_delay_alu instid0(VALU_DEP_1) | instskip(SKIP_2) | instid1(VALU_DEP_1)
	v_cmp_ne_u64_e32 vcc_lo, s[2:3], v[3:4]
	v_cndmask_b32_e32 v11, 0x80000000, v4, vcc_lo
	v_cndmask_b32_e32 v10, 0, v3, vcc_lo
	v_lshrrev_b64 v[10:11], s28, v[10:11]
	s_delay_alu instid0(VALU_DEP_1) | instskip(NEXT) | instid1(VALU_DEP_1)
	v_and_b32_e32 v10, s10, v10
	v_and_b32_e32 v11, 1, v10
	v_lshlrev_b32_e32 v13, 30, v10
	v_lshlrev_b32_e32 v14, 29, v10
	;; [unrolled: 1-line block ×4, first 2 shown]
	v_add_co_u32 v11, s0, v11, -1
	s_delay_alu instid0(VALU_DEP_1)
	v_cndmask_b32_e64 v16, 0, 1, s0
	v_not_b32_e32 v26, v13
	v_cmp_gt_i32_e64 s0, 0, v13
	v_not_b32_e32 v13, v14
	v_lshlrev_b32_e32 v24, 26, v10
	v_cmp_ne_u32_e32 vcc_lo, 0, v16
	v_ashrrev_i32_e32 v26, 31, v26
	v_lshlrev_b32_e32 v25, 25, v10
	v_ashrrev_i32_e32 v13, 31, v13
	v_lshlrev_b32_e32 v16, 24, v10
	v_xor_b32_e32 v11, vcc_lo, v11
	v_cmp_gt_i32_e32 vcc_lo, 0, v14
	v_not_b32_e32 v14, v15
	v_xor_b32_e32 v26, s0, v26
	v_cmp_gt_i32_e64 s0, 0, v15
	v_and_b32_e32 v11, exec_lo, v11
	v_not_b32_e32 v15, v17
	v_ashrrev_i32_e32 v14, 31, v14
	v_xor_b32_e32 v13, vcc_lo, v13
	v_cmp_gt_i32_e32 vcc_lo, 0, v17
	v_and_b32_e32 v11, v11, v26
	v_not_b32_e32 v17, v24
	v_ashrrev_i32_e32 v15, 31, v15
	v_xor_b32_e32 v14, s0, v14
	v_cmp_gt_i32_e64 s0, 0, v24
	v_and_b32_e32 v11, v11, v13
	v_not_b32_e32 v13, v25
	v_ashrrev_i32_e32 v17, 31, v17
	v_xor_b32_e32 v15, vcc_lo, v15
	v_cmp_gt_i32_e32 vcc_lo, 0, v25
	v_and_b32_e32 v11, v11, v14
	v_not_b32_e32 v14, v16
	v_ashrrev_i32_e32 v13, 31, v13
	v_xor_b32_e32 v17, s0, v17
	v_lshl_add_u32 v10, v10, 5, v10
	v_and_b32_e32 v11, v11, v15
	v_cmp_gt_i32_e64 s0, 0, v16
	v_ashrrev_i32_e32 v14, 31, v14
	v_xor_b32_e32 v13, vcc_lo, v13
	v_add_lshl_u32 v26, v12, v10, 2
	v_and_b32_e32 v11, v11, v17
	s_delay_alu instid0(VALU_DEP_4) | instskip(SKIP_2) | instid1(VALU_DEP_1)
	v_xor_b32_e32 v10, s0, v14
	ds_load_b32 v24, v26 offset:128
	v_and_b32_e32 v11, v11, v13
	; wave barrier
	v_and_b32_e32 v10, v11, v10
	s_delay_alu instid0(VALU_DEP_1) | instskip(SKIP_1) | instid1(VALU_DEP_2)
	v_mbcnt_lo_u32_b32 v25, v10, 0
	v_cmp_ne_u32_e64 s0, 0, v10
	v_cmp_eq_u32_e32 vcc_lo, 0, v25
	s_delay_alu instid0(VALU_DEP_2) | instskip(NEXT) | instid1(SALU_CYCLE_1)
	s_and_b32 s1, s0, vcc_lo
	s_and_saveexec_b32 s0, s1
	s_cbranch_execz .LBB156_71
; %bb.70:
	s_waitcnt lgkmcnt(0)
	v_bcnt_u32_b32 v10, v10, v24
	ds_store_b32 v26, v10 offset:128
.LBB156_71:
	s_or_b32 exec_lo, exec_lo, s0
	v_cmp_lt_i64_e32 vcc_lo, -1, v[7:8]
	v_ashrrev_i32_e32 v11, 31, v8
	; wave barrier
	s_delay_alu instid0(VALU_DEP_1) | instskip(SKIP_1) | instid1(VALU_DEP_1)
	v_xor_b32_e32 v7, v11, v7
	v_cndmask_b32_e64 v10, -1, 0x80000000, vcc_lo
	v_xor_b32_e32 v8, v10, v8
	s_delay_alu instid0(VALU_DEP_1) | instskip(SKIP_2) | instid1(VALU_DEP_1)
	v_cmp_ne_u64_e32 vcc_lo, s[2:3], v[7:8]
	v_cndmask_b32_e32 v11, 0x80000000, v8, vcc_lo
	v_cndmask_b32_e32 v10, 0, v7, vcc_lo
	v_lshrrev_b64 v[10:11], s28, v[10:11]
	s_delay_alu instid0(VALU_DEP_1) | instskip(NEXT) | instid1(VALU_DEP_1)
	v_and_b32_e32 v10, s10, v10
	v_and_b32_e32 v11, 1, v10
	v_lshlrev_b32_e32 v13, 30, v10
	v_lshlrev_b32_e32 v14, 29, v10
	;; [unrolled: 1-line block ×4, first 2 shown]
	v_add_co_u32 v11, s0, v11, -1
	s_delay_alu instid0(VALU_DEP_1)
	v_cndmask_b32_e64 v16, 0, 1, s0
	v_not_b32_e32 v29, v13
	v_cmp_gt_i32_e64 s0, 0, v13
	v_not_b32_e32 v13, v14
	v_lshlrev_b32_e32 v27, 26, v10
	v_cmp_ne_u32_e32 vcc_lo, 0, v16
	v_ashrrev_i32_e32 v29, 31, v29
	v_lshlrev_b32_e32 v28, 25, v10
	v_ashrrev_i32_e32 v13, 31, v13
	v_lshlrev_b32_e32 v16, 24, v10
	v_xor_b32_e32 v11, vcc_lo, v11
	v_cmp_gt_i32_e32 vcc_lo, 0, v14
	v_not_b32_e32 v14, v15
	v_xor_b32_e32 v29, s0, v29
	v_cmp_gt_i32_e64 s0, 0, v15
	v_and_b32_e32 v11, exec_lo, v11
	v_not_b32_e32 v15, v17
	v_ashrrev_i32_e32 v14, 31, v14
	v_xor_b32_e32 v13, vcc_lo, v13
	v_cmp_gt_i32_e32 vcc_lo, 0, v17
	v_and_b32_e32 v11, v11, v29
	v_not_b32_e32 v17, v27
	v_ashrrev_i32_e32 v15, 31, v15
	v_xor_b32_e32 v14, s0, v14
	v_cmp_gt_i32_e64 s0, 0, v27
	v_and_b32_e32 v11, v11, v13
	v_not_b32_e32 v13, v28
	v_ashrrev_i32_e32 v17, 31, v17
	v_xor_b32_e32 v15, vcc_lo, v15
	v_cmp_gt_i32_e32 vcc_lo, 0, v28
	v_and_b32_e32 v11, v11, v14
	v_not_b32_e32 v14, v16
	v_ashrrev_i32_e32 v13, 31, v13
	v_xor_b32_e32 v17, s0, v17
	v_lshl_add_u32 v10, v10, 5, v10
	v_and_b32_e32 v11, v11, v15
	v_cmp_gt_i32_e64 s0, 0, v16
	v_ashrrev_i32_e32 v14, 31, v14
	v_xor_b32_e32 v13, vcc_lo, v13
	v_add_lshl_u32 v29, v10, v12, 2
	v_and_b32_e32 v11, v11, v17
	s_delay_alu instid0(VALU_DEP_4) | instskip(SKIP_2) | instid1(VALU_DEP_1)
	v_xor_b32_e32 v10, s0, v14
	ds_load_b32 v27, v29 offset:128
	v_and_b32_e32 v11, v11, v13
	; wave barrier
	v_and_b32_e32 v10, v11, v10
	s_delay_alu instid0(VALU_DEP_1) | instskip(SKIP_1) | instid1(VALU_DEP_2)
	v_mbcnt_lo_u32_b32 v28, v10, 0
	v_cmp_ne_u32_e64 s0, 0, v10
	v_cmp_eq_u32_e32 vcc_lo, 0, v28
	s_delay_alu instid0(VALU_DEP_2) | instskip(NEXT) | instid1(SALU_CYCLE_1)
	s_and_b32 s1, s0, vcc_lo
	s_and_saveexec_b32 s0, s1
	s_cbranch_execz .LBB156_73
; %bb.72:
	s_waitcnt lgkmcnt(0)
	v_bcnt_u32_b32 v10, v10, v27
	ds_store_b32 v29, v10 offset:128
.LBB156_73:
	s_or_b32 exec_lo, exec_lo, s0
	v_cmp_lt_i64_e32 vcc_lo, -1, v[5:6]
	v_ashrrev_i32_e32 v13, 31, v6
	; wave barrier
	v_add_nc_u32_e32 v33, 0x80, v22
	v_cndmask_b32_e64 v10, -1, 0x80000000, vcc_lo
	s_delay_alu instid0(VALU_DEP_1) | instskip(NEXT) | instid1(VALU_DEP_4)
	v_xor_b32_e32 v11, v10, v6
	v_xor_b32_e32 v10, v13, v5
	s_delay_alu instid0(VALU_DEP_1) | instskip(SKIP_2) | instid1(VALU_DEP_1)
	v_cmp_ne_u64_e32 vcc_lo, s[2:3], v[10:11]
	v_cndmask_b32_e32 v6, 0x80000000, v11, vcc_lo
	v_cndmask_b32_e32 v5, 0, v10, vcc_lo
	v_lshrrev_b64 v[5:6], s28, v[5:6]
	s_delay_alu instid0(VALU_DEP_1) | instskip(NEXT) | instid1(VALU_DEP_1)
	v_and_b32_e32 v5, s10, v5
	v_and_b32_e32 v6, 1, v5
	v_lshlrev_b32_e32 v13, 30, v5
	v_lshlrev_b32_e32 v14, 29, v5
	;; [unrolled: 1-line block ×4, first 2 shown]
	v_add_co_u32 v6, s0, v6, -1
	s_delay_alu instid0(VALU_DEP_1)
	v_cndmask_b32_e64 v16, 0, 1, s0
	v_not_b32_e32 v32, v13
	v_cmp_gt_i32_e64 s0, 0, v13
	v_not_b32_e32 v13, v14
	v_lshlrev_b32_e32 v30, 26, v5
	v_cmp_ne_u32_e32 vcc_lo, 0, v16
	v_ashrrev_i32_e32 v32, 31, v32
	v_lshlrev_b32_e32 v31, 25, v5
	v_ashrrev_i32_e32 v13, 31, v13
	v_lshlrev_b32_e32 v16, 24, v5
	v_xor_b32_e32 v6, vcc_lo, v6
	v_cmp_gt_i32_e32 vcc_lo, 0, v14
	v_not_b32_e32 v14, v15
	v_xor_b32_e32 v32, s0, v32
	v_cmp_gt_i32_e64 s0, 0, v15
	v_and_b32_e32 v6, exec_lo, v6
	v_not_b32_e32 v15, v17
	v_ashrrev_i32_e32 v14, 31, v14
	v_xor_b32_e32 v13, vcc_lo, v13
	v_cmp_gt_i32_e32 vcc_lo, 0, v17
	v_and_b32_e32 v6, v6, v32
	v_not_b32_e32 v17, v30
	v_ashrrev_i32_e32 v15, 31, v15
	v_xor_b32_e32 v14, s0, v14
	v_cmp_gt_i32_e64 s0, 0, v30
	v_and_b32_e32 v6, v6, v13
	v_not_b32_e32 v13, v31
	v_ashrrev_i32_e32 v17, 31, v17
	v_xor_b32_e32 v15, vcc_lo, v15
	v_cmp_gt_i32_e32 vcc_lo, 0, v31
	v_and_b32_e32 v6, v6, v14
	v_not_b32_e32 v14, v16
	v_ashrrev_i32_e32 v13, 31, v13
	v_xor_b32_e32 v17, s0, v17
	v_lshl_add_u32 v5, v5, 5, v5
	v_and_b32_e32 v6, v6, v15
	v_cmp_gt_i32_e64 s0, 0, v16
	v_ashrrev_i32_e32 v14, 31, v14
	v_xor_b32_e32 v13, vcc_lo, v13
	v_add_lshl_u32 v32, v5, v12, 2
	v_and_b32_e32 v6, v6, v17
	s_delay_alu instid0(VALU_DEP_4) | instskip(SKIP_2) | instid1(VALU_DEP_1)
	v_xor_b32_e32 v5, s0, v14
	ds_load_b32 v30, v32 offset:128
	v_and_b32_e32 v6, v6, v13
	; wave barrier
	v_and_b32_e32 v5, v6, v5
	s_delay_alu instid0(VALU_DEP_1) | instskip(SKIP_1) | instid1(VALU_DEP_2)
	v_mbcnt_lo_u32_b32 v31, v5, 0
	v_cmp_ne_u32_e64 s0, 0, v5
	v_cmp_eq_u32_e32 vcc_lo, 0, v31
	s_delay_alu instid0(VALU_DEP_2) | instskip(NEXT) | instid1(SALU_CYCLE_1)
	s_and_b32 s1, s0, vcc_lo
	s_and_saveexec_b32 s0, s1
	s_cbranch_execz .LBB156_75
; %bb.74:
	s_waitcnt lgkmcnt(0)
	v_bcnt_u32_b32 v5, v5, v30
	ds_store_b32 v32, v5 offset:128
.LBB156_75:
	s_or_b32 exec_lo, exec_lo, s0
	; wave barrier
	s_waitcnt lgkmcnt(0)
	s_barrier
	buffer_gl0_inv
	ds_load_2addr_b32 v[16:17], v22 offset0:32 offset1:33
	ds_load_2addr_b32 v[14:15], v33 offset0:2 offset1:3
	;; [unrolled: 1-line block ×4, first 2 shown]
	ds_load_b32 v34, v33 offset:32
	v_and_b32_e32 v37, 16, v18
	v_and_b32_e32 v38, 31, v9
	s_mov_b32 s5, exec_lo
	s_delay_alu instid0(VALU_DEP_2) | instskip(SKIP_3) | instid1(VALU_DEP_1)
	v_cmp_eq_u32_e64 s3, 0, v37
	s_waitcnt lgkmcnt(3)
	v_add3_u32 v35, v17, v16, v14
	s_waitcnt lgkmcnt(2)
	v_add3_u32 v35, v35, v15, v12
	s_waitcnt lgkmcnt(1)
	s_delay_alu instid0(VALU_DEP_1) | instskip(SKIP_1) | instid1(VALU_DEP_1)
	v_add3_u32 v35, v35, v13, v5
	s_waitcnt lgkmcnt(0)
	v_add3_u32 v34, v35, v6, v34
	v_and_b32_e32 v35, 15, v18
	s_delay_alu instid0(VALU_DEP_2) | instskip(NEXT) | instid1(VALU_DEP_2)
	v_mov_b32_dpp v36, v34 row_shr:1 row_mask:0xf bank_mask:0xf
	v_cmp_eq_u32_e32 vcc_lo, 0, v35
	v_cmp_lt_u32_e64 s0, 1, v35
	v_cmp_lt_u32_e64 s1, 3, v35
	;; [unrolled: 1-line block ×3, first 2 shown]
	v_cndmask_b32_e64 v36, v36, 0, vcc_lo
	s_delay_alu instid0(VALU_DEP_1) | instskip(NEXT) | instid1(VALU_DEP_1)
	v_add_nc_u32_e32 v34, v36, v34
	v_mov_b32_dpp v36, v34 row_shr:2 row_mask:0xf bank_mask:0xf
	s_delay_alu instid0(VALU_DEP_1) | instskip(NEXT) | instid1(VALU_DEP_1)
	v_cndmask_b32_e64 v36, 0, v36, s0
	v_add_nc_u32_e32 v34, v34, v36
	s_delay_alu instid0(VALU_DEP_1) | instskip(NEXT) | instid1(VALU_DEP_1)
	v_mov_b32_dpp v36, v34 row_shr:4 row_mask:0xf bank_mask:0xf
	v_cndmask_b32_e64 v36, 0, v36, s1
	s_delay_alu instid0(VALU_DEP_1) | instskip(NEXT) | instid1(VALU_DEP_1)
	v_add_nc_u32_e32 v34, v34, v36
	v_mov_b32_dpp v36, v34 row_shr:8 row_mask:0xf bank_mask:0xf
	s_delay_alu instid0(VALU_DEP_1) | instskip(SKIP_1) | instid1(VALU_DEP_2)
	v_cndmask_b32_e64 v35, 0, v36, s2
	v_bfe_i32 v36, v18, 4, 1
	v_add_nc_u32_e32 v34, v34, v35
	ds_swizzle_b32 v35, v34 offset:swizzle(BROADCAST,32,15)
	s_waitcnt lgkmcnt(0)
	v_and_b32_e32 v36, v36, v35
	v_lshrrev_b32_e32 v35, 5, v9
	s_delay_alu instid0(VALU_DEP_2)
	v_add_nc_u32_e32 v34, v34, v36
	v_cmpx_eq_u32_e32 31, v38
	s_cbranch_execz .LBB156_77
; %bb.76:
	s_delay_alu instid0(VALU_DEP_3)
	v_lshlrev_b32_e32 v36, 2, v35
	ds_store_b32 v36, v34
.LBB156_77:
	s_or_b32 exec_lo, exec_lo, s5
	v_cmp_lt_u32_e64 s4, 31, v9
	s_mov_b32 s11, exec_lo
	s_waitcnt lgkmcnt(0)
	s_barrier
	buffer_gl0_inv
	v_cmpx_gt_u32_e32 32, v9
	s_cbranch_execz .LBB156_79
; %bb.78:
	ds_load_b32 v36, v21
	s_waitcnt lgkmcnt(0)
	v_mov_b32_dpp v37, v36 row_shr:1 row_mask:0xf bank_mask:0xf
	s_delay_alu instid0(VALU_DEP_1) | instskip(NEXT) | instid1(VALU_DEP_1)
	v_cndmask_b32_e64 v37, v37, 0, vcc_lo
	v_add_nc_u32_e32 v36, v37, v36
	s_delay_alu instid0(VALU_DEP_1) | instskip(NEXT) | instid1(VALU_DEP_1)
	v_mov_b32_dpp v37, v36 row_shr:2 row_mask:0xf bank_mask:0xf
	v_cndmask_b32_e64 v37, 0, v37, s0
	s_delay_alu instid0(VALU_DEP_1) | instskip(NEXT) | instid1(VALU_DEP_1)
	v_add_nc_u32_e32 v36, v36, v37
	v_mov_b32_dpp v37, v36 row_shr:4 row_mask:0xf bank_mask:0xf
	s_delay_alu instid0(VALU_DEP_1) | instskip(NEXT) | instid1(VALU_DEP_1)
	v_cndmask_b32_e64 v37, 0, v37, s1
	v_add_nc_u32_e32 v36, v36, v37
	s_delay_alu instid0(VALU_DEP_1) | instskip(NEXT) | instid1(VALU_DEP_1)
	v_mov_b32_dpp v37, v36 row_shr:8 row_mask:0xf bank_mask:0xf
	v_cndmask_b32_e64 v37, 0, v37, s2
	s_delay_alu instid0(VALU_DEP_1) | instskip(SKIP_3) | instid1(VALU_DEP_1)
	v_add_nc_u32_e32 v36, v36, v37
	ds_swizzle_b32 v37, v36 offset:swizzle(BROADCAST,32,15)
	s_waitcnt lgkmcnt(0)
	v_cndmask_b32_e64 v37, v37, 0, s3
	v_add_nc_u32_e32 v36, v36, v37
	ds_store_b32 v21, v36
.LBB156_79:
	s_or_b32 exec_lo, exec_lo, s11
	v_mov_b32_e32 v21, 0
	s_waitcnt lgkmcnt(0)
	s_barrier
	buffer_gl0_inv
	s_and_saveexec_b32 s0, s4
	s_cbranch_execz .LBB156_81
; %bb.80:
	v_lshl_add_u32 v21, v35, 2, -4
	ds_load_b32 v21, v21
.LBB156_81:
	s_or_b32 exec_lo, exec_lo, s0
	v_add_nc_u32_e32 v35, -1, v18
	s_waitcnt lgkmcnt(0)
	v_add_nc_u32_e32 v34, v21, v34
	v_cmp_lt_u32_e64 s0, 0xff, v9
	s_delay_alu instid0(VALU_DEP_3) | instskip(SKIP_2) | instid1(VALU_DEP_2)
	v_cmp_gt_i32_e32 vcc_lo, 0, v35
	v_cndmask_b32_e32 v35, v35, v18, vcc_lo
	v_cmp_eq_u32_e32 vcc_lo, 0, v18
	v_lshlrev_b32_e32 v35, 2, v35
	ds_bpermute_b32 v34, v35, v34
	s_waitcnt lgkmcnt(0)
	v_cndmask_b32_e32 v18, v34, v21, vcc_lo
	v_cmp_ne_u32_e32 vcc_lo, 0, v9
	s_delay_alu instid0(VALU_DEP_2) | instskip(SKIP_1) | instid1(VALU_DEP_2)
	v_cndmask_b32_e32 v18, 0, v18, vcc_lo
	v_cmp_gt_u32_e32 vcc_lo, 0x100, v9
	v_add_nc_u32_e32 v16, v18, v16
	s_delay_alu instid0(VALU_DEP_1) | instskip(NEXT) | instid1(VALU_DEP_1)
	v_add_nc_u32_e32 v17, v16, v17
	v_add_nc_u32_e32 v14, v17, v14
	s_delay_alu instid0(VALU_DEP_1) | instskip(NEXT) | instid1(VALU_DEP_1)
	v_add_nc_u32_e32 v15, v14, v15
	;; [unrolled: 3-line block ×3, first 2 shown]
	v_add_nc_u32_e32 v5, v13, v5
	s_delay_alu instid0(VALU_DEP_1)
	v_add_nc_u32_e32 v6, v5, v6
	ds_store_2addr_b32 v22, v18, v16 offset0:32 offset1:33
	ds_store_2addr_b32 v33, v17, v14 offset0:2 offset1:3
	;; [unrolled: 1-line block ×4, first 2 shown]
	ds_store_b32 v33, v6 offset:32
	s_waitcnt lgkmcnt(0)
	s_barrier
	buffer_gl0_inv
	ds_load_b32 v13, v23 offset:128
	ds_load_b32 v14, v26 offset:128
	;; [unrolled: 1-line block ×4, first 2 shown]
	v_mov_b32_e32 v5, 0
	v_mov_b32_e32 v6, 0
                                        ; implicit-def: $vgpr12
	s_and_saveexec_b32 s2, vcc_lo
	s_cbranch_execz .LBB156_85
; %bb.82:
	v_mul_u32_u24_e32 v5, 33, v9
	v_mov_b32_e32 v6, 0x1000
	s_mov_b32 s3, exec_lo
	s_delay_alu instid0(VALU_DEP_2)
	v_lshlrev_b32_e32 v12, 2, v5
	ds_load_b32 v5, v12 offset:128
	v_cmpx_ne_u32_e32 0xff, v9
	s_cbranch_execz .LBB156_84
; %bb.83:
	ds_load_b32 v6, v12 offset:260
.LBB156_84:
	s_or_b32 exec_lo, exec_lo, s3
	s_waitcnt lgkmcnt(0)
	v_sub_nc_u32_e32 v12, v6, v5
	v_mov_b32_e32 v6, 0
.LBB156_85:
	s_or_b32 exec_lo, exec_lo, s2
	v_add_nc_u32_e32 v17, v31, v30
	v_add_nc_u32_e32 v18, v25, v24
	;; [unrolled: 1-line block ×3, first 2 shown]
	s_waitcnt lgkmcnt(3)
	v_add_lshl_u32 v13, v13, v0, 3
	s_waitcnt lgkmcnt(0)
	v_add_lshl_u32 v16, v17, v16, 3
	v_add_lshl_u32 v14, v18, v14, 3
	;; [unrolled: 1-line block ×3, first 2 shown]
	s_barrier
	buffer_gl0_inv
	ds_store_b64 v13, v[1:2] offset:2048
	ds_store_b64 v14, v[3:4] offset:2048
	;; [unrolled: 1-line block ×4, first 2 shown]
	s_waitcnt lgkmcnt(0)
	s_barrier
	buffer_gl0_inv
	s_and_saveexec_b32 s1, s0
	s_delay_alu instid0(SALU_CYCLE_1)
	s_xor_b32 s0, exec_lo, s1
; %bb.86:
	v_mov_b32_e32 v10, 0
; %bb.87:
	s_and_not1_saveexec_b32 s1, s0
	s_cbranch_execz .LBB156_97
; %bb.88:
	v_lshl_or_b32 v2, s15, 8, v9
	v_dual_mov_b32 v3, 0 :: v_dual_mov_b32 v4, 0
	s_mov_b32 s2, 0
	s_mov_b32 s3, s15
	s_delay_alu instid0(VALU_DEP_1) | instskip(SKIP_1) | instid1(VALU_DEP_2)
	v_lshlrev_b64 v[0:1], 2, v[2:3]
	v_or_b32_e32 v2, 2.0, v12
	v_add_co_u32 v0, s0, s12, v0
	s_delay_alu instid0(VALU_DEP_1)
	v_add_co_ci_u32_e64 v1, s0, s13, v1, s0
                                        ; implicit-def: $sgpr0
	global_store_b32 v[0:1], v2, off
	s_branch .LBB156_91
	.p2align	6
.LBB156_89:                             ;   in Loop: Header=BB156_91 Depth=1
	s_or_b32 exec_lo, exec_lo, s5
.LBB156_90:                             ;   in Loop: Header=BB156_91 Depth=1
	s_delay_alu instid0(SALU_CYCLE_1) | instskip(SKIP_2) | instid1(VALU_DEP_2)
	s_or_b32 exec_lo, exec_lo, s4
	v_and_b32_e32 v7, 0x3fffffff, v10
	v_cmp_eq_u32_e64 s0, 0x80000000, v2
	v_add_nc_u32_e32 v4, v7, v4
	s_delay_alu instid0(VALU_DEP_2) | instskip(NEXT) | instid1(SALU_CYCLE_1)
	s_and_b32 s4, exec_lo, s0
	s_or_b32 s2, s4, s2
	s_delay_alu instid0(SALU_CYCLE_1)
	s_and_not1_b32 exec_lo, exec_lo, s2
	s_cbranch_execz .LBB156_96
.LBB156_91:                             ; =>This Loop Header: Depth=1
                                        ;     Child Loop BB156_94 Depth 2
	s_or_b32 s0, s0, exec_lo
	s_cmp_eq_u32 s3, 0
	s_cbranch_scc1 .LBB156_95
; %bb.92:                               ;   in Loop: Header=BB156_91 Depth=1
	s_add_i32 s3, s3, -1
	s_mov_b32 s4, exec_lo
	v_lshl_or_b32 v2, s3, 8, v9
	s_delay_alu instid0(VALU_DEP_1) | instskip(NEXT) | instid1(VALU_DEP_1)
	v_lshlrev_b64 v[7:8], 2, v[2:3]
	v_add_co_u32 v7, s0, s12, v7
	s_delay_alu instid0(VALU_DEP_1) | instskip(SKIP_3) | instid1(VALU_DEP_1)
	v_add_co_ci_u32_e64 v8, s0, s13, v8, s0
	global_load_b32 v10, v[7:8], off glc
	s_waitcnt vmcnt(0)
	v_and_b32_e32 v2, -2.0, v10
	v_cmpx_eq_u32_e32 0, v2
	s_cbranch_execz .LBB156_90
; %bb.93:                               ;   in Loop: Header=BB156_91 Depth=1
	s_mov_b32 s5, 0
.LBB156_94:                             ;   Parent Loop BB156_91 Depth=1
                                        ; =>  This Inner Loop Header: Depth=2
	global_load_b32 v10, v[7:8], off glc
	s_waitcnt vmcnt(0)
	v_and_b32_e32 v2, -2.0, v10
	s_delay_alu instid0(VALU_DEP_1) | instskip(NEXT) | instid1(VALU_DEP_1)
	v_cmp_ne_u32_e64 s0, 0, v2
	s_or_b32 s5, s0, s5
	s_delay_alu instid0(SALU_CYCLE_1)
	s_and_not1_b32 exec_lo, exec_lo, s5
	s_cbranch_execnz .LBB156_94
	s_branch .LBB156_89
.LBB156_95:                             ;   in Loop: Header=BB156_91 Depth=1
                                        ; implicit-def: $sgpr3
	s_and_b32 s4, exec_lo, s0
	s_delay_alu instid0(SALU_CYCLE_1) | instskip(NEXT) | instid1(SALU_CYCLE_1)
	s_or_b32 s2, s4, s2
	s_and_not1_b32 exec_lo, exec_lo, s2
	s_cbranch_execnz .LBB156_91
.LBB156_96:
	s_or_b32 exec_lo, exec_lo, s2
	v_add_nc_u32_e32 v2, v4, v12
	v_dual_mov_b32 v10, 0 :: v_dual_lshlrev_b32 v3, 3, v9
	s_delay_alu instid0(VALU_DEP_2) | instskip(SKIP_3) | instid1(VALU_DEP_1)
	v_or_b32_e32 v2, 0x80000000, v2
	global_store_b32 v[0:1], v2, off
	global_load_b64 v[0:1], v3, s[24:25]
	v_sub_co_u32 v2, s0, v4, v5
	v_sub_co_ci_u32_e64 v4, s0, 0, v6, s0
	s_waitcnt vmcnt(0)
	s_delay_alu instid0(VALU_DEP_2) | instskip(NEXT) | instid1(VALU_DEP_1)
	v_add_co_u32 v0, s0, v2, v0
	v_add_co_ci_u32_e64 v1, s0, v4, v1, s0
	ds_store_b64 v3, v[0:1]
.LBB156_97:
	s_or_b32 exec_lo, exec_lo, s1
	s_add_u32 s0, s20, s6
	s_addc_u32 s1, s21, s7
	v_add_co_u32 v0, s0, s0, v19
	s_delay_alu instid0(VALU_DEP_1) | instskip(SKIP_2) | instid1(VALU_DEP_2)
	v_add_co_ci_u32_e64 v1, null, s1, 0, s0
	s_waitcnt lgkmcnt(0)
	s_waitcnt_vscnt null, 0x0
	v_add_co_u32 v0, s0, v0, v20
	s_delay_alu instid0(VALU_DEP_1)
	v_add_co_ci_u32_e64 v1, s0, 0, v1, s0
	s_barrier
	buffer_gl0_inv
	v_lshlrev_b32_e32 v4, 3, v9
	s_clause 0x3
	global_load_b64 v[7:8], v[0:1], off
	global_load_b64 v[17:18], v[0:1], off offset:256
	global_load_b64 v[19:20], v[0:1], off offset:512
	;; [unrolled: 1-line block ×3, first 2 shown]
	s_mov_b32 s4, -1
	s_brev_b32 s5, -2
	v_lshlrev_b32_e32 v11, 3, v9
	ds_load_2addr_stride64_b64 v[0:3], v4 offset0:20 offset1:36
	v_or_b32_e32 v40, 0x4000, v4
	v_or_b32_e32 v39, 0x2000, v4
	;; [unrolled: 1-line block ×3, first 2 shown]
	ds_load_b64 v[25:26], v11 offset:2048
	s_add_i32 s9, s9, -1
	s_delay_alu instid0(SALU_CYCLE_1)
	s_cmp_eq_u32 s15, s9
	s_waitcnt lgkmcnt(1)
	v_cmp_ne_u64_e64 s0, s[4:5], v[2:3]
	v_cmp_ne_u64_e64 s1, s[4:5], v[0:1]
	v_cmp_lt_i64_e64 s2, -1, v[0:1]
	v_ashrrev_i32_e32 v36, 31, v1
	v_ashrrev_i32_e32 v42, 31, v3
	v_cndmask_b32_e64 v24, 0x80000000, v3, s0
	v_cndmask_b32_e64 v23, 0, v2, s0
	s_waitcnt lgkmcnt(0)
	v_cmp_ne_u64_e64 s0, s[4:5], v[25:26]
	v_cndmask_b32_e64 v32, 0x80000000, v1, s1
	v_cndmask_b32_e64 v31, 0, v0, s1
	v_cndmask_b32_e64 v35, 0x80000000, -1, s2
	v_lshrrev_b64 v[23:24], s28, v[23:24]
	v_not_b32_e32 v36, v36
	v_cndmask_b32_e64 v34, 0x80000000, v26, s0
	v_cndmask_b32_e64 v33, 0, v25, s0
	v_cmp_lt_i64_e64 s0, -1, v[2:3]
	v_lshrrev_b64 v[31:32], s28, v[31:32]
	v_and_b32_e32 v23, s10, v23
	v_xor_b32_e32 v1, v35, v1
	v_lshrrev_b64 v[33:34], s28, v[33:34]
	v_not_b32_e32 v34, v42
	v_cndmask_b32_e64 v37, 0x80000000, -1, s0
	v_lshlrev_b32_e32 v38, 3, v23
	ds_load_b64 v[27:28], v38
	ds_load_b64 v[29:30], v4 offset:26624
	v_and_b32_e32 v35, s10, v31
	v_and_b32_e32 v33, s10, v33
	v_xor_b32_e32 v3, v37, v3
	v_xor_b32_e32 v0, v36, v0
	v_ashrrev_i32_e32 v37, 31, v26
	v_lshlrev_b32_e32 v43, 3, v35
	v_lshlrev_b32_e32 v42, 3, v33
	v_xor_b32_e32 v2, v34, v2
	v_lshlrev_b64 v[23:24], 3, v[9:10]
	v_not_b32_e32 v37, v37
	s_cselect_b32 s1, -1, 0
	ds_load_b64 v[34:35], v43
	s_and_b32 s1, vcc_lo, s1
	s_waitcnt lgkmcnt(2)
	v_lshlrev_b64 v[27:28], 3, v[27:28]
	s_waitcnt lgkmcnt(1)
	v_cmp_ne_u64_e64 s0, s[4:5], v[29:30]
	s_delay_alu instid0(VALU_DEP_1) | instskip(SKIP_3) | instid1(VALU_DEP_3)
	v_cndmask_b32_e64 v32, 0x80000000, v30, s0
	v_cndmask_b32_e64 v31, 0, v29, s0
	v_cmp_lt_i64_e64 s0, -1, v[25:26]
	v_xor_b32_e32 v25, v37, v25
	v_lshrrev_b64 v[31:32], s28, v[31:32]
	ds_load_b64 v[32:33], v42
	v_cndmask_b32_e64 v36, 0x80000000, -1, s0
	v_cmp_lt_i64_e64 s0, -1, v[29:30]
	v_and_b32_e32 v31, s10, v31
	s_delay_alu instid0(VALU_DEP_3) | instskip(SKIP_1) | instid1(VALU_DEP_4)
	v_xor_b32_e32 v26, v36, v26
	v_ashrrev_i32_e32 v36, 31, v30
	v_cndmask_b32_e64 v44, 0x80000000, -1, s0
	s_delay_alu instid0(VALU_DEP_4) | instskip(NEXT) | instid1(VALU_DEP_3)
	v_lshlrev_b32_e32 v45, 3, v31
	v_not_b32_e32 v31, v36
	s_delay_alu instid0(VALU_DEP_3)
	v_xor_b32_e32 v30, v44, v30
	v_add_co_u32 v44, s0, s18, v27
	ds_load_b64 v[36:37], v45
	v_add_co_ci_u32_e64 v46, s0, s19, v28, s0
	v_xor_b32_e32 v29, v31, v29
	s_waitcnt lgkmcnt(1)
	v_lshlrev_b64 v[27:28], 3, v[32:33]
	v_add_co_u32 v31, s0, v44, v40
	v_lshlrev_b64 v[33:34], 3, v[34:35]
	v_add_co_ci_u32_e64 v32, s0, 0, v46, s0
	s_delay_alu instid0(VALU_DEP_4) | instskip(NEXT) | instid1(VALU_DEP_1)
	v_add_co_u32 v35, s0, s18, v27
	v_add_co_ci_u32_e64 v44, s0, s19, v28, s0
	s_delay_alu instid0(VALU_DEP_4) | instskip(NEXT) | instid1(VALU_DEP_1)
	v_add_co_u32 v46, s0, s18, v33
	v_add_co_ci_u32_e64 v47, s0, s19, v34, s0
	s_delay_alu instid0(VALU_DEP_4) | instskip(SKIP_3) | instid1(VALU_DEP_2)
	v_add_co_u32 v33, s0, v35, v23
	s_waitcnt lgkmcnt(0)
	v_lshlrev_b64 v[27:28], 3, v[36:37]
	v_add_co_ci_u32_e64 v34, s0, v44, v24, s0
	v_add_co_u32 v35, s0, s18, v27
	s_delay_alu instid0(VALU_DEP_1) | instskip(SKIP_1) | instid1(VALU_DEP_1)
	v_add_co_ci_u32_e64 v36, s0, s19, v28, s0
	v_add_co_u32 v27, s0, v46, v39
	v_add_co_ci_u32_e64 v28, s0, 0, v47, s0
	s_delay_alu instid0(VALU_DEP_4) | instskip(NEXT) | instid1(VALU_DEP_1)
	v_add_co_u32 v35, s0, v35, v41
	v_add_co_ci_u32_e64 v36, s0, 0, v36, s0
	s_clause 0x3
	global_store_b64 v[33:34], v[25:26], off
	global_store_b64 v[27:28], v[0:1], off
	;; [unrolled: 1-line block ×4, first 2 shown]
	s_waitcnt vmcnt(0)
	s_waitcnt_vscnt null, 0x0
	s_barrier
	buffer_gl0_inv
	ds_store_b64 v13, v[7:8] offset:2048
	ds_store_b64 v14, v[17:18] offset:2048
	;; [unrolled: 1-line block ×4, first 2 shown]
	s_waitcnt lgkmcnt(0)
	s_barrier
	buffer_gl0_inv
	ds_load_b64 v[0:1], v42
	ds_load_b64 v[7:8], v43
	;; [unrolled: 1-line block ×4, first 2 shown]
	ds_load_b64 v[17:18], v11 offset:2048
	ds_load_b64 v[19:20], v4 offset:26624
	s_waitcnt lgkmcnt(5)
	v_lshlrev_b64 v[21:22], 3, v[0:1]
	s_waitcnt lgkmcnt(4)
	v_lshlrev_b64 v[7:8], 3, v[7:8]
	ds_load_2addr_stride64_b64 v[0:3], v4 offset0:20 offset1:36
	s_waitcnt lgkmcnt(4)
	v_lshlrev_b64 v[13:14], 3, v[13:14]
	s_waitcnt lgkmcnt(3)
	v_lshlrev_b64 v[15:16], 3, v[15:16]
	v_add_co_u32 v4, s0, s22, v21
	s_delay_alu instid0(VALU_DEP_1) | instskip(SKIP_1) | instid1(VALU_DEP_1)
	v_add_co_ci_u32_e64 v11, s0, s23, v22, s0
	v_add_co_u32 v21, s0, s22, v7
	v_add_co_ci_u32_e64 v22, s0, s23, v8, s0
	v_add_co_u32 v25, s0, s22, v13
	s_delay_alu instid0(VALU_DEP_1) | instskip(SKIP_1) | instid1(VALU_DEP_1)
	v_add_co_ci_u32_e64 v26, s0, s23, v14, s0
	v_add_co_u32 v27, s0, s22, v15
	v_add_co_ci_u32_e64 v28, s0, s23, v16, s0
	;; [unrolled: 5-line block ×4, first 2 shown]
	s_waitcnt lgkmcnt(2)
	global_store_b64 v[7:8], v[17:18], off
	s_waitcnt lgkmcnt(0)
	s_clause 0x2
	global_store_b64 v[13:14], v[0:1], off
	global_store_b64 v[15:16], v[2:3], off
	;; [unrolled: 1-line block ×3, first 2 shown]
                                        ; implicit-def: $vgpr1_vgpr2
	s_and_saveexec_b32 s0, s1
; %bb.98:
	v_add_co_u32 v1, vcc_lo, v5, v12
	v_add_co_ci_u32_e32 v2, vcc_lo, 0, v6, vcc_lo
	s_or_b32 s8, s8, exec_lo
; %bb.99:
	s_or_b32 exec_lo, exec_lo, s0
.LBB156_100:
	s_and_saveexec_b32 s0, s8
	s_cbranch_execnz .LBB156_102
; %bb.101:
	s_nop 0
	s_sendmsg sendmsg(MSG_DEALLOC_VGPRS)
	s_endpgm
.LBB156_102:
	v_lshlrev_b32_e32 v0, 3, v9
	v_lshlrev_b64 v[5:6], 3, v[9:10]
	ds_load_b64 v[3:4], v0
	v_add_co_u32 v5, vcc_lo, s26, v5
	v_add_co_ci_u32_e32 v6, vcc_lo, s27, v6, vcc_lo
	s_waitcnt lgkmcnt(0)
	v_add_co_u32 v0, vcc_lo, v3, v1
	v_add_co_ci_u32_e32 v1, vcc_lo, v4, v2, vcc_lo
	global_store_b64 v[5:6], v[0:1], off
	s_nop 0
	s_sendmsg sendmsg(MSG_DEALLOC_VGPRS)
	s_endpgm
.LBB156_103:
	global_load_b64 v[1:2], v[10:11], off
	s_or_b32 exec_lo, exec_lo, s10
                                        ; implicit-def: $vgpr3_vgpr4
	s_and_saveexec_b32 s10, s2
	s_cbranch_execz .LBB156_47
.LBB156_104:
	global_load_b64 v[3:4], v[10:11], off offset:256
	s_or_b32 exec_lo, exec_lo, s10
                                        ; implicit-def: $vgpr5_vgpr6
	s_and_saveexec_b32 s2, s3
	s_cbranch_execz .LBB156_48
.LBB156_105:
	global_load_b64 v[5:6], v[10:11], off offset:512
	s_or_b32 exec_lo, exec_lo, s2
                                        ; implicit-def: $vgpr7_vgpr8
	s_and_saveexec_b32 s2, s4
	s_cbranch_execnz .LBB156_49
	s_branch .LBB156_50
.LBB156_106:
	v_lshlrev_b32_e32 v1, 3, v19
	ds_load_b64 v[1:2], v1
	ds_load_b64 v[3:4], v21 offset:2048
	s_waitcnt lgkmcnt(1)
	v_lshlrev_b64 v[1:2], 3, v[1:2]
	s_delay_alu instid0(VALU_DEP_1) | instskip(NEXT) | instid1(VALU_DEP_2)
	v_add_co_u32 v1, vcc_lo, s22, v1
	v_add_co_ci_u32_e32 v2, vcc_lo, s23, v2, vcc_lo
	s_delay_alu instid0(VALU_DEP_2) | instskip(NEXT) | instid1(VALU_DEP_2)
	v_add_co_u32 v1, vcc_lo, v1, v21
	v_add_co_ci_u32_e32 v2, vcc_lo, 0, v2, vcc_lo
	s_waitcnt lgkmcnt(0)
	global_store_b64 v[1:2], v[3:4], off
	s_or_b32 exec_lo, exec_lo, s2
	s_and_saveexec_b32 s2, s7
	s_cbranch_execz .LBB156_60
.LBB156_107:
	v_lshlrev_b32_e32 v1, 3, v10
	ds_load_b64 v[1:2], v1
	ds_load_b64 v[3:4], v21 offset:10240
	s_waitcnt lgkmcnt(1)
	v_lshlrev_b64 v[1:2], 3, v[1:2]
	s_delay_alu instid0(VALU_DEP_1) | instskip(NEXT) | instid1(VALU_DEP_2)
	v_add_co_u32 v1, vcc_lo, s22, v1
	v_add_co_ci_u32_e32 v2, vcc_lo, s23, v2, vcc_lo
	s_delay_alu instid0(VALU_DEP_2) | instskip(NEXT) | instid1(VALU_DEP_2)
	v_add_co_u32 v1, vcc_lo, v1, v22
	v_add_co_ci_u32_e32 v2, vcc_lo, 0, v2, vcc_lo
	s_waitcnt lgkmcnt(0)
	global_store_b64 v[1:2], v[3:4], off
	s_or_b32 exec_lo, exec_lo, s2
	s_and_saveexec_b32 s2, s8
	s_cbranch_execz .LBB156_61
.LBB156_108:
	v_lshlrev_b32_e32 v1, 3, v20
	ds_load_b64 v[1:2], v1
	ds_load_b64 v[3:4], v21 offset:18432
	s_waitcnt lgkmcnt(1)
	v_lshlrev_b64 v[1:2], 3, v[1:2]
	s_delay_alu instid0(VALU_DEP_1) | instskip(NEXT) | instid1(VALU_DEP_2)
	v_add_co_u32 v1, vcc_lo, s22, v1
	v_add_co_ci_u32_e32 v2, vcc_lo, s23, v2, vcc_lo
	s_delay_alu instid0(VALU_DEP_2) | instskip(NEXT) | instid1(VALU_DEP_2)
	v_add_co_u32 v1, vcc_lo, v1, v23
	v_add_co_ci_u32_e32 v2, vcc_lo, 0, v2, vcc_lo
	s_waitcnt lgkmcnt(0)
	global_store_b64 v[1:2], v[3:4], off
	s_or_b32 exec_lo, exec_lo, s2
	s_and_saveexec_b32 s2, s9
	s_cbranch_execnz .LBB156_62
	s_branch .LBB156_63
	.section	.rodata,"a",@progbits
	.p2align	6, 0x0
	.amdhsa_kernel _ZN7rocprim17ROCPRIM_304000_NS6detail25onesweep_iteration_kernelINS1_34wrapped_radix_sort_onesweep_configINS0_14default_configEdN2at4cuda3cub6detail10OpaqueTypeILi8EEEEELb0EPKdPdPKSA_PSA_mNS0_19identity_decomposerEEEvT1_T2_T3_T4_jPT5_SO_PNS1_23onesweep_lookback_stateET6_jjj
		.amdhsa_group_segment_fixed_size 36992
		.amdhsa_private_segment_fixed_size 0
		.amdhsa_kernarg_size 336
		.amdhsa_user_sgpr_count 15
		.amdhsa_user_sgpr_dispatch_ptr 0
		.amdhsa_user_sgpr_queue_ptr 0
		.amdhsa_user_sgpr_kernarg_segment_ptr 1
		.amdhsa_user_sgpr_dispatch_id 0
		.amdhsa_user_sgpr_private_segment_size 0
		.amdhsa_wavefront_size32 1
		.amdhsa_uses_dynamic_stack 0
		.amdhsa_enable_private_segment 0
		.amdhsa_system_sgpr_workgroup_id_x 1
		.amdhsa_system_sgpr_workgroup_id_y 0
		.amdhsa_system_sgpr_workgroup_id_z 0
		.amdhsa_system_sgpr_workgroup_info 0
		.amdhsa_system_vgpr_workitem_id 2
		.amdhsa_next_free_vgpr 48
		.amdhsa_next_free_sgpr 38
		.amdhsa_reserve_vcc 1
		.amdhsa_float_round_mode_32 0
		.amdhsa_float_round_mode_16_64 0
		.amdhsa_float_denorm_mode_32 3
		.amdhsa_float_denorm_mode_16_64 3
		.amdhsa_dx10_clamp 1
		.amdhsa_ieee_mode 1
		.amdhsa_fp16_overflow 0
		.amdhsa_workgroup_processor_mode 1
		.amdhsa_memory_ordered 1
		.amdhsa_forward_progress 0
		.amdhsa_shared_vgpr_count 0
		.amdhsa_exception_fp_ieee_invalid_op 0
		.amdhsa_exception_fp_denorm_src 0
		.amdhsa_exception_fp_ieee_div_zero 0
		.amdhsa_exception_fp_ieee_overflow 0
		.amdhsa_exception_fp_ieee_underflow 0
		.amdhsa_exception_fp_ieee_inexact 0
		.amdhsa_exception_int_div_zero 0
	.end_amdhsa_kernel
	.section	.text._ZN7rocprim17ROCPRIM_304000_NS6detail25onesweep_iteration_kernelINS1_34wrapped_radix_sort_onesweep_configINS0_14default_configEdN2at4cuda3cub6detail10OpaqueTypeILi8EEEEELb0EPKdPdPKSA_PSA_mNS0_19identity_decomposerEEEvT1_T2_T3_T4_jPT5_SO_PNS1_23onesweep_lookback_stateET6_jjj,"axG",@progbits,_ZN7rocprim17ROCPRIM_304000_NS6detail25onesweep_iteration_kernelINS1_34wrapped_radix_sort_onesweep_configINS0_14default_configEdN2at4cuda3cub6detail10OpaqueTypeILi8EEEEELb0EPKdPdPKSA_PSA_mNS0_19identity_decomposerEEEvT1_T2_T3_T4_jPT5_SO_PNS1_23onesweep_lookback_stateET6_jjj,comdat
.Lfunc_end156:
	.size	_ZN7rocprim17ROCPRIM_304000_NS6detail25onesweep_iteration_kernelINS1_34wrapped_radix_sort_onesweep_configINS0_14default_configEdN2at4cuda3cub6detail10OpaqueTypeILi8EEEEELb0EPKdPdPKSA_PSA_mNS0_19identity_decomposerEEEvT1_T2_T3_T4_jPT5_SO_PNS1_23onesweep_lookback_stateET6_jjj, .Lfunc_end156-_ZN7rocprim17ROCPRIM_304000_NS6detail25onesweep_iteration_kernelINS1_34wrapped_radix_sort_onesweep_configINS0_14default_configEdN2at4cuda3cub6detail10OpaqueTypeILi8EEEEELb0EPKdPdPKSA_PSA_mNS0_19identity_decomposerEEEvT1_T2_T3_T4_jPT5_SO_PNS1_23onesweep_lookback_stateET6_jjj
                                        ; -- End function
	.section	.AMDGPU.csdata,"",@progbits
; Kernel info:
; codeLenInByte = 10036
; NumSgprs: 40
; NumVgprs: 48
; ScratchSize: 0
; MemoryBound: 1
; FloatMode: 240
; IeeeMode: 1
; LDSByteSize: 36992 bytes/workgroup (compile time only)
; SGPRBlocks: 4
; VGPRBlocks: 5
; NumSGPRsForWavesPerEU: 40
; NumVGPRsForWavesPerEU: 48
; Occupancy: 16
; WaveLimiterHint : 1
; COMPUTE_PGM_RSRC2:SCRATCH_EN: 0
; COMPUTE_PGM_RSRC2:USER_SGPR: 15
; COMPUTE_PGM_RSRC2:TRAP_HANDLER: 0
; COMPUTE_PGM_RSRC2:TGID_X_EN: 1
; COMPUTE_PGM_RSRC2:TGID_Y_EN: 0
; COMPUTE_PGM_RSRC2:TGID_Z_EN: 0
; COMPUTE_PGM_RSRC2:TIDIG_COMP_CNT: 2
	.section	.text._ZN7rocprim17ROCPRIM_304000_NS6detail25onesweep_iteration_kernelINS1_34wrapped_radix_sort_onesweep_configINS0_14default_configEdN2at4cuda3cub6detail10OpaqueTypeILi8EEEEELb0EPdSC_PSA_SD_mNS0_19identity_decomposerEEEvT1_T2_T3_T4_jPT5_SK_PNS1_23onesweep_lookback_stateET6_jjj,"axG",@progbits,_ZN7rocprim17ROCPRIM_304000_NS6detail25onesweep_iteration_kernelINS1_34wrapped_radix_sort_onesweep_configINS0_14default_configEdN2at4cuda3cub6detail10OpaqueTypeILi8EEEEELb0EPdSC_PSA_SD_mNS0_19identity_decomposerEEEvT1_T2_T3_T4_jPT5_SK_PNS1_23onesweep_lookback_stateET6_jjj,comdat
	.protected	_ZN7rocprim17ROCPRIM_304000_NS6detail25onesweep_iteration_kernelINS1_34wrapped_radix_sort_onesweep_configINS0_14default_configEdN2at4cuda3cub6detail10OpaqueTypeILi8EEEEELb0EPdSC_PSA_SD_mNS0_19identity_decomposerEEEvT1_T2_T3_T4_jPT5_SK_PNS1_23onesweep_lookback_stateET6_jjj ; -- Begin function _ZN7rocprim17ROCPRIM_304000_NS6detail25onesweep_iteration_kernelINS1_34wrapped_radix_sort_onesweep_configINS0_14default_configEdN2at4cuda3cub6detail10OpaqueTypeILi8EEEEELb0EPdSC_PSA_SD_mNS0_19identity_decomposerEEEvT1_T2_T3_T4_jPT5_SK_PNS1_23onesweep_lookback_stateET6_jjj
	.globl	_ZN7rocprim17ROCPRIM_304000_NS6detail25onesweep_iteration_kernelINS1_34wrapped_radix_sort_onesweep_configINS0_14default_configEdN2at4cuda3cub6detail10OpaqueTypeILi8EEEEELb0EPdSC_PSA_SD_mNS0_19identity_decomposerEEEvT1_T2_T3_T4_jPT5_SK_PNS1_23onesweep_lookback_stateET6_jjj
	.p2align	8
	.type	_ZN7rocprim17ROCPRIM_304000_NS6detail25onesweep_iteration_kernelINS1_34wrapped_radix_sort_onesweep_configINS0_14default_configEdN2at4cuda3cub6detail10OpaqueTypeILi8EEEEELb0EPdSC_PSA_SD_mNS0_19identity_decomposerEEEvT1_T2_T3_T4_jPT5_SK_PNS1_23onesweep_lookback_stateET6_jjj,@function
_ZN7rocprim17ROCPRIM_304000_NS6detail25onesweep_iteration_kernelINS1_34wrapped_radix_sort_onesweep_configINS0_14default_configEdN2at4cuda3cub6detail10OpaqueTypeILi8EEEEELb0EPdSC_PSA_SD_mNS0_19identity_decomposerEEEvT1_T2_T3_T4_jPT5_SK_PNS1_23onesweep_lookback_stateET6_jjj: ; @_ZN7rocprim17ROCPRIM_304000_NS6detail25onesweep_iteration_kernelINS1_34wrapped_radix_sort_onesweep_configINS0_14default_configEdN2at4cuda3cub6detail10OpaqueTypeILi8EEEEELb0EPdSC_PSA_SD_mNS0_19identity_decomposerEEEvT1_T2_T3_T4_jPT5_SK_PNS1_23onesweep_lookback_stateET6_jjj
; %bb.0:
	s_clause 0x3
	s_load_b128 s[28:31], s[0:1], 0x44
	s_load_b256 s[16:23], s[0:1], 0x0
	s_load_b128 s[24:27], s[0:1], 0x28
	s_load_b64 s[12:13], s[0:1], 0x38
	v_and_b32_e32 v9, 0x3ff, v0
	v_mbcnt_lo_u32_b32 v18, -1, 0
	s_waitcnt lgkmcnt(0)
	s_cmp_ge_u32 s15, s30
	s_cbranch_scc0 .LBB157_66
; %bb.1:
	s_load_b32 s14, s[0:1], 0x20
	s_mov_b32 s4, -1
	s_brev_b32 s5, -2
	s_mov_b32 s6, s4
	s_mov_b32 s7, s5
	;; [unrolled: 1-line block ×6, first 2 shown]
	v_lshlrev_b32_e32 v21, 2, v9
	s_lshl_b32 s2, s15, 12
	s_mov_b32 s3, 0
	s_lshl_b32 s33, s30, 12
	v_lshlrev_b32_e32 v19, 3, v18
	v_and_b32_e32 v1, 0xf80, v21
	s_lshl_b64 s[30:31], s[2:3], 3
	s_delay_alu instid0(VALU_DEP_1)
	v_lshlrev_b32_e32 v20, 3, v1
	s_waitcnt lgkmcnt(0)
	s_sub_i32 s34, s14, s33
	s_add_u32 s2, s16, s30
	v_or_b32_e32 v12, v18, v1
	s_addc_u32 s3, s17, s31
	v_add_co_u32 v1, s2, s2, v19
	s_delay_alu instid0(VALU_DEP_1) | instskip(NEXT) | instid1(VALU_DEP_3)
	v_add_co_ci_u32_e64 v2, null, s3, 0, s2
	v_cmp_gt_u32_e32 vcc_lo, s34, v12
	s_delay_alu instid0(VALU_DEP_3) | instskip(NEXT) | instid1(VALU_DEP_1)
	v_add_co_u32 v10, s2, v1, v20
	v_add_co_ci_u32_e64 v11, s2, 0, v2, s2
	v_dual_mov_b32 v1, s4 :: v_dual_mov_b32 v2, s5
	v_dual_mov_b32 v3, s6 :: v_dual_mov_b32 v8, s11
	;; [unrolled: 1-line block ×4, first 2 shown]
	s_and_saveexec_b32 s2, vcc_lo
	s_cbranch_execz .LBB157_3
; %bb.2:
	global_load_b64 v[1:2], v[10:11], off
	v_bfrev_b32_e32 v4, -2
	s_delay_alu instid0(VALU_DEP_1) | instskip(NEXT) | instid1(VALU_DEP_1)
	v_dual_mov_b32 v3, -1 :: v_dual_mov_b32 v6, v4
	v_dual_mov_b32 v5, v3 :: v_dual_mov_b32 v8, v4
	v_mov_b32_e32 v7, v3
.LBB157_3:
	s_or_b32 exec_lo, exec_lo, s2
	v_add_nc_u32_e32 v13, 32, v12
	s_delay_alu instid0(VALU_DEP_1) | instskip(NEXT) | instid1(VALU_DEP_1)
	v_cmp_gt_u32_e64 s2, s34, v13
	s_and_saveexec_b32 s3, s2
	s_cbranch_execz .LBB157_5
; %bb.4:
	global_load_b64 v[3:4], v[10:11], off offset:256
.LBB157_5:
	s_or_b32 exec_lo, exec_lo, s3
	v_add_nc_u32_e32 v13, 64, v12
	s_delay_alu instid0(VALU_DEP_1) | instskip(NEXT) | instid1(VALU_DEP_1)
	v_cmp_gt_u32_e64 s3, s34, v13
	s_and_saveexec_b32 s4, s3
	s_cbranch_execz .LBB157_7
; %bb.6:
	global_load_b64 v[5:6], v[10:11], off offset:512
.LBB157_7:
	;; [unrolled: 9-line block ×3, first 2 shown]
	s_or_b32 exec_lo, exec_lo, s5
	s_clause 0x1
	s_load_b32 s5, s[0:1], 0x5c
	s_load_b32 s14, s[0:1], 0x50
	s_add_u32 s6, s0, 0x50
	s_addc_u32 s7, s1, 0
	s_waitcnt vmcnt(0)
	v_ashrrev_i32_e32 v11, 31, v2
	s_mov_b32 s8, -1
	s_brev_b32 s9, -2
	s_waitcnt lgkmcnt(0)
	s_lshr_b32 s10, s5, 16
	s_cmp_lt_u32 s15, s14
	s_cselect_b32 s5, 12, 18
	s_delay_alu instid0(SALU_CYCLE_1) | instskip(SKIP_3) | instid1(VALU_DEP_2)
	s_add_u32 s6, s6, s5
	v_cmp_lt_i64_e64 s5, -1, v[1:2]
	v_xor_b32_e32 v1, v11, v1
	s_addc_u32 s7, s7, 0
	v_cndmask_b32_e64 v10, -1, 0x80000000, s5
	s_delay_alu instid0(VALU_DEP_1) | instskip(NEXT) | instid1(VALU_DEP_1)
	v_xor_b32_e32 v2, v10, v2
	v_cmp_ne_u64_e64 s5, s[8:9], v[1:2]
	s_delay_alu instid0(VALU_DEP_1) | instskip(SKIP_2) | instid1(SALU_CYCLE_1)
	v_cndmask_b32_e64 v11, 0x80000000, v2, s5
	v_cndmask_b32_e64 v10, 0, v1, s5
	s_lshl_b32 s5, -1, s29
	s_not_b32 s33, s5
	s_delay_alu instid0(VALU_DEP_1) | instskip(NEXT) | instid1(VALU_DEP_1)
	v_lshrrev_b64 v[10:11], s28, v[10:11]
	v_and_b32_e32 v14, s33, v10
	v_mov_b32_e32 v12, 0
	v_bfe_u32 v10, v0, 10, 10
	s_delay_alu instid0(VALU_DEP_3)
	v_and_b32_e32 v11, 1, v14
	global_load_u16 v13, v12, s[6:7]
	v_lshlrev_b32_e32 v15, 30, v14
	v_lshlrev_b32_e32 v16, 29, v14
	;; [unrolled: 1-line block ×3, first 2 shown]
	v_add_co_u32 v11, s5, v11, -1
	s_delay_alu instid0(VALU_DEP_1)
	v_cndmask_b32_e64 v22, 0, 1, s5
	v_not_b32_e32 v26, v15
	v_cmp_gt_i32_e64 s6, 0, v15
	v_not_b32_e32 v15, v16
	v_lshlrev_b32_e32 v23, 27, v14
	v_cmp_ne_u32_e64 s5, 0, v22
	v_ashrrev_i32_e32 v26, 31, v26
	v_lshlrev_b32_e32 v24, 26, v14
	v_ashrrev_i32_e32 v15, 31, v15
	v_lshlrev_b32_e32 v25, 25, v14
	v_xor_b32_e32 v11, s5, v11
	v_cmp_gt_i32_e64 s5, 0, v16
	v_not_b32_e32 v16, v17
	v_xor_b32_e32 v26, s6, v26
	v_cmp_gt_i32_e64 s6, 0, v17
	v_and_b32_e32 v11, exec_lo, v11
	v_not_b32_e32 v17, v23
	v_ashrrev_i32_e32 v16, 31, v16
	v_xor_b32_e32 v15, s5, v15
	v_cmp_gt_i32_e64 s5, 0, v23
	v_and_b32_e32 v11, v11, v26
	v_not_b32_e32 v23, v24
	v_ashrrev_i32_e32 v17, 31, v17
	v_xor_b32_e32 v16, s6, v16
	v_lshlrev_b32_e32 v22, 24, v14
	v_and_b32_e32 v11, v11, v15
	v_cmp_gt_i32_e64 s6, 0, v24
	v_not_b32_e32 v15, v25
	v_ashrrev_i32_e32 v23, 31, v23
	v_xor_b32_e32 v17, s5, v17
	v_and_b32_e32 v11, v11, v16
	v_cmp_gt_i32_e64 s5, 0, v25
	v_not_b32_e32 v16, v22
	v_ashrrev_i32_e32 v15, 31, v15
	v_xor_b32_e32 v23, s6, v23
	v_and_b32_e32 v11, v11, v17
	v_bfe_u32 v17, v0, 20, 10
	v_cmp_gt_i32_e64 s6, 0, v22
	v_ashrrev_i32_e32 v16, 31, v16
	v_xor_b32_e32 v15, s5, v15
	v_and_b32_e32 v11, v11, v23
	v_mad_u32_u24 v17, v17, s10, v10
	v_mul_u32_u24_e32 v22, 9, v9
	v_xor_b32_e32 v16, s6, v16
	s_delay_alu instid0(VALU_DEP_4) | instskip(NEXT) | instid1(VALU_DEP_3)
	v_and_b32_e32 v15, v11, v15
	v_lshlrev_b32_e32 v23, 2, v22
	ds_store_2addr_b32 v23, v12, v12 offset0:32 offset1:33
	ds_store_2addr_b32 v23, v12, v12 offset0:34 offset1:35
	;; [unrolled: 1-line block ×4, first 2 shown]
	ds_store_b32 v23, v12 offset:160
	v_lshl_add_u32 v12, v14, 5, v14
	s_waitcnt vmcnt(0) lgkmcnt(0)
	s_barrier
	buffer_gl0_inv
	; wave barrier
	v_mad_u64_u32 v[10:11], null, v17, v13, v[9:10]
	v_and_b32_e32 v11, v15, v16
	s_delay_alu instid0(VALU_DEP_1) | instskip(NEXT) | instid1(VALU_DEP_3)
	v_mbcnt_lo_u32_b32 v22, v11, 0
	v_lshrrev_b32_e32 v10, 5, v10
	v_cmp_ne_u32_e64 s6, 0, v11
	s_delay_alu instid0(VALU_DEP_3) | instskip(NEXT) | instid1(VALU_DEP_3)
	v_cmp_eq_u32_e64 s5, 0, v22
	v_add_lshl_u32 v24, v12, v10, 2
	s_delay_alu instid0(VALU_DEP_2) | instskip(NEXT) | instid1(SALU_CYCLE_1)
	s_and_b32 s6, s6, s5
	s_and_saveexec_b32 s5, s6
	s_cbranch_execz .LBB157_11
; %bb.10:
	v_bcnt_u32_b32 v11, v11, 0
	ds_store_b32 v24, v11 offset:128
.LBB157_11:
	s_or_b32 exec_lo, exec_lo, s5
	v_cmp_lt_i64_e64 s5, -1, v[3:4]
	v_ashrrev_i32_e32 v12, 31, v4
	; wave barrier
	s_delay_alu instid0(VALU_DEP_1) | instskip(NEXT) | instid1(VALU_DEP_3)
	v_xor_b32_e32 v3, v12, v3
	v_cndmask_b32_e64 v11, -1, 0x80000000, s5
	s_delay_alu instid0(VALU_DEP_1) | instskip(NEXT) | instid1(VALU_DEP_1)
	v_xor_b32_e32 v4, v11, v4
	v_cmp_ne_u64_e64 s5, s[8:9], v[3:4]
	s_delay_alu instid0(VALU_DEP_1) | instskip(SKIP_1) | instid1(VALU_DEP_1)
	v_cndmask_b32_e64 v12, 0x80000000, v4, s5
	v_cndmask_b32_e64 v11, 0, v3, s5
	v_lshrrev_b64 v[11:12], s28, v[11:12]
	s_delay_alu instid0(VALU_DEP_1) | instskip(NEXT) | instid1(VALU_DEP_1)
	v_and_b32_e32 v11, s33, v11
	v_and_b32_e32 v12, 1, v11
	v_lshlrev_b32_e32 v13, 30, v11
	v_lshlrev_b32_e32 v14, 29, v11
	;; [unrolled: 1-line block ×4, first 2 shown]
	v_add_co_u32 v12, s5, v12, -1
	s_delay_alu instid0(VALU_DEP_1)
	v_cndmask_b32_e64 v16, 0, 1, s5
	v_not_b32_e32 v27, v13
	v_cmp_gt_i32_e64 s6, 0, v13
	v_not_b32_e32 v13, v14
	v_lshlrev_b32_e32 v25, 26, v11
	v_cmp_ne_u32_e64 s5, 0, v16
	v_ashrrev_i32_e32 v27, 31, v27
	v_lshlrev_b32_e32 v26, 25, v11
	v_ashrrev_i32_e32 v13, 31, v13
	v_lshlrev_b32_e32 v16, 24, v11
	v_xor_b32_e32 v12, s5, v12
	v_cmp_gt_i32_e64 s5, 0, v14
	v_not_b32_e32 v14, v15
	v_xor_b32_e32 v27, s6, v27
	v_cmp_gt_i32_e64 s6, 0, v15
	v_and_b32_e32 v12, exec_lo, v12
	v_not_b32_e32 v15, v17
	v_ashrrev_i32_e32 v14, 31, v14
	v_xor_b32_e32 v13, s5, v13
	v_cmp_gt_i32_e64 s5, 0, v17
	v_and_b32_e32 v12, v12, v27
	v_not_b32_e32 v17, v25
	v_ashrrev_i32_e32 v15, 31, v15
	v_xor_b32_e32 v14, s6, v14
	v_cmp_gt_i32_e64 s6, 0, v25
	v_and_b32_e32 v12, v12, v13
	v_not_b32_e32 v13, v26
	v_ashrrev_i32_e32 v17, 31, v17
	v_xor_b32_e32 v15, s5, v15
	v_cmp_gt_i32_e64 s5, 0, v26
	v_and_b32_e32 v12, v12, v14
	v_not_b32_e32 v14, v16
	v_ashrrev_i32_e32 v13, 31, v13
	v_xor_b32_e32 v17, s6, v17
	v_lshl_add_u32 v11, v11, 5, v11
	v_and_b32_e32 v12, v12, v15
	v_cmp_gt_i32_e64 s6, 0, v16
	v_ashrrev_i32_e32 v14, 31, v14
	v_xor_b32_e32 v13, s5, v13
	v_add_lshl_u32 v27, v11, v10, 2
	v_and_b32_e32 v12, v12, v17
	s_delay_alu instid0(VALU_DEP_4) | instskip(SKIP_2) | instid1(VALU_DEP_1)
	v_xor_b32_e32 v11, s6, v14
	ds_load_b32 v25, v27 offset:128
	v_and_b32_e32 v12, v12, v13
	; wave barrier
	v_and_b32_e32 v11, v12, v11
	s_delay_alu instid0(VALU_DEP_1) | instskip(SKIP_1) | instid1(VALU_DEP_2)
	v_mbcnt_lo_u32_b32 v26, v11, 0
	v_cmp_ne_u32_e64 s6, 0, v11
	v_cmp_eq_u32_e64 s5, 0, v26
	s_delay_alu instid0(VALU_DEP_1) | instskip(NEXT) | instid1(SALU_CYCLE_1)
	s_and_b32 s6, s6, s5
	s_and_saveexec_b32 s5, s6
	s_cbranch_execz .LBB157_13
; %bb.12:
	s_waitcnt lgkmcnt(0)
	v_bcnt_u32_b32 v11, v11, v25
	ds_store_b32 v27, v11 offset:128
.LBB157_13:
	s_or_b32 exec_lo, exec_lo, s5
	v_cmp_lt_i64_e64 s5, -1, v[5:6]
	v_ashrrev_i32_e32 v12, 31, v6
	; wave barrier
	s_delay_alu instid0(VALU_DEP_1) | instskip(NEXT) | instid1(VALU_DEP_3)
	v_xor_b32_e32 v5, v12, v5
	v_cndmask_b32_e64 v11, -1, 0x80000000, s5
	s_delay_alu instid0(VALU_DEP_1) | instskip(NEXT) | instid1(VALU_DEP_1)
	v_xor_b32_e32 v6, v11, v6
	v_cmp_ne_u64_e64 s5, s[8:9], v[5:6]
	s_delay_alu instid0(VALU_DEP_1) | instskip(SKIP_1) | instid1(VALU_DEP_1)
	v_cndmask_b32_e64 v12, 0x80000000, v6, s5
	v_cndmask_b32_e64 v11, 0, v5, s5
	v_lshrrev_b64 v[11:12], s28, v[11:12]
	s_delay_alu instid0(VALU_DEP_1) | instskip(NEXT) | instid1(VALU_DEP_1)
	v_and_b32_e32 v11, s33, v11
	v_and_b32_e32 v12, 1, v11
	v_lshlrev_b32_e32 v13, 30, v11
	v_lshlrev_b32_e32 v14, 29, v11
	;; [unrolled: 1-line block ×4, first 2 shown]
	v_add_co_u32 v12, s5, v12, -1
	s_delay_alu instid0(VALU_DEP_1)
	v_cndmask_b32_e64 v16, 0, 1, s5
	v_not_b32_e32 v30, v13
	v_cmp_gt_i32_e64 s6, 0, v13
	v_not_b32_e32 v13, v14
	v_lshlrev_b32_e32 v28, 26, v11
	v_cmp_ne_u32_e64 s5, 0, v16
	v_ashrrev_i32_e32 v30, 31, v30
	v_lshlrev_b32_e32 v29, 25, v11
	v_ashrrev_i32_e32 v13, 31, v13
	v_lshlrev_b32_e32 v16, 24, v11
	v_xor_b32_e32 v12, s5, v12
	v_cmp_gt_i32_e64 s5, 0, v14
	v_not_b32_e32 v14, v15
	v_xor_b32_e32 v30, s6, v30
	v_cmp_gt_i32_e64 s6, 0, v15
	v_and_b32_e32 v12, exec_lo, v12
	v_not_b32_e32 v15, v17
	v_ashrrev_i32_e32 v14, 31, v14
	v_xor_b32_e32 v13, s5, v13
	v_cmp_gt_i32_e64 s5, 0, v17
	v_and_b32_e32 v12, v12, v30
	v_not_b32_e32 v17, v28
	v_ashrrev_i32_e32 v15, 31, v15
	v_xor_b32_e32 v14, s6, v14
	v_cmp_gt_i32_e64 s6, 0, v28
	v_and_b32_e32 v12, v12, v13
	;; [unrolled: 5-line block ×3, first 2 shown]
	v_not_b32_e32 v14, v16
	v_ashrrev_i32_e32 v13, 31, v13
	v_xor_b32_e32 v17, s6, v17
	v_lshl_add_u32 v11, v11, 5, v11
	v_and_b32_e32 v12, v12, v15
	v_cmp_gt_i32_e64 s6, 0, v16
	v_ashrrev_i32_e32 v14, 31, v14
	v_xor_b32_e32 v13, s5, v13
	v_add_lshl_u32 v30, v11, v10, 2
	v_and_b32_e32 v12, v12, v17
	s_delay_alu instid0(VALU_DEP_4) | instskip(SKIP_2) | instid1(VALU_DEP_1)
	v_xor_b32_e32 v11, s6, v14
	ds_load_b32 v28, v30 offset:128
	v_and_b32_e32 v12, v12, v13
	; wave barrier
	v_and_b32_e32 v11, v12, v11
	s_delay_alu instid0(VALU_DEP_1) | instskip(SKIP_1) | instid1(VALU_DEP_2)
	v_mbcnt_lo_u32_b32 v29, v11, 0
	v_cmp_ne_u32_e64 s6, 0, v11
	v_cmp_eq_u32_e64 s5, 0, v29
	s_delay_alu instid0(VALU_DEP_1) | instskip(NEXT) | instid1(SALU_CYCLE_1)
	s_and_b32 s6, s6, s5
	s_and_saveexec_b32 s5, s6
	s_cbranch_execz .LBB157_15
; %bb.14:
	s_waitcnt lgkmcnt(0)
	v_bcnt_u32_b32 v11, v11, v28
	ds_store_b32 v30, v11 offset:128
.LBB157_15:
	s_or_b32 exec_lo, exec_lo, s5
	v_cmp_lt_i64_e64 s5, -1, v[7:8]
	v_ashrrev_i32_e32 v12, 31, v8
	; wave barrier
	v_add_nc_u32_e32 v34, 0x80, v23
	s_delay_alu instid0(VALU_DEP_2) | instskip(NEXT) | instid1(VALU_DEP_4)
	v_xor_b32_e32 v7, v12, v7
	v_cndmask_b32_e64 v11, -1, 0x80000000, s5
	s_delay_alu instid0(VALU_DEP_1) | instskip(NEXT) | instid1(VALU_DEP_1)
	v_xor_b32_e32 v8, v11, v8
	v_cmp_ne_u64_e64 s5, s[8:9], v[7:8]
	s_delay_alu instid0(VALU_DEP_1) | instskip(SKIP_1) | instid1(VALU_DEP_1)
	v_cndmask_b32_e64 v12, 0x80000000, v8, s5
	v_cndmask_b32_e64 v11, 0, v7, s5
	v_lshrrev_b64 v[11:12], s28, v[11:12]
	s_delay_alu instid0(VALU_DEP_1) | instskip(NEXT) | instid1(VALU_DEP_1)
	v_and_b32_e32 v11, s33, v11
	v_and_b32_e32 v12, 1, v11
	v_lshlrev_b32_e32 v13, 30, v11
	v_lshlrev_b32_e32 v14, 29, v11
	;; [unrolled: 1-line block ×4, first 2 shown]
	v_add_co_u32 v12, s5, v12, -1
	s_delay_alu instid0(VALU_DEP_1)
	v_cndmask_b32_e64 v16, 0, 1, s5
	v_not_b32_e32 v33, v13
	v_cmp_gt_i32_e64 s6, 0, v13
	v_not_b32_e32 v13, v14
	v_lshlrev_b32_e32 v31, 26, v11
	v_cmp_ne_u32_e64 s5, 0, v16
	v_ashrrev_i32_e32 v33, 31, v33
	v_lshlrev_b32_e32 v32, 25, v11
	v_ashrrev_i32_e32 v13, 31, v13
	v_lshlrev_b32_e32 v16, 24, v11
	v_xor_b32_e32 v12, s5, v12
	v_cmp_gt_i32_e64 s5, 0, v14
	v_not_b32_e32 v14, v15
	v_xor_b32_e32 v33, s6, v33
	v_cmp_gt_i32_e64 s6, 0, v15
	v_and_b32_e32 v12, exec_lo, v12
	v_not_b32_e32 v15, v17
	v_ashrrev_i32_e32 v14, 31, v14
	v_xor_b32_e32 v13, s5, v13
	v_cmp_gt_i32_e64 s5, 0, v17
	v_and_b32_e32 v12, v12, v33
	v_not_b32_e32 v17, v31
	v_ashrrev_i32_e32 v15, 31, v15
	v_xor_b32_e32 v14, s6, v14
	v_cmp_gt_i32_e64 s6, 0, v31
	v_and_b32_e32 v12, v12, v13
	v_not_b32_e32 v13, v32
	v_ashrrev_i32_e32 v17, 31, v17
	v_xor_b32_e32 v15, s5, v15
	v_cmp_gt_i32_e64 s5, 0, v32
	v_and_b32_e32 v12, v12, v14
	v_not_b32_e32 v14, v16
	v_ashrrev_i32_e32 v13, 31, v13
	v_xor_b32_e32 v17, s6, v17
	v_lshl_add_u32 v11, v11, 5, v11
	v_and_b32_e32 v12, v12, v15
	v_cmp_gt_i32_e64 s6, 0, v16
	v_ashrrev_i32_e32 v14, 31, v14
	v_xor_b32_e32 v13, s5, v13
	v_add_lshl_u32 v33, v11, v10, 2
	v_and_b32_e32 v12, v12, v17
	s_delay_alu instid0(VALU_DEP_4) | instskip(SKIP_2) | instid1(VALU_DEP_1)
	v_xor_b32_e32 v10, s6, v14
	ds_load_b32 v31, v33 offset:128
	v_and_b32_e32 v11, v12, v13
	; wave barrier
	v_and_b32_e32 v10, v11, v10
	s_delay_alu instid0(VALU_DEP_1) | instskip(SKIP_1) | instid1(VALU_DEP_2)
	v_mbcnt_lo_u32_b32 v32, v10, 0
	v_cmp_ne_u32_e64 s6, 0, v10
	v_cmp_eq_u32_e64 s5, 0, v32
	s_delay_alu instid0(VALU_DEP_1) | instskip(NEXT) | instid1(SALU_CYCLE_1)
	s_and_b32 s6, s6, s5
	s_and_saveexec_b32 s5, s6
	s_cbranch_execz .LBB157_17
; %bb.16:
	s_waitcnt lgkmcnt(0)
	v_bcnt_u32_b32 v10, v10, v31
	ds_store_b32 v33, v10 offset:128
.LBB157_17:
	s_or_b32 exec_lo, exec_lo, s5
	; wave barrier
	s_waitcnt lgkmcnt(0)
	s_barrier
	buffer_gl0_inv
	ds_load_2addr_b32 v[16:17], v23 offset0:32 offset1:33
	ds_load_2addr_b32 v[14:15], v34 offset0:2 offset1:3
	;; [unrolled: 1-line block ×4, first 2 shown]
	ds_load_b32 v35, v34 offset:32
	v_and_b32_e32 v38, 16, v18
	v_and_b32_e32 v39, 31, v9
	s_mov_b32 s11, exec_lo
	s_delay_alu instid0(VALU_DEP_2) | instskip(SKIP_3) | instid1(VALU_DEP_1)
	v_cmp_eq_u32_e64 s9, 0, v38
	s_waitcnt lgkmcnt(3)
	v_add3_u32 v36, v17, v16, v14
	s_waitcnt lgkmcnt(2)
	v_add3_u32 v36, v36, v15, v12
	s_waitcnt lgkmcnt(1)
	s_delay_alu instid0(VALU_DEP_1) | instskip(SKIP_1) | instid1(VALU_DEP_1)
	v_add3_u32 v36, v36, v13, v10
	s_waitcnt lgkmcnt(0)
	v_add3_u32 v35, v36, v11, v35
	v_and_b32_e32 v36, 15, v18
	s_delay_alu instid0(VALU_DEP_2) | instskip(NEXT) | instid1(VALU_DEP_2)
	v_mov_b32_dpp v37, v35 row_shr:1 row_mask:0xf bank_mask:0xf
	v_cmp_eq_u32_e64 s5, 0, v36
	v_cmp_lt_u32_e64 s6, 1, v36
	v_cmp_lt_u32_e64 s7, 3, v36
	;; [unrolled: 1-line block ×3, first 2 shown]
	s_delay_alu instid0(VALU_DEP_4) | instskip(NEXT) | instid1(VALU_DEP_1)
	v_cndmask_b32_e64 v37, v37, 0, s5
	v_add_nc_u32_e32 v35, v37, v35
	s_delay_alu instid0(VALU_DEP_1) | instskip(NEXT) | instid1(VALU_DEP_1)
	v_mov_b32_dpp v37, v35 row_shr:2 row_mask:0xf bank_mask:0xf
	v_cndmask_b32_e64 v37, 0, v37, s6
	s_delay_alu instid0(VALU_DEP_1) | instskip(NEXT) | instid1(VALU_DEP_1)
	v_add_nc_u32_e32 v35, v35, v37
	v_mov_b32_dpp v37, v35 row_shr:4 row_mask:0xf bank_mask:0xf
	s_delay_alu instid0(VALU_DEP_1) | instskip(NEXT) | instid1(VALU_DEP_1)
	v_cndmask_b32_e64 v37, 0, v37, s7
	v_add_nc_u32_e32 v35, v35, v37
	s_delay_alu instid0(VALU_DEP_1) | instskip(NEXT) | instid1(VALU_DEP_1)
	v_mov_b32_dpp v37, v35 row_shr:8 row_mask:0xf bank_mask:0xf
	v_cndmask_b32_e64 v36, 0, v37, s8
	v_bfe_i32 v37, v18, 4, 1
	s_delay_alu instid0(VALU_DEP_2) | instskip(SKIP_4) | instid1(VALU_DEP_2)
	v_add_nc_u32_e32 v35, v35, v36
	ds_swizzle_b32 v36, v35 offset:swizzle(BROADCAST,32,15)
	s_waitcnt lgkmcnt(0)
	v_and_b32_e32 v37, v37, v36
	v_lshrrev_b32_e32 v36, 5, v9
	v_add_nc_u32_e32 v35, v35, v37
	v_cmpx_eq_u32_e32 31, v39
	s_cbranch_execz .LBB157_19
; %bb.18:
	s_delay_alu instid0(VALU_DEP_3)
	v_lshlrev_b32_e32 v37, 2, v36
	ds_store_b32 v37, v35
.LBB157_19:
	s_or_b32 exec_lo, exec_lo, s11
	v_cmp_lt_u32_e64 s10, 31, v9
	s_mov_b32 s35, exec_lo
	s_waitcnt lgkmcnt(0)
	s_barrier
	buffer_gl0_inv
	v_cmpx_gt_u32_e32 32, v9
	s_cbranch_execz .LBB157_21
; %bb.20:
	ds_load_b32 v37, v21
	s_waitcnt lgkmcnt(0)
	v_mov_b32_dpp v38, v37 row_shr:1 row_mask:0xf bank_mask:0xf
	s_delay_alu instid0(VALU_DEP_1) | instskip(NEXT) | instid1(VALU_DEP_1)
	v_cndmask_b32_e64 v38, v38, 0, s5
	v_add_nc_u32_e32 v37, v38, v37
	s_delay_alu instid0(VALU_DEP_1) | instskip(NEXT) | instid1(VALU_DEP_1)
	v_mov_b32_dpp v38, v37 row_shr:2 row_mask:0xf bank_mask:0xf
	v_cndmask_b32_e64 v38, 0, v38, s6
	s_delay_alu instid0(VALU_DEP_1) | instskip(NEXT) | instid1(VALU_DEP_1)
	v_add_nc_u32_e32 v37, v37, v38
	v_mov_b32_dpp v38, v37 row_shr:4 row_mask:0xf bank_mask:0xf
	s_delay_alu instid0(VALU_DEP_1) | instskip(NEXT) | instid1(VALU_DEP_1)
	v_cndmask_b32_e64 v38, 0, v38, s7
	v_add_nc_u32_e32 v37, v37, v38
	s_delay_alu instid0(VALU_DEP_1) | instskip(NEXT) | instid1(VALU_DEP_1)
	v_mov_b32_dpp v38, v37 row_shr:8 row_mask:0xf bank_mask:0xf
	v_cndmask_b32_e64 v38, 0, v38, s8
	s_delay_alu instid0(VALU_DEP_1) | instskip(SKIP_3) | instid1(VALU_DEP_1)
	v_add_nc_u32_e32 v37, v37, v38
	ds_swizzle_b32 v38, v37 offset:swizzle(BROADCAST,32,15)
	s_waitcnt lgkmcnt(0)
	v_cndmask_b32_e64 v38, v38, 0, s9
	v_add_nc_u32_e32 v37, v37, v38
	ds_store_b32 v21, v37
.LBB157_21:
	s_or_b32 exec_lo, exec_lo, s35
	v_mov_b32_e32 v21, 0
	s_waitcnt lgkmcnt(0)
	s_barrier
	buffer_gl0_inv
	s_and_saveexec_b32 s5, s10
	s_cbranch_execz .LBB157_23
; %bb.22:
	v_lshl_add_u32 v21, v36, 2, -4
	ds_load_b32 v21, v21
.LBB157_23:
	s_or_b32 exec_lo, exec_lo, s5
	v_add_nc_u32_e32 v36, -1, v18
	s_waitcnt lgkmcnt(0)
	v_add_nc_u32_e32 v35, v21, v35
	s_delay_alu instid0(VALU_DEP_2) | instskip(NEXT) | instid1(VALU_DEP_1)
	v_cmp_gt_i32_e64 s5, 0, v36
	v_cndmask_b32_e64 v36, v36, v18, s5
	v_cmp_eq_u32_e64 s5, 0, v18
	s_delay_alu instid0(VALU_DEP_2) | instskip(SKIP_4) | instid1(VALU_DEP_1)
	v_lshlrev_b32_e32 v36, 2, v36
	ds_bpermute_b32 v35, v36, v35
	s_waitcnt lgkmcnt(0)
	v_cndmask_b32_e64 v21, v35, v21, s5
	v_cmp_ne_u32_e64 s5, 0, v9
	v_cndmask_b32_e64 v21, 0, v21, s5
	v_cmp_gt_u32_e64 s5, 0x100, v9
	s_delay_alu instid0(VALU_DEP_2) | instskip(NEXT) | instid1(VALU_DEP_1)
	v_add_nc_u32_e32 v16, v21, v16
	v_add_nc_u32_e32 v17, v16, v17
	s_delay_alu instid0(VALU_DEP_1) | instskip(NEXT) | instid1(VALU_DEP_1)
	v_add_nc_u32_e32 v14, v17, v14
	v_add_nc_u32_e32 v15, v14, v15
	s_delay_alu instid0(VALU_DEP_1) | instskip(NEXT) | instid1(VALU_DEP_1)
	v_add_nc_u32_e32 v12, v15, v12
	v_add_nc_u32_e32 v13, v12, v13
	s_delay_alu instid0(VALU_DEP_1) | instskip(NEXT) | instid1(VALU_DEP_1)
	v_add_nc_u32_e32 v10, v13, v10
	v_add_nc_u32_e32 v11, v10, v11
	ds_store_2addr_b32 v23, v21, v16 offset0:32 offset1:33
	ds_store_2addr_b32 v34, v17, v14 offset0:2 offset1:3
	;; [unrolled: 1-line block ×4, first 2 shown]
	ds_store_b32 v34, v11 offset:32
	s_waitcnt lgkmcnt(0)
	s_barrier
	buffer_gl0_inv
	ds_load_b32 v14, v24 offset:128
	ds_load_b32 v15, v27 offset:128
	;; [unrolled: 1-line block ×4, first 2 shown]
                                        ; implicit-def: $vgpr12
                                        ; implicit-def: $vgpr13
	s_and_saveexec_b32 s7, s5
	s_cbranch_execz .LBB157_27
; %bb.24:
	v_mul_u32_u24_e32 v12, 33, v9
	s_mov_b32 s8, exec_lo
	s_delay_alu instid0(VALU_DEP_1)
	v_dual_mov_b32 v13, 0x1000 :: v_dual_lshlrev_b32 v16, 2, v12
	ds_load_b32 v12, v16 offset:128
	v_cmpx_ne_u32_e32 0xff, v9
	s_cbranch_execz .LBB157_26
; %bb.25:
	ds_load_b32 v13, v16 offset:260
.LBB157_26:
	s_or_b32 exec_lo, exec_lo, s8
	s_waitcnt lgkmcnt(0)
	v_sub_nc_u32_e32 v13, v13, v12
.LBB157_27:
	s_or_b32 exec_lo, exec_lo, s7
	v_add_nc_u32_e32 v17, v32, v31
	v_add_nc_u32_e32 v16, v26, v25
	;; [unrolled: 1-line block ×3, first 2 shown]
	s_waitcnt lgkmcnt(3)
	v_add_lshl_u32 v14, v14, v22, 3
	s_waitcnt lgkmcnt(0)
	v_add_lshl_u32 v17, v17, v10, 3
	v_add_lshl_u32 v15, v16, v15, 3
	;; [unrolled: 1-line block ×3, first 2 shown]
	s_barrier
	buffer_gl0_inv
	ds_store_b64 v14, v[1:2] offset:2048
	ds_store_b64 v15, v[3:4] offset:2048
	;; [unrolled: 1-line block ×4, first 2 shown]
	s_waitcnt lgkmcnt(0)
	s_barrier
	buffer_gl0_inv
	s_and_saveexec_b32 s7, s5
	s_cbranch_execz .LBB157_37
; %bb.28:
	v_lshl_or_b32 v3, s15, 8, v9
	v_dual_mov_b32 v4, 0 :: v_dual_mov_b32 v7, 0
	s_mov_b32 s8, 0
	s_mov_b32 s9, s15
	s_delay_alu instid0(VALU_DEP_1) | instskip(SKIP_1) | instid1(VALU_DEP_2)
	v_lshlrev_b64 v[1:2], 2, v[3:4]
	v_or_b32_e32 v3, 2.0, v13
	v_add_co_u32 v1, s6, s12, v1
	s_delay_alu instid0(VALU_DEP_1)
	v_add_co_ci_u32_e64 v2, s6, s13, v2, s6
                                        ; implicit-def: $sgpr6
	global_store_b32 v[1:2], v3, off
	s_branch .LBB157_30
	.p2align	6
.LBB157_29:                             ;   in Loop: Header=BB157_30 Depth=1
	s_or_b32 exec_lo, exec_lo, s10
	v_and_b32_e32 v5, 0x3fffffff, v8
	v_cmp_eq_u32_e64 s6, 0x80000000, v3
	s_delay_alu instid0(VALU_DEP_2) | instskip(NEXT) | instid1(VALU_DEP_2)
	v_add_nc_u32_e32 v7, v5, v7
	s_and_b32 s10, exec_lo, s6
	s_delay_alu instid0(SALU_CYCLE_1) | instskip(NEXT) | instid1(SALU_CYCLE_1)
	s_or_b32 s8, s10, s8
	s_and_not1_b32 exec_lo, exec_lo, s8
	s_cbranch_execz .LBB157_36
.LBB157_30:                             ; =>This Loop Header: Depth=1
                                        ;     Child Loop BB157_33 Depth 2
	s_or_b32 s6, s6, exec_lo
	s_cmp_eq_u32 s9, 0
	s_cbranch_scc1 .LBB157_35
; %bb.31:                               ;   in Loop: Header=BB157_30 Depth=1
	s_add_i32 s9, s9, -1
	s_mov_b32 s10, exec_lo
	v_lshl_or_b32 v3, s9, 8, v9
	s_delay_alu instid0(VALU_DEP_1) | instskip(NEXT) | instid1(VALU_DEP_1)
	v_lshlrev_b64 v[5:6], 2, v[3:4]
	v_add_co_u32 v5, s6, s12, v5
	s_delay_alu instid0(VALU_DEP_1) | instskip(SKIP_3) | instid1(VALU_DEP_1)
	v_add_co_ci_u32_e64 v6, s6, s13, v6, s6
	global_load_b32 v8, v[5:6], off glc
	s_waitcnt vmcnt(0)
	v_and_b32_e32 v3, -2.0, v8
	v_cmpx_eq_u32_e32 0, v3
	s_cbranch_execz .LBB157_29
; %bb.32:                               ;   in Loop: Header=BB157_30 Depth=1
	s_mov_b32 s11, 0
.LBB157_33:                             ;   Parent Loop BB157_30 Depth=1
                                        ; =>  This Inner Loop Header: Depth=2
	global_load_b32 v8, v[5:6], off glc
	s_waitcnt vmcnt(0)
	v_and_b32_e32 v3, -2.0, v8
	s_delay_alu instid0(VALU_DEP_1) | instskip(NEXT) | instid1(VALU_DEP_1)
	v_cmp_ne_u32_e64 s6, 0, v3
	s_or_b32 s11, s6, s11
	s_delay_alu instid0(SALU_CYCLE_1)
	s_and_not1_b32 exec_lo, exec_lo, s11
	s_cbranch_execnz .LBB157_33
; %bb.34:                               ;   in Loop: Header=BB157_30 Depth=1
	s_or_b32 exec_lo, exec_lo, s11
	s_branch .LBB157_29
.LBB157_35:                             ;   in Loop: Header=BB157_30 Depth=1
                                        ; implicit-def: $sgpr9
	s_and_b32 s10, exec_lo, s6
	s_delay_alu instid0(SALU_CYCLE_1) | instskip(NEXT) | instid1(SALU_CYCLE_1)
	s_or_b32 s8, s10, s8
	s_and_not1_b32 exec_lo, exec_lo, s8
	s_cbranch_execnz .LBB157_30
.LBB157_36:
	s_or_b32 exec_lo, exec_lo, s8
	v_add_nc_u32_e32 v3, v7, v13
	v_lshlrev_b32_e32 v4, 3, v9
	s_delay_alu instid0(VALU_DEP_2) | instskip(SKIP_3) | instid1(VALU_DEP_1)
	v_or_b32_e32 v3, 0x80000000, v3
	global_store_b32 v[1:2], v3, off
	global_load_b64 v[1:2], v4, s[24:25]
	v_sub_co_u32 v3, s6, v7, v12
	v_sub_co_ci_u32_e64 v5, null, 0, 0, s6
	s_waitcnt vmcnt(0)
	s_delay_alu instid0(VALU_DEP_2) | instskip(NEXT) | instid1(VALU_DEP_1)
	v_add_co_u32 v1, s6, v3, v1
	v_add_co_ci_u32_e64 v2, s6, v5, v2, s6
	ds_store_b64 v4, v[1:2]
.LBB157_37:
	s_or_b32 exec_lo, exec_lo, s7
	v_cmp_gt_u32_e64 s6, s34, v9
	v_lshlrev_b32_e32 v21, 3, v9
	s_waitcnt lgkmcnt(0)
	s_waitcnt_vscnt null, 0x0
	s_barrier
	buffer_gl0_inv
	s_and_saveexec_b32 s8, s6
	s_cbranch_execz .LBB157_39
; %bb.38:
	ds_load_b64 v[1:2], v21 offset:2048
	s_mov_b32 s10, -1
	s_brev_b32 s11, -2
	s_waitcnt lgkmcnt(0)
	v_cmp_ne_u64_e64 s7, s[10:11], v[1:2]
	v_ashrrev_i32_e32 v5, 31, v2
	s_delay_alu instid0(VALU_DEP_1) | instskip(NEXT) | instid1(VALU_DEP_3)
	v_not_b32_e32 v5, v5
	v_cndmask_b32_e64 v4, 0x80000000, v2, s7
	v_cndmask_b32_e64 v3, 0, v1, s7
	v_cmp_lt_i64_e64 s7, -1, v[1:2]
	s_delay_alu instid0(VALU_DEP_4) | instskip(NEXT) | instid1(VALU_DEP_3)
	v_xor_b32_e32 v1, v5, v1
	v_lshrrev_b64 v[3:4], s28, v[3:4]
	s_delay_alu instid0(VALU_DEP_3) | instskip(NEXT) | instid1(VALU_DEP_2)
	v_cndmask_b32_e64 v6, 0x80000000, -1, s7
	v_and_b32_e32 v3, s33, v3
	s_delay_alu instid0(VALU_DEP_2) | instskip(NEXT) | instid1(VALU_DEP_2)
	v_xor_b32_e32 v2, v6, v2
	v_lshlrev_b32_e32 v3, 3, v3
	ds_load_b64 v[3:4], v3
	s_waitcnt lgkmcnt(0)
	v_lshlrev_b64 v[3:4], 3, v[3:4]
	s_delay_alu instid0(VALU_DEP_1) | instskip(NEXT) | instid1(VALU_DEP_1)
	v_add_co_u32 v3, s7, s18, v3
	v_add_co_ci_u32_e64 v4, s7, s19, v4, s7
	s_delay_alu instid0(VALU_DEP_2) | instskip(NEXT) | instid1(VALU_DEP_1)
	v_add_co_u32 v3, s7, v3, v21
	v_add_co_ci_u32_e64 v4, s7, 0, v4, s7
	global_store_b64 v[3:4], v[1:2], off
.LBB157_39:
	s_or_b32 exec_lo, exec_lo, s8
	v_or_b32_e32 v1, 0x400, v9
	s_delay_alu instid0(VALU_DEP_1) | instskip(SKIP_1) | instid1(VALU_DEP_2)
	v_cmp_gt_u32_e64 s7, s34, v1
	v_lshlrev_b32_e32 v22, 3, v1
	s_and_saveexec_b32 s9, s7
	s_cbranch_execz .LBB157_41
; %bb.40:
	ds_load_b64 v[1:2], v21 offset:10240
	s_mov_b32 s10, -1
	s_brev_b32 s11, -2
	s_waitcnt lgkmcnt(0)
	v_cmp_ne_u64_e64 s8, s[10:11], v[1:2]
	v_ashrrev_i32_e32 v5, 31, v2
	s_delay_alu instid0(VALU_DEP_1) | instskip(NEXT) | instid1(VALU_DEP_3)
	v_not_b32_e32 v5, v5
	v_cndmask_b32_e64 v4, 0x80000000, v2, s8
	v_cndmask_b32_e64 v3, 0, v1, s8
	v_cmp_lt_i64_e64 s8, -1, v[1:2]
	s_delay_alu instid0(VALU_DEP_4) | instskip(NEXT) | instid1(VALU_DEP_3)
	v_xor_b32_e32 v1, v5, v1
	v_lshrrev_b64 v[3:4], s28, v[3:4]
	s_delay_alu instid0(VALU_DEP_3) | instskip(NEXT) | instid1(VALU_DEP_2)
	v_cndmask_b32_e64 v6, 0x80000000, -1, s8
	v_and_b32_e32 v3, s33, v3
	s_delay_alu instid0(VALU_DEP_2) | instskip(NEXT) | instid1(VALU_DEP_2)
	v_xor_b32_e32 v2, v6, v2
	v_lshlrev_b32_e32 v3, 3, v3
	ds_load_b64 v[3:4], v3
	s_waitcnt lgkmcnt(0)
	v_lshlrev_b64 v[3:4], 3, v[3:4]
	s_delay_alu instid0(VALU_DEP_1) | instskip(NEXT) | instid1(VALU_DEP_1)
	v_add_co_u32 v3, s8, s18, v3
	v_add_co_ci_u32_e64 v4, s8, s19, v4, s8
	s_delay_alu instid0(VALU_DEP_2) | instskip(NEXT) | instid1(VALU_DEP_1)
	v_add_co_u32 v3, s8, v3, v22
	v_add_co_ci_u32_e64 v4, s8, 0, v4, s8
	global_store_b64 v[3:4], v[1:2], off
.LBB157_41:
	s_or_b32 exec_lo, exec_lo, s9
	v_or_b32_e32 v1, 0x800, v9
	s_delay_alu instid0(VALU_DEP_1) | instskip(SKIP_1) | instid1(VALU_DEP_2)
	v_cmp_gt_u32_e64 s8, s34, v1
	v_lshlrev_b32_e32 v23, 3, v1
	;; [unrolled: 39-line block ×3, first 2 shown]
	s_and_saveexec_b32 s11, s9
	s_cbranch_execz .LBB157_45
; %bb.44:
	ds_load_b64 v[1:2], v21 offset:26624
	s_mov_b32 s34, -1
	s_brev_b32 s35, -2
	s_waitcnt lgkmcnt(0)
	v_cmp_ne_u64_e64 s10, s[34:35], v[1:2]
	v_ashrrev_i32_e32 v5, 31, v2
	s_delay_alu instid0(VALU_DEP_1) | instskip(NEXT) | instid1(VALU_DEP_3)
	v_not_b32_e32 v5, v5
	v_cndmask_b32_e64 v4, 0x80000000, v2, s10
	v_cndmask_b32_e64 v3, 0, v1, s10
	v_cmp_lt_i64_e64 s10, -1, v[1:2]
	s_delay_alu instid0(VALU_DEP_4) | instskip(NEXT) | instid1(VALU_DEP_3)
	v_xor_b32_e32 v1, v5, v1
	v_lshrrev_b64 v[3:4], s28, v[3:4]
	s_delay_alu instid0(VALU_DEP_3) | instskip(NEXT) | instid1(VALU_DEP_2)
	v_cndmask_b32_e64 v6, 0x80000000, -1, s10
	v_and_b32_e32 v3, s33, v3
	s_delay_alu instid0(VALU_DEP_2) | instskip(NEXT) | instid1(VALU_DEP_2)
	v_xor_b32_e32 v2, v6, v2
	v_lshlrev_b32_e32 v3, 3, v3
	ds_load_b64 v[3:4], v3
	s_waitcnt lgkmcnt(0)
	v_lshlrev_b64 v[3:4], 3, v[3:4]
	s_delay_alu instid0(VALU_DEP_1) | instskip(NEXT) | instid1(VALU_DEP_1)
	v_add_co_u32 v3, s10, s18, v3
	v_add_co_ci_u32_e64 v4, s10, s19, v4, s10
	s_delay_alu instid0(VALU_DEP_2) | instskip(NEXT) | instid1(VALU_DEP_1)
	v_add_co_u32 v3, s10, v3, v24
	v_add_co_ci_u32_e64 v4, s10, 0, v4, s10
	global_store_b64 v[3:4], v[1:2], off
.LBB157_45:
	s_or_b32 exec_lo, exec_lo, s11
	s_add_u32 s10, s20, s30
	s_addc_u32 s11, s21, s31
	v_add_co_u32 v1, s10, s10, v19
	s_delay_alu instid0(VALU_DEP_1) | instskip(NEXT) | instid1(VALU_DEP_2)
	v_add_co_ci_u32_e64 v2, null, s11, 0, s10
	v_add_co_u32 v10, s10, v1, v20
	s_delay_alu instid0(VALU_DEP_1) | instskip(SKIP_1) | instid1(SALU_CYCLE_1)
	v_add_co_ci_u32_e64 v11, s10, 0, v2, s10
                                        ; implicit-def: $vgpr1_vgpr2
	s_and_saveexec_b32 s10, vcc_lo
	s_xor_b32 s10, exec_lo, s10
	s_cbranch_execnz .LBB157_103
; %bb.46:
	s_or_b32 exec_lo, exec_lo, s10
                                        ; implicit-def: $vgpr3_vgpr4
	s_and_saveexec_b32 s10, s2
	s_cbranch_execnz .LBB157_104
.LBB157_47:
	s_or_b32 exec_lo, exec_lo, s10
                                        ; implicit-def: $vgpr5_vgpr6
	s_and_saveexec_b32 s2, s3
	s_cbranch_execnz .LBB157_105
.LBB157_48:
	s_or_b32 exec_lo, exec_lo, s2
                                        ; implicit-def: $vgpr7_vgpr8
	s_and_saveexec_b32 s2, s4
	s_cbranch_execz .LBB157_50
.LBB157_49:
	global_load_b64 v[7:8], v[10:11], off offset:768
.LBB157_50:
	s_or_b32 exec_lo, exec_lo, s2
	v_dual_mov_b32 v10, 0 :: v_dual_mov_b32 v19, 0
	s_and_saveexec_b32 s2, s6
	s_cbranch_execz .LBB157_52
; %bb.51:
	ds_load_b64 v[19:20], v21 offset:2048
	s_mov_b32 s10, -1
	s_brev_b32 s11, -2
	s_waitcnt lgkmcnt(0)
	v_cmp_ne_u64_e32 vcc_lo, s[10:11], v[19:20]
	v_cndmask_b32_e32 v20, 0x80000000, v20, vcc_lo
	v_cndmask_b32_e32 v19, 0, v19, vcc_lo
	s_delay_alu instid0(VALU_DEP_1) | instskip(NEXT) | instid1(VALU_DEP_1)
	v_lshrrev_b64 v[19:20], s28, v[19:20]
	v_and_b32_e32 v19, s33, v19
.LBB157_52:
	s_or_b32 exec_lo, exec_lo, s2
	s_and_saveexec_b32 s2, s7
	s_cbranch_execz .LBB157_54
; %bb.53:
	ds_load_b64 v[10:11], v21 offset:10240
	s_mov_b32 s10, -1
	s_brev_b32 s11, -2
	s_waitcnt lgkmcnt(0)
	v_cmp_ne_u64_e32 vcc_lo, s[10:11], v[10:11]
	v_cndmask_b32_e32 v11, 0x80000000, v11, vcc_lo
	v_cndmask_b32_e32 v10, 0, v10, vcc_lo
	s_delay_alu instid0(VALU_DEP_1) | instskip(NEXT) | instid1(VALU_DEP_1)
	v_lshrrev_b64 v[10:11], s28, v[10:11]
	v_and_b32_e32 v10, s33, v10
.LBB157_54:
	s_or_b32 exec_lo, exec_lo, s2
	v_dual_mov_b32 v11, 0 :: v_dual_mov_b32 v20, 0
	s_and_saveexec_b32 s2, s8
	s_cbranch_execz .LBB157_56
; %bb.55:
	ds_load_b64 v[25:26], v21 offset:18432
	s_mov_b32 s10, -1
	s_brev_b32 s11, -2
	s_waitcnt lgkmcnt(0)
	v_cmp_ne_u64_e32 vcc_lo, s[10:11], v[25:26]
	v_cndmask_b32_e32 v26, 0x80000000, v26, vcc_lo
	v_cndmask_b32_e32 v25, 0, v25, vcc_lo
	s_delay_alu instid0(VALU_DEP_1) | instskip(NEXT) | instid1(VALU_DEP_1)
	v_lshrrev_b64 v[25:26], s28, v[25:26]
	v_and_b32_e32 v20, s33, v25
.LBB157_56:
	s_or_b32 exec_lo, exec_lo, s2
	s_and_saveexec_b32 s2, s9
	s_cbranch_execz .LBB157_58
; %bb.57:
	ds_load_b64 v[25:26], v21 offset:26624
	s_mov_b32 s10, -1
	s_brev_b32 s11, -2
	s_waitcnt lgkmcnt(0)
	v_cmp_ne_u64_e32 vcc_lo, s[10:11], v[25:26]
	v_cndmask_b32_e32 v26, 0x80000000, v26, vcc_lo
	v_cndmask_b32_e32 v25, 0, v25, vcc_lo
	s_delay_alu instid0(VALU_DEP_1) | instskip(NEXT) | instid1(VALU_DEP_1)
	v_lshrrev_b64 v[25:26], s28, v[25:26]
	v_and_b32_e32 v11, s33, v25
.LBB157_58:
	s_or_b32 exec_lo, exec_lo, s2
	s_waitcnt vmcnt(0)
	s_waitcnt_vscnt null, 0x0
	s_barrier
	buffer_gl0_inv
	ds_store_b64 v14, v[1:2] offset:2048
	ds_store_b64 v15, v[3:4] offset:2048
	;; [unrolled: 1-line block ×4, first 2 shown]
	s_waitcnt lgkmcnt(0)
	s_barrier
	buffer_gl0_inv
	s_and_saveexec_b32 s2, s6
	s_cbranch_execnz .LBB157_106
; %bb.59:
	s_or_b32 exec_lo, exec_lo, s2
	s_and_saveexec_b32 s2, s7
	s_cbranch_execnz .LBB157_107
.LBB157_60:
	s_or_b32 exec_lo, exec_lo, s2
	s_and_saveexec_b32 s2, s8
	s_cbranch_execnz .LBB157_108
.LBB157_61:
	s_or_b32 exec_lo, exec_lo, s2
	s_and_saveexec_b32 s2, s9
	s_cbranch_execz .LBB157_63
.LBB157_62:
	v_lshlrev_b32_e32 v1, 3, v11
	ds_load_b64 v[1:2], v1
	ds_load_b64 v[3:4], v21 offset:26624
	s_waitcnt lgkmcnt(1)
	v_lshlrev_b64 v[1:2], 3, v[1:2]
	s_delay_alu instid0(VALU_DEP_1) | instskip(NEXT) | instid1(VALU_DEP_2)
	v_add_co_u32 v1, vcc_lo, s22, v1
	v_add_co_ci_u32_e32 v2, vcc_lo, s23, v2, vcc_lo
	s_delay_alu instid0(VALU_DEP_2) | instskip(NEXT) | instid1(VALU_DEP_2)
	v_add_co_u32 v1, vcc_lo, v1, v24
	v_add_co_ci_u32_e32 v2, vcc_lo, 0, v2, vcc_lo
	s_waitcnt lgkmcnt(0)
	global_store_b64 v[1:2], v[3:4], off
.LBB157_63:
	s_or_b32 exec_lo, exec_lo, s2
	s_add_i32 s14, s14, -1
	s_mov_b32 s2, 0
	s_cmp_eq_u32 s15, s14
	s_mov_b32 s8, 0
	s_cselect_b32 s3, -1, 0
                                        ; implicit-def: $vgpr1_vgpr2
	s_delay_alu instid0(SALU_CYCLE_1) | instskip(NEXT) | instid1(SALU_CYCLE_1)
	s_and_b32 s3, s5, s3
	s_and_saveexec_b32 s4, s3
	s_delay_alu instid0(SALU_CYCLE_1)
	s_xor_b32 s3, exec_lo, s4
; %bb.64:
	v_add_co_u32 v1, s4, v12, v13
	v_mov_b32_e32 v10, 0
	v_add_co_ci_u32_e64 v2, null, 0, 0, s4
	s_mov_b32 s8, exec_lo
; %bb.65:
	s_or_b32 exec_lo, exec_lo, s3
	s_delay_alu instid0(SALU_CYCLE_1)
	s_and_b32 vcc_lo, exec_lo, s2
	s_cbranch_vccnz .LBB157_67
	s_branch .LBB157_100
.LBB157_66:
	s_mov_b32 s8, 0
                                        ; implicit-def: $vgpr1_vgpr2
	s_cbranch_execz .LBB157_100
.LBB157_67:
	v_lshlrev_b32_e32 v21, 2, v9
	s_lshl_b32 s2, s15, 12
	s_mov_b32 s3, 0
	v_lshlrev_b32_e32 v19, 3, v18
	s_lshl_b64 s[6:7], s[2:3], 3
	v_and_b32_e32 v1, 0xf80, v21
	s_add_u32 s2, s16, s6
	s_addc_u32 s3, s17, s7
	s_delay_alu instid0(VALU_DEP_1) | instskip(SKIP_1) | instid1(VALU_DEP_1)
	v_dual_mov_b32 v13, 0 :: v_dual_lshlrev_b32 v20, 3, v1
	v_add_co_u32 v1, s2, s2, v19
	v_add_co_ci_u32_e64 v2, null, s3, 0, s2
	s_delay_alu instid0(VALU_DEP_2) | instskip(NEXT) | instid1(VALU_DEP_2)
	v_add_co_u32 v1, vcc_lo, v1, v20
	v_add_co_ci_u32_e32 v2, vcc_lo, 0, v2, vcc_lo
	global_load_b64 v[10:11], v[1:2], off
	s_clause 0x1
	s_load_b32 s2, s[0:1], 0x5c
	s_load_b32 s9, s[0:1], 0x50
	s_add_u32 s0, s0, 0x50
	s_addc_u32 s1, s1, 0
	s_waitcnt lgkmcnt(0)
	s_lshr_b32 s4, s2, 16
	s_cmp_lt_u32 s15, s9
	s_cselect_b32 s2, 12, 18
	s_delay_alu instid0(SALU_CYCLE_1)
	s_add_u32 s0, s0, s2
	s_addc_u32 s1, s1, 0
	global_load_u16 v14, v13, s[0:1]
	s_clause 0x2
	global_load_b64 v[3:4], v[1:2], off offset:256
	global_load_b64 v[7:8], v[1:2], off offset:512
	;; [unrolled: 1-line block ×3, first 2 shown]
	s_mov_b32 s2, -1
	s_brev_b32 s3, -2
	s_lshl_b32 s0, -1, s29
	s_delay_alu instid0(SALU_CYCLE_1) | instskip(SKIP_4) | instid1(VALU_DEP_1)
	s_not_b32 s10, s0
	s_waitcnt vmcnt(4)
	v_cmp_lt_i64_e32 vcc_lo, -1, v[10:11]
	v_ashrrev_i32_e32 v12, 31, v11
	v_cndmask_b32_e64 v1, -1, 0x80000000, vcc_lo
	v_xor_b32_e32 v2, v1, v11
	s_delay_alu instid0(VALU_DEP_3) | instskip(NEXT) | instid1(VALU_DEP_1)
	v_xor_b32_e32 v1, v12, v10
	v_cmp_ne_u64_e32 vcc_lo, s[2:3], v[1:2]
	v_cndmask_b32_e32 v11, 0x80000000, v2, vcc_lo
	v_cndmask_b32_e32 v10, 0, v1, vcc_lo
	s_delay_alu instid0(VALU_DEP_1) | instskip(NEXT) | instid1(VALU_DEP_1)
	v_lshrrev_b64 v[10:11], s28, v[10:11]
	v_and_b32_e32 v15, s10, v10
	v_bfe_u32 v10, v0, 10, 10
	v_bfe_u32 v0, v0, 20, 10
	s_delay_alu instid0(VALU_DEP_3)
	v_lshlrev_b32_e32 v12, 30, v15
	v_and_b32_e32 v11, 1, v15
	v_lshlrev_b32_e32 v16, 29, v15
	v_lshlrev_b32_e32 v17, 28, v15
	v_lshlrev_b32_e32 v23, 27, v15
	v_not_b32_e32 v26, v12
	v_add_co_u32 v11, s0, v11, -1
	s_delay_alu instid0(VALU_DEP_1)
	v_cndmask_b32_e64 v22, 0, 1, s0
	v_cmp_gt_i32_e64 s0, 0, v12
	v_not_b32_e32 v12, v16
	v_ashrrev_i32_e32 v26, 31, v26
	v_lshlrev_b32_e32 v24, 26, v15
	v_cmp_ne_u32_e32 vcc_lo, 0, v22
	v_lshlrev_b32_e32 v25, 25, v15
	v_ashrrev_i32_e32 v12, 31, v12
	v_xor_b32_e32 v26, s0, v26
	v_cmp_gt_i32_e64 s0, 0, v17
	v_xor_b32_e32 v11, vcc_lo, v11
	v_cmp_gt_i32_e32 vcc_lo, 0, v16
	v_not_b32_e32 v16, v17
	v_not_b32_e32 v17, v23
	v_lshlrev_b32_e32 v22, 24, v15
	v_and_b32_e32 v11, exec_lo, v11
	v_xor_b32_e32 v12, vcc_lo, v12
	v_ashrrev_i32_e32 v16, 31, v16
	v_cmp_gt_i32_e32 vcc_lo, 0, v23
	v_not_b32_e32 v23, v24
	v_and_b32_e32 v11, v11, v26
	v_ashrrev_i32_e32 v17, 31, v17
	v_xor_b32_e32 v16, s0, v16
	v_cmp_gt_i32_e64 s0, 0, v24
	v_ashrrev_i32_e32 v23, 31, v23
	v_and_b32_e32 v11, v11, v12
	v_not_b32_e32 v12, v25
	v_xor_b32_e32 v17, vcc_lo, v17
	v_cmp_gt_i32_e32 vcc_lo, 0, v25
	v_xor_b32_e32 v23, s0, v23
	v_and_b32_e32 v11, v11, v16
	v_not_b32_e32 v16, v22
	v_ashrrev_i32_e32 v12, 31, v12
	v_cmp_gt_i32_e64 s0, 0, v22
	v_mad_u32_u24 v0, v0, s4, v10
	v_and_b32_e32 v11, v11, v17
	v_ashrrev_i32_e32 v16, 31, v16
	v_xor_b32_e32 v12, vcc_lo, v12
	v_mul_u32_u24_e32 v17, 9, v9
	s_delay_alu instid0(VALU_DEP_4) | instskip(NEXT) | instid1(VALU_DEP_4)
	v_and_b32_e32 v11, v11, v23
	v_xor_b32_e32 v10, s0, v16
	s_delay_alu instid0(VALU_DEP_3)
	v_lshlrev_b32_e32 v22, 2, v17
	ds_store_2addr_b32 v22, v13, v13 offset0:32 offset1:33
	ds_store_2addr_b32 v22, v13, v13 offset0:34 offset1:35
	;; [unrolled: 1-line block ×4, first 2 shown]
	v_and_b32_e32 v16, v11, v12
	s_waitcnt vmcnt(3)
	v_mad_u64_u32 v[11:12], null, v0, v14, v[9:10]
	ds_store_b32 v22, v13 offset:160
	s_waitcnt vmcnt(0) lgkmcnt(0)
	s_waitcnt_vscnt null, 0x0
	v_and_b32_e32 v10, v16, v10
	s_barrier
	buffer_gl0_inv
	v_lshrrev_b32_e32 v12, 5, v11
	v_mbcnt_lo_u32_b32 v0, v10, 0
	v_lshl_add_u32 v11, v15, 5, v15
	v_cmp_ne_u32_e64 s0, 0, v10
	; wave barrier
	s_delay_alu instid0(VALU_DEP_3) | instskip(NEXT) | instid1(VALU_DEP_3)
	v_cmp_eq_u32_e32 vcc_lo, 0, v0
	v_add_lshl_u32 v23, v12, v11, 2
	s_delay_alu instid0(VALU_DEP_3) | instskip(NEXT) | instid1(SALU_CYCLE_1)
	s_and_b32 s1, s0, vcc_lo
	s_and_saveexec_b32 s0, s1
	s_cbranch_execz .LBB157_69
; %bb.68:
	v_bcnt_u32_b32 v10, v10, 0
	ds_store_b32 v23, v10 offset:128
.LBB157_69:
	s_or_b32 exec_lo, exec_lo, s0
	v_cmp_lt_i64_e32 vcc_lo, -1, v[3:4]
	v_ashrrev_i32_e32 v11, 31, v4
	; wave barrier
	s_delay_alu instid0(VALU_DEP_1) | instskip(SKIP_1) | instid1(VALU_DEP_1)
	v_xor_b32_e32 v3, v11, v3
	v_cndmask_b32_e64 v10, -1, 0x80000000, vcc_lo
	v_xor_b32_e32 v4, v10, v4
	s_delay_alu instid0(VALU_DEP_1) | instskip(SKIP_2) | instid1(VALU_DEP_1)
	v_cmp_ne_u64_e32 vcc_lo, s[2:3], v[3:4]
	v_cndmask_b32_e32 v11, 0x80000000, v4, vcc_lo
	v_cndmask_b32_e32 v10, 0, v3, vcc_lo
	v_lshrrev_b64 v[10:11], s28, v[10:11]
	s_delay_alu instid0(VALU_DEP_1) | instskip(NEXT) | instid1(VALU_DEP_1)
	v_and_b32_e32 v10, s10, v10
	v_and_b32_e32 v11, 1, v10
	v_lshlrev_b32_e32 v13, 30, v10
	v_lshlrev_b32_e32 v14, 29, v10
	;; [unrolled: 1-line block ×4, first 2 shown]
	v_add_co_u32 v11, s0, v11, -1
	s_delay_alu instid0(VALU_DEP_1)
	v_cndmask_b32_e64 v16, 0, 1, s0
	v_not_b32_e32 v26, v13
	v_cmp_gt_i32_e64 s0, 0, v13
	v_not_b32_e32 v13, v14
	v_lshlrev_b32_e32 v24, 26, v10
	v_cmp_ne_u32_e32 vcc_lo, 0, v16
	v_ashrrev_i32_e32 v26, 31, v26
	v_lshlrev_b32_e32 v25, 25, v10
	v_ashrrev_i32_e32 v13, 31, v13
	v_lshlrev_b32_e32 v16, 24, v10
	v_xor_b32_e32 v11, vcc_lo, v11
	v_cmp_gt_i32_e32 vcc_lo, 0, v14
	v_not_b32_e32 v14, v15
	v_xor_b32_e32 v26, s0, v26
	v_cmp_gt_i32_e64 s0, 0, v15
	v_and_b32_e32 v11, exec_lo, v11
	v_not_b32_e32 v15, v17
	v_ashrrev_i32_e32 v14, 31, v14
	v_xor_b32_e32 v13, vcc_lo, v13
	v_cmp_gt_i32_e32 vcc_lo, 0, v17
	v_and_b32_e32 v11, v11, v26
	v_not_b32_e32 v17, v24
	v_ashrrev_i32_e32 v15, 31, v15
	v_xor_b32_e32 v14, s0, v14
	v_cmp_gt_i32_e64 s0, 0, v24
	v_and_b32_e32 v11, v11, v13
	v_not_b32_e32 v13, v25
	v_ashrrev_i32_e32 v17, 31, v17
	v_xor_b32_e32 v15, vcc_lo, v15
	v_cmp_gt_i32_e32 vcc_lo, 0, v25
	v_and_b32_e32 v11, v11, v14
	v_not_b32_e32 v14, v16
	v_ashrrev_i32_e32 v13, 31, v13
	v_xor_b32_e32 v17, s0, v17
	v_lshl_add_u32 v10, v10, 5, v10
	v_and_b32_e32 v11, v11, v15
	v_cmp_gt_i32_e64 s0, 0, v16
	v_ashrrev_i32_e32 v14, 31, v14
	v_xor_b32_e32 v13, vcc_lo, v13
	v_add_lshl_u32 v26, v12, v10, 2
	v_and_b32_e32 v11, v11, v17
	s_delay_alu instid0(VALU_DEP_4) | instskip(SKIP_2) | instid1(VALU_DEP_1)
	v_xor_b32_e32 v10, s0, v14
	ds_load_b32 v24, v26 offset:128
	v_and_b32_e32 v11, v11, v13
	; wave barrier
	v_and_b32_e32 v10, v11, v10
	s_delay_alu instid0(VALU_DEP_1) | instskip(SKIP_1) | instid1(VALU_DEP_2)
	v_mbcnt_lo_u32_b32 v25, v10, 0
	v_cmp_ne_u32_e64 s0, 0, v10
	v_cmp_eq_u32_e32 vcc_lo, 0, v25
	s_delay_alu instid0(VALU_DEP_2) | instskip(NEXT) | instid1(SALU_CYCLE_1)
	s_and_b32 s1, s0, vcc_lo
	s_and_saveexec_b32 s0, s1
	s_cbranch_execz .LBB157_71
; %bb.70:
	s_waitcnt lgkmcnt(0)
	v_bcnt_u32_b32 v10, v10, v24
	ds_store_b32 v26, v10 offset:128
.LBB157_71:
	s_or_b32 exec_lo, exec_lo, s0
	v_cmp_lt_i64_e32 vcc_lo, -1, v[7:8]
	v_ashrrev_i32_e32 v11, 31, v8
	; wave barrier
	s_delay_alu instid0(VALU_DEP_1) | instskip(SKIP_1) | instid1(VALU_DEP_1)
	v_xor_b32_e32 v7, v11, v7
	v_cndmask_b32_e64 v10, -1, 0x80000000, vcc_lo
	v_xor_b32_e32 v8, v10, v8
	s_delay_alu instid0(VALU_DEP_1) | instskip(SKIP_2) | instid1(VALU_DEP_1)
	v_cmp_ne_u64_e32 vcc_lo, s[2:3], v[7:8]
	v_cndmask_b32_e32 v11, 0x80000000, v8, vcc_lo
	v_cndmask_b32_e32 v10, 0, v7, vcc_lo
	v_lshrrev_b64 v[10:11], s28, v[10:11]
	s_delay_alu instid0(VALU_DEP_1) | instskip(NEXT) | instid1(VALU_DEP_1)
	v_and_b32_e32 v10, s10, v10
	v_and_b32_e32 v11, 1, v10
	v_lshlrev_b32_e32 v13, 30, v10
	v_lshlrev_b32_e32 v14, 29, v10
	;; [unrolled: 1-line block ×4, first 2 shown]
	v_add_co_u32 v11, s0, v11, -1
	s_delay_alu instid0(VALU_DEP_1)
	v_cndmask_b32_e64 v16, 0, 1, s0
	v_not_b32_e32 v29, v13
	v_cmp_gt_i32_e64 s0, 0, v13
	v_not_b32_e32 v13, v14
	v_lshlrev_b32_e32 v27, 26, v10
	v_cmp_ne_u32_e32 vcc_lo, 0, v16
	v_ashrrev_i32_e32 v29, 31, v29
	v_lshlrev_b32_e32 v28, 25, v10
	v_ashrrev_i32_e32 v13, 31, v13
	v_lshlrev_b32_e32 v16, 24, v10
	v_xor_b32_e32 v11, vcc_lo, v11
	v_cmp_gt_i32_e32 vcc_lo, 0, v14
	v_not_b32_e32 v14, v15
	v_xor_b32_e32 v29, s0, v29
	v_cmp_gt_i32_e64 s0, 0, v15
	v_and_b32_e32 v11, exec_lo, v11
	v_not_b32_e32 v15, v17
	v_ashrrev_i32_e32 v14, 31, v14
	v_xor_b32_e32 v13, vcc_lo, v13
	v_cmp_gt_i32_e32 vcc_lo, 0, v17
	v_and_b32_e32 v11, v11, v29
	v_not_b32_e32 v17, v27
	v_ashrrev_i32_e32 v15, 31, v15
	v_xor_b32_e32 v14, s0, v14
	v_cmp_gt_i32_e64 s0, 0, v27
	v_and_b32_e32 v11, v11, v13
	v_not_b32_e32 v13, v28
	v_ashrrev_i32_e32 v17, 31, v17
	v_xor_b32_e32 v15, vcc_lo, v15
	v_cmp_gt_i32_e32 vcc_lo, 0, v28
	v_and_b32_e32 v11, v11, v14
	v_not_b32_e32 v14, v16
	v_ashrrev_i32_e32 v13, 31, v13
	v_xor_b32_e32 v17, s0, v17
	v_lshl_add_u32 v10, v10, 5, v10
	v_and_b32_e32 v11, v11, v15
	v_cmp_gt_i32_e64 s0, 0, v16
	v_ashrrev_i32_e32 v14, 31, v14
	v_xor_b32_e32 v13, vcc_lo, v13
	v_add_lshl_u32 v29, v10, v12, 2
	v_and_b32_e32 v11, v11, v17
	s_delay_alu instid0(VALU_DEP_4) | instskip(SKIP_2) | instid1(VALU_DEP_1)
	v_xor_b32_e32 v10, s0, v14
	ds_load_b32 v27, v29 offset:128
	v_and_b32_e32 v11, v11, v13
	; wave barrier
	v_and_b32_e32 v10, v11, v10
	s_delay_alu instid0(VALU_DEP_1) | instskip(SKIP_1) | instid1(VALU_DEP_2)
	v_mbcnt_lo_u32_b32 v28, v10, 0
	v_cmp_ne_u32_e64 s0, 0, v10
	v_cmp_eq_u32_e32 vcc_lo, 0, v28
	s_delay_alu instid0(VALU_DEP_2) | instskip(NEXT) | instid1(SALU_CYCLE_1)
	s_and_b32 s1, s0, vcc_lo
	s_and_saveexec_b32 s0, s1
	s_cbranch_execz .LBB157_73
; %bb.72:
	s_waitcnt lgkmcnt(0)
	v_bcnt_u32_b32 v10, v10, v27
	ds_store_b32 v29, v10 offset:128
.LBB157_73:
	s_or_b32 exec_lo, exec_lo, s0
	v_cmp_lt_i64_e32 vcc_lo, -1, v[5:6]
	v_ashrrev_i32_e32 v13, 31, v6
	; wave barrier
	v_add_nc_u32_e32 v33, 0x80, v22
	v_cndmask_b32_e64 v10, -1, 0x80000000, vcc_lo
	s_delay_alu instid0(VALU_DEP_1) | instskip(NEXT) | instid1(VALU_DEP_4)
	v_xor_b32_e32 v11, v10, v6
	v_xor_b32_e32 v10, v13, v5
	s_delay_alu instid0(VALU_DEP_1) | instskip(SKIP_2) | instid1(VALU_DEP_1)
	v_cmp_ne_u64_e32 vcc_lo, s[2:3], v[10:11]
	v_cndmask_b32_e32 v6, 0x80000000, v11, vcc_lo
	v_cndmask_b32_e32 v5, 0, v10, vcc_lo
	v_lshrrev_b64 v[5:6], s28, v[5:6]
	s_delay_alu instid0(VALU_DEP_1) | instskip(NEXT) | instid1(VALU_DEP_1)
	v_and_b32_e32 v5, s10, v5
	v_and_b32_e32 v6, 1, v5
	v_lshlrev_b32_e32 v13, 30, v5
	v_lshlrev_b32_e32 v14, 29, v5
	;; [unrolled: 1-line block ×4, first 2 shown]
	v_add_co_u32 v6, s0, v6, -1
	s_delay_alu instid0(VALU_DEP_1)
	v_cndmask_b32_e64 v16, 0, 1, s0
	v_not_b32_e32 v32, v13
	v_cmp_gt_i32_e64 s0, 0, v13
	v_not_b32_e32 v13, v14
	v_lshlrev_b32_e32 v30, 26, v5
	v_cmp_ne_u32_e32 vcc_lo, 0, v16
	v_ashrrev_i32_e32 v32, 31, v32
	v_lshlrev_b32_e32 v31, 25, v5
	v_ashrrev_i32_e32 v13, 31, v13
	v_lshlrev_b32_e32 v16, 24, v5
	v_xor_b32_e32 v6, vcc_lo, v6
	v_cmp_gt_i32_e32 vcc_lo, 0, v14
	v_not_b32_e32 v14, v15
	v_xor_b32_e32 v32, s0, v32
	v_cmp_gt_i32_e64 s0, 0, v15
	v_and_b32_e32 v6, exec_lo, v6
	v_not_b32_e32 v15, v17
	v_ashrrev_i32_e32 v14, 31, v14
	v_xor_b32_e32 v13, vcc_lo, v13
	v_cmp_gt_i32_e32 vcc_lo, 0, v17
	v_and_b32_e32 v6, v6, v32
	v_not_b32_e32 v17, v30
	v_ashrrev_i32_e32 v15, 31, v15
	v_xor_b32_e32 v14, s0, v14
	v_cmp_gt_i32_e64 s0, 0, v30
	v_and_b32_e32 v6, v6, v13
	v_not_b32_e32 v13, v31
	v_ashrrev_i32_e32 v17, 31, v17
	v_xor_b32_e32 v15, vcc_lo, v15
	v_cmp_gt_i32_e32 vcc_lo, 0, v31
	v_and_b32_e32 v6, v6, v14
	v_not_b32_e32 v14, v16
	v_ashrrev_i32_e32 v13, 31, v13
	v_xor_b32_e32 v17, s0, v17
	v_lshl_add_u32 v5, v5, 5, v5
	v_and_b32_e32 v6, v6, v15
	v_cmp_gt_i32_e64 s0, 0, v16
	v_ashrrev_i32_e32 v14, 31, v14
	v_xor_b32_e32 v13, vcc_lo, v13
	v_add_lshl_u32 v32, v5, v12, 2
	v_and_b32_e32 v6, v6, v17
	s_delay_alu instid0(VALU_DEP_4) | instskip(SKIP_2) | instid1(VALU_DEP_1)
	v_xor_b32_e32 v5, s0, v14
	ds_load_b32 v30, v32 offset:128
	v_and_b32_e32 v6, v6, v13
	; wave barrier
	v_and_b32_e32 v5, v6, v5
	s_delay_alu instid0(VALU_DEP_1) | instskip(SKIP_1) | instid1(VALU_DEP_2)
	v_mbcnt_lo_u32_b32 v31, v5, 0
	v_cmp_ne_u32_e64 s0, 0, v5
	v_cmp_eq_u32_e32 vcc_lo, 0, v31
	s_delay_alu instid0(VALU_DEP_2) | instskip(NEXT) | instid1(SALU_CYCLE_1)
	s_and_b32 s1, s0, vcc_lo
	s_and_saveexec_b32 s0, s1
	s_cbranch_execz .LBB157_75
; %bb.74:
	s_waitcnt lgkmcnt(0)
	v_bcnt_u32_b32 v5, v5, v30
	ds_store_b32 v32, v5 offset:128
.LBB157_75:
	s_or_b32 exec_lo, exec_lo, s0
	; wave barrier
	s_waitcnt lgkmcnt(0)
	s_barrier
	buffer_gl0_inv
	ds_load_2addr_b32 v[16:17], v22 offset0:32 offset1:33
	ds_load_2addr_b32 v[14:15], v33 offset0:2 offset1:3
	;; [unrolled: 1-line block ×4, first 2 shown]
	ds_load_b32 v34, v33 offset:32
	v_and_b32_e32 v37, 16, v18
	v_and_b32_e32 v38, 31, v9
	s_mov_b32 s5, exec_lo
	s_delay_alu instid0(VALU_DEP_2) | instskip(SKIP_3) | instid1(VALU_DEP_1)
	v_cmp_eq_u32_e64 s3, 0, v37
	s_waitcnt lgkmcnt(3)
	v_add3_u32 v35, v17, v16, v14
	s_waitcnt lgkmcnt(2)
	v_add3_u32 v35, v35, v15, v12
	s_waitcnt lgkmcnt(1)
	s_delay_alu instid0(VALU_DEP_1) | instskip(SKIP_1) | instid1(VALU_DEP_1)
	v_add3_u32 v35, v35, v13, v5
	s_waitcnt lgkmcnt(0)
	v_add3_u32 v34, v35, v6, v34
	v_and_b32_e32 v35, 15, v18
	s_delay_alu instid0(VALU_DEP_2) | instskip(NEXT) | instid1(VALU_DEP_2)
	v_mov_b32_dpp v36, v34 row_shr:1 row_mask:0xf bank_mask:0xf
	v_cmp_eq_u32_e32 vcc_lo, 0, v35
	v_cmp_lt_u32_e64 s0, 1, v35
	v_cmp_lt_u32_e64 s1, 3, v35
	v_cmp_lt_u32_e64 s2, 7, v35
	v_cndmask_b32_e64 v36, v36, 0, vcc_lo
	s_delay_alu instid0(VALU_DEP_1) | instskip(NEXT) | instid1(VALU_DEP_1)
	v_add_nc_u32_e32 v34, v36, v34
	v_mov_b32_dpp v36, v34 row_shr:2 row_mask:0xf bank_mask:0xf
	s_delay_alu instid0(VALU_DEP_1) | instskip(NEXT) | instid1(VALU_DEP_1)
	v_cndmask_b32_e64 v36, 0, v36, s0
	v_add_nc_u32_e32 v34, v34, v36
	s_delay_alu instid0(VALU_DEP_1) | instskip(NEXT) | instid1(VALU_DEP_1)
	v_mov_b32_dpp v36, v34 row_shr:4 row_mask:0xf bank_mask:0xf
	v_cndmask_b32_e64 v36, 0, v36, s1
	s_delay_alu instid0(VALU_DEP_1) | instskip(NEXT) | instid1(VALU_DEP_1)
	v_add_nc_u32_e32 v34, v34, v36
	v_mov_b32_dpp v36, v34 row_shr:8 row_mask:0xf bank_mask:0xf
	s_delay_alu instid0(VALU_DEP_1) | instskip(SKIP_1) | instid1(VALU_DEP_2)
	v_cndmask_b32_e64 v35, 0, v36, s2
	v_bfe_i32 v36, v18, 4, 1
	v_add_nc_u32_e32 v34, v34, v35
	ds_swizzle_b32 v35, v34 offset:swizzle(BROADCAST,32,15)
	s_waitcnt lgkmcnt(0)
	v_and_b32_e32 v36, v36, v35
	v_lshrrev_b32_e32 v35, 5, v9
	s_delay_alu instid0(VALU_DEP_2)
	v_add_nc_u32_e32 v34, v34, v36
	v_cmpx_eq_u32_e32 31, v38
	s_cbranch_execz .LBB157_77
; %bb.76:
	s_delay_alu instid0(VALU_DEP_3)
	v_lshlrev_b32_e32 v36, 2, v35
	ds_store_b32 v36, v34
.LBB157_77:
	s_or_b32 exec_lo, exec_lo, s5
	v_cmp_lt_u32_e64 s4, 31, v9
	s_mov_b32 s11, exec_lo
	s_waitcnt lgkmcnt(0)
	s_barrier
	buffer_gl0_inv
	v_cmpx_gt_u32_e32 32, v9
	s_cbranch_execz .LBB157_79
; %bb.78:
	ds_load_b32 v36, v21
	s_waitcnt lgkmcnt(0)
	v_mov_b32_dpp v37, v36 row_shr:1 row_mask:0xf bank_mask:0xf
	s_delay_alu instid0(VALU_DEP_1) | instskip(NEXT) | instid1(VALU_DEP_1)
	v_cndmask_b32_e64 v37, v37, 0, vcc_lo
	v_add_nc_u32_e32 v36, v37, v36
	s_delay_alu instid0(VALU_DEP_1) | instskip(NEXT) | instid1(VALU_DEP_1)
	v_mov_b32_dpp v37, v36 row_shr:2 row_mask:0xf bank_mask:0xf
	v_cndmask_b32_e64 v37, 0, v37, s0
	s_delay_alu instid0(VALU_DEP_1) | instskip(NEXT) | instid1(VALU_DEP_1)
	v_add_nc_u32_e32 v36, v36, v37
	v_mov_b32_dpp v37, v36 row_shr:4 row_mask:0xf bank_mask:0xf
	s_delay_alu instid0(VALU_DEP_1) | instskip(NEXT) | instid1(VALU_DEP_1)
	v_cndmask_b32_e64 v37, 0, v37, s1
	v_add_nc_u32_e32 v36, v36, v37
	s_delay_alu instid0(VALU_DEP_1) | instskip(NEXT) | instid1(VALU_DEP_1)
	v_mov_b32_dpp v37, v36 row_shr:8 row_mask:0xf bank_mask:0xf
	v_cndmask_b32_e64 v37, 0, v37, s2
	s_delay_alu instid0(VALU_DEP_1) | instskip(SKIP_3) | instid1(VALU_DEP_1)
	v_add_nc_u32_e32 v36, v36, v37
	ds_swizzle_b32 v37, v36 offset:swizzle(BROADCAST,32,15)
	s_waitcnt lgkmcnt(0)
	v_cndmask_b32_e64 v37, v37, 0, s3
	v_add_nc_u32_e32 v36, v36, v37
	ds_store_b32 v21, v36
.LBB157_79:
	s_or_b32 exec_lo, exec_lo, s11
	v_mov_b32_e32 v21, 0
	s_waitcnt lgkmcnt(0)
	s_barrier
	buffer_gl0_inv
	s_and_saveexec_b32 s0, s4
	s_cbranch_execz .LBB157_81
; %bb.80:
	v_lshl_add_u32 v21, v35, 2, -4
	ds_load_b32 v21, v21
.LBB157_81:
	s_or_b32 exec_lo, exec_lo, s0
	v_add_nc_u32_e32 v35, -1, v18
	s_waitcnt lgkmcnt(0)
	v_add_nc_u32_e32 v34, v21, v34
	v_cmp_lt_u32_e64 s0, 0xff, v9
	s_delay_alu instid0(VALU_DEP_3) | instskip(SKIP_2) | instid1(VALU_DEP_2)
	v_cmp_gt_i32_e32 vcc_lo, 0, v35
	v_cndmask_b32_e32 v35, v35, v18, vcc_lo
	v_cmp_eq_u32_e32 vcc_lo, 0, v18
	v_lshlrev_b32_e32 v35, 2, v35
	ds_bpermute_b32 v34, v35, v34
	s_waitcnt lgkmcnt(0)
	v_cndmask_b32_e32 v18, v34, v21, vcc_lo
	v_cmp_ne_u32_e32 vcc_lo, 0, v9
	s_delay_alu instid0(VALU_DEP_2) | instskip(SKIP_1) | instid1(VALU_DEP_2)
	v_cndmask_b32_e32 v18, 0, v18, vcc_lo
	v_cmp_gt_u32_e32 vcc_lo, 0x100, v9
	v_add_nc_u32_e32 v16, v18, v16
	s_delay_alu instid0(VALU_DEP_1) | instskip(NEXT) | instid1(VALU_DEP_1)
	v_add_nc_u32_e32 v17, v16, v17
	v_add_nc_u32_e32 v14, v17, v14
	s_delay_alu instid0(VALU_DEP_1) | instskip(NEXT) | instid1(VALU_DEP_1)
	v_add_nc_u32_e32 v15, v14, v15
	v_add_nc_u32_e32 v12, v15, v12
	s_delay_alu instid0(VALU_DEP_1) | instskip(NEXT) | instid1(VALU_DEP_1)
	v_add_nc_u32_e32 v13, v12, v13
	v_add_nc_u32_e32 v5, v13, v5
	s_delay_alu instid0(VALU_DEP_1)
	v_add_nc_u32_e32 v6, v5, v6
	ds_store_2addr_b32 v22, v18, v16 offset0:32 offset1:33
	ds_store_2addr_b32 v33, v17, v14 offset0:2 offset1:3
	;; [unrolled: 1-line block ×4, first 2 shown]
	ds_store_b32 v33, v6 offset:32
	s_waitcnt lgkmcnt(0)
	s_barrier
	buffer_gl0_inv
	ds_load_b32 v13, v23 offset:128
	ds_load_b32 v14, v26 offset:128
	;; [unrolled: 1-line block ×4, first 2 shown]
	v_mov_b32_e32 v5, 0
	v_mov_b32_e32 v6, 0
                                        ; implicit-def: $vgpr12
	s_and_saveexec_b32 s2, vcc_lo
	s_cbranch_execz .LBB157_85
; %bb.82:
	v_mul_u32_u24_e32 v5, 33, v9
	v_mov_b32_e32 v6, 0x1000
	s_mov_b32 s3, exec_lo
	s_delay_alu instid0(VALU_DEP_2)
	v_lshlrev_b32_e32 v12, 2, v5
	ds_load_b32 v5, v12 offset:128
	v_cmpx_ne_u32_e32 0xff, v9
	s_cbranch_execz .LBB157_84
; %bb.83:
	ds_load_b32 v6, v12 offset:260
.LBB157_84:
	s_or_b32 exec_lo, exec_lo, s3
	s_waitcnt lgkmcnt(0)
	v_sub_nc_u32_e32 v12, v6, v5
	v_mov_b32_e32 v6, 0
.LBB157_85:
	s_or_b32 exec_lo, exec_lo, s2
	v_add_nc_u32_e32 v17, v31, v30
	v_add_nc_u32_e32 v18, v25, v24
	;; [unrolled: 1-line block ×3, first 2 shown]
	s_waitcnt lgkmcnt(3)
	v_add_lshl_u32 v13, v13, v0, 3
	s_waitcnt lgkmcnt(0)
	v_add_lshl_u32 v16, v17, v16, 3
	v_add_lshl_u32 v14, v18, v14, 3
	;; [unrolled: 1-line block ×3, first 2 shown]
	s_barrier
	buffer_gl0_inv
	ds_store_b64 v13, v[1:2] offset:2048
	ds_store_b64 v14, v[3:4] offset:2048
	;; [unrolled: 1-line block ×4, first 2 shown]
	s_waitcnt lgkmcnt(0)
	s_barrier
	buffer_gl0_inv
	s_and_saveexec_b32 s1, s0
	s_delay_alu instid0(SALU_CYCLE_1)
	s_xor_b32 s0, exec_lo, s1
; %bb.86:
	v_mov_b32_e32 v10, 0
; %bb.87:
	s_and_not1_saveexec_b32 s1, s0
	s_cbranch_execz .LBB157_97
; %bb.88:
	v_lshl_or_b32 v2, s15, 8, v9
	v_dual_mov_b32 v3, 0 :: v_dual_mov_b32 v4, 0
	s_mov_b32 s2, 0
	s_mov_b32 s3, s15
	s_delay_alu instid0(VALU_DEP_1) | instskip(SKIP_1) | instid1(VALU_DEP_2)
	v_lshlrev_b64 v[0:1], 2, v[2:3]
	v_or_b32_e32 v2, 2.0, v12
	v_add_co_u32 v0, s0, s12, v0
	s_delay_alu instid0(VALU_DEP_1)
	v_add_co_ci_u32_e64 v1, s0, s13, v1, s0
                                        ; implicit-def: $sgpr0
	global_store_b32 v[0:1], v2, off
	s_branch .LBB157_91
	.p2align	6
.LBB157_89:                             ;   in Loop: Header=BB157_91 Depth=1
	s_or_b32 exec_lo, exec_lo, s5
.LBB157_90:                             ;   in Loop: Header=BB157_91 Depth=1
	s_delay_alu instid0(SALU_CYCLE_1) | instskip(SKIP_2) | instid1(VALU_DEP_2)
	s_or_b32 exec_lo, exec_lo, s4
	v_and_b32_e32 v7, 0x3fffffff, v10
	v_cmp_eq_u32_e64 s0, 0x80000000, v2
	v_add_nc_u32_e32 v4, v7, v4
	s_delay_alu instid0(VALU_DEP_2) | instskip(NEXT) | instid1(SALU_CYCLE_1)
	s_and_b32 s4, exec_lo, s0
	s_or_b32 s2, s4, s2
	s_delay_alu instid0(SALU_CYCLE_1)
	s_and_not1_b32 exec_lo, exec_lo, s2
	s_cbranch_execz .LBB157_96
.LBB157_91:                             ; =>This Loop Header: Depth=1
                                        ;     Child Loop BB157_94 Depth 2
	s_or_b32 s0, s0, exec_lo
	s_cmp_eq_u32 s3, 0
	s_cbranch_scc1 .LBB157_95
; %bb.92:                               ;   in Loop: Header=BB157_91 Depth=1
	s_add_i32 s3, s3, -1
	s_mov_b32 s4, exec_lo
	v_lshl_or_b32 v2, s3, 8, v9
	s_delay_alu instid0(VALU_DEP_1) | instskip(NEXT) | instid1(VALU_DEP_1)
	v_lshlrev_b64 v[7:8], 2, v[2:3]
	v_add_co_u32 v7, s0, s12, v7
	s_delay_alu instid0(VALU_DEP_1) | instskip(SKIP_3) | instid1(VALU_DEP_1)
	v_add_co_ci_u32_e64 v8, s0, s13, v8, s0
	global_load_b32 v10, v[7:8], off glc
	s_waitcnt vmcnt(0)
	v_and_b32_e32 v2, -2.0, v10
	v_cmpx_eq_u32_e32 0, v2
	s_cbranch_execz .LBB157_90
; %bb.93:                               ;   in Loop: Header=BB157_91 Depth=1
	s_mov_b32 s5, 0
.LBB157_94:                             ;   Parent Loop BB157_91 Depth=1
                                        ; =>  This Inner Loop Header: Depth=2
	global_load_b32 v10, v[7:8], off glc
	s_waitcnt vmcnt(0)
	v_and_b32_e32 v2, -2.0, v10
	s_delay_alu instid0(VALU_DEP_1) | instskip(NEXT) | instid1(VALU_DEP_1)
	v_cmp_ne_u32_e64 s0, 0, v2
	s_or_b32 s5, s0, s5
	s_delay_alu instid0(SALU_CYCLE_1)
	s_and_not1_b32 exec_lo, exec_lo, s5
	s_cbranch_execnz .LBB157_94
	s_branch .LBB157_89
.LBB157_95:                             ;   in Loop: Header=BB157_91 Depth=1
                                        ; implicit-def: $sgpr3
	s_and_b32 s4, exec_lo, s0
	s_delay_alu instid0(SALU_CYCLE_1) | instskip(NEXT) | instid1(SALU_CYCLE_1)
	s_or_b32 s2, s4, s2
	s_and_not1_b32 exec_lo, exec_lo, s2
	s_cbranch_execnz .LBB157_91
.LBB157_96:
	s_or_b32 exec_lo, exec_lo, s2
	v_add_nc_u32_e32 v2, v4, v12
	v_dual_mov_b32 v10, 0 :: v_dual_lshlrev_b32 v3, 3, v9
	s_delay_alu instid0(VALU_DEP_2) | instskip(SKIP_3) | instid1(VALU_DEP_1)
	v_or_b32_e32 v2, 0x80000000, v2
	global_store_b32 v[0:1], v2, off
	global_load_b64 v[0:1], v3, s[24:25]
	v_sub_co_u32 v2, s0, v4, v5
	v_sub_co_ci_u32_e64 v4, s0, 0, v6, s0
	s_waitcnt vmcnt(0)
	s_delay_alu instid0(VALU_DEP_2) | instskip(NEXT) | instid1(VALU_DEP_1)
	v_add_co_u32 v0, s0, v2, v0
	v_add_co_ci_u32_e64 v1, s0, v4, v1, s0
	ds_store_b64 v3, v[0:1]
.LBB157_97:
	s_or_b32 exec_lo, exec_lo, s1
	s_add_u32 s0, s20, s6
	s_addc_u32 s1, s21, s7
	v_add_co_u32 v0, s0, s0, v19
	s_delay_alu instid0(VALU_DEP_1) | instskip(SKIP_2) | instid1(VALU_DEP_2)
	v_add_co_ci_u32_e64 v1, null, s1, 0, s0
	s_waitcnt lgkmcnt(0)
	s_waitcnt_vscnt null, 0x0
	v_add_co_u32 v0, s0, v0, v20
	s_delay_alu instid0(VALU_DEP_1)
	v_add_co_ci_u32_e64 v1, s0, 0, v1, s0
	s_barrier
	buffer_gl0_inv
	v_lshlrev_b32_e32 v4, 3, v9
	s_clause 0x3
	global_load_b64 v[7:8], v[0:1], off
	global_load_b64 v[17:18], v[0:1], off offset:256
	global_load_b64 v[19:20], v[0:1], off offset:512
	;; [unrolled: 1-line block ×3, first 2 shown]
	s_mov_b32 s4, -1
	s_brev_b32 s5, -2
	v_lshlrev_b32_e32 v11, 3, v9
	ds_load_2addr_stride64_b64 v[0:3], v4 offset0:20 offset1:36
	v_or_b32_e32 v40, 0x4000, v4
	v_or_b32_e32 v39, 0x2000, v4
	v_or_b32_e32 v41, 0x6000, v4
	ds_load_b64 v[25:26], v11 offset:2048
	s_add_i32 s9, s9, -1
	s_delay_alu instid0(SALU_CYCLE_1)
	s_cmp_eq_u32 s15, s9
	s_waitcnt lgkmcnt(1)
	v_cmp_ne_u64_e64 s0, s[4:5], v[2:3]
	v_cmp_ne_u64_e64 s1, s[4:5], v[0:1]
	v_cmp_lt_i64_e64 s2, -1, v[0:1]
	v_ashrrev_i32_e32 v36, 31, v1
	v_ashrrev_i32_e32 v42, 31, v3
	v_cndmask_b32_e64 v24, 0x80000000, v3, s0
	v_cndmask_b32_e64 v23, 0, v2, s0
	s_waitcnt lgkmcnt(0)
	v_cmp_ne_u64_e64 s0, s[4:5], v[25:26]
	v_cndmask_b32_e64 v32, 0x80000000, v1, s1
	v_cndmask_b32_e64 v31, 0, v0, s1
	v_cndmask_b32_e64 v35, 0x80000000, -1, s2
	v_lshrrev_b64 v[23:24], s28, v[23:24]
	v_not_b32_e32 v36, v36
	v_cndmask_b32_e64 v34, 0x80000000, v26, s0
	v_cndmask_b32_e64 v33, 0, v25, s0
	v_cmp_lt_i64_e64 s0, -1, v[2:3]
	v_lshrrev_b64 v[31:32], s28, v[31:32]
	v_and_b32_e32 v23, s10, v23
	v_xor_b32_e32 v1, v35, v1
	v_lshrrev_b64 v[33:34], s28, v[33:34]
	v_not_b32_e32 v34, v42
	v_cndmask_b32_e64 v37, 0x80000000, -1, s0
	v_lshlrev_b32_e32 v38, 3, v23
	ds_load_b64 v[27:28], v38
	ds_load_b64 v[29:30], v4 offset:26624
	v_and_b32_e32 v35, s10, v31
	v_and_b32_e32 v33, s10, v33
	v_xor_b32_e32 v3, v37, v3
	v_xor_b32_e32 v0, v36, v0
	v_ashrrev_i32_e32 v37, 31, v26
	v_lshlrev_b32_e32 v43, 3, v35
	v_lshlrev_b32_e32 v42, 3, v33
	v_xor_b32_e32 v2, v34, v2
	v_lshlrev_b64 v[23:24], 3, v[9:10]
	v_not_b32_e32 v37, v37
	s_cselect_b32 s1, -1, 0
	ds_load_b64 v[34:35], v43
	s_and_b32 s1, vcc_lo, s1
	s_waitcnt lgkmcnt(2)
	v_lshlrev_b64 v[27:28], 3, v[27:28]
	s_waitcnt lgkmcnt(1)
	v_cmp_ne_u64_e64 s0, s[4:5], v[29:30]
	s_delay_alu instid0(VALU_DEP_1) | instskip(SKIP_3) | instid1(VALU_DEP_3)
	v_cndmask_b32_e64 v32, 0x80000000, v30, s0
	v_cndmask_b32_e64 v31, 0, v29, s0
	v_cmp_lt_i64_e64 s0, -1, v[25:26]
	v_xor_b32_e32 v25, v37, v25
	v_lshrrev_b64 v[31:32], s28, v[31:32]
	ds_load_b64 v[32:33], v42
	v_cndmask_b32_e64 v36, 0x80000000, -1, s0
	v_cmp_lt_i64_e64 s0, -1, v[29:30]
	v_and_b32_e32 v31, s10, v31
	s_delay_alu instid0(VALU_DEP_3) | instskip(SKIP_1) | instid1(VALU_DEP_4)
	v_xor_b32_e32 v26, v36, v26
	v_ashrrev_i32_e32 v36, 31, v30
	v_cndmask_b32_e64 v44, 0x80000000, -1, s0
	s_delay_alu instid0(VALU_DEP_4) | instskip(NEXT) | instid1(VALU_DEP_3)
	v_lshlrev_b32_e32 v45, 3, v31
	v_not_b32_e32 v31, v36
	s_delay_alu instid0(VALU_DEP_3)
	v_xor_b32_e32 v30, v44, v30
	v_add_co_u32 v44, s0, s18, v27
	ds_load_b64 v[36:37], v45
	v_add_co_ci_u32_e64 v46, s0, s19, v28, s0
	v_xor_b32_e32 v29, v31, v29
	s_waitcnt lgkmcnt(1)
	v_lshlrev_b64 v[27:28], 3, v[32:33]
	v_add_co_u32 v31, s0, v44, v40
	v_lshlrev_b64 v[33:34], 3, v[34:35]
	v_add_co_ci_u32_e64 v32, s0, 0, v46, s0
	s_delay_alu instid0(VALU_DEP_4) | instskip(NEXT) | instid1(VALU_DEP_1)
	v_add_co_u32 v35, s0, s18, v27
	v_add_co_ci_u32_e64 v44, s0, s19, v28, s0
	s_delay_alu instid0(VALU_DEP_4) | instskip(NEXT) | instid1(VALU_DEP_1)
	v_add_co_u32 v46, s0, s18, v33
	v_add_co_ci_u32_e64 v47, s0, s19, v34, s0
	s_delay_alu instid0(VALU_DEP_4) | instskip(SKIP_3) | instid1(VALU_DEP_2)
	v_add_co_u32 v33, s0, v35, v23
	s_waitcnt lgkmcnt(0)
	v_lshlrev_b64 v[27:28], 3, v[36:37]
	v_add_co_ci_u32_e64 v34, s0, v44, v24, s0
	v_add_co_u32 v35, s0, s18, v27
	s_delay_alu instid0(VALU_DEP_1) | instskip(SKIP_1) | instid1(VALU_DEP_1)
	v_add_co_ci_u32_e64 v36, s0, s19, v28, s0
	v_add_co_u32 v27, s0, v46, v39
	v_add_co_ci_u32_e64 v28, s0, 0, v47, s0
	s_delay_alu instid0(VALU_DEP_4) | instskip(NEXT) | instid1(VALU_DEP_1)
	v_add_co_u32 v35, s0, v35, v41
	v_add_co_ci_u32_e64 v36, s0, 0, v36, s0
	s_clause 0x3
	global_store_b64 v[33:34], v[25:26], off
	global_store_b64 v[27:28], v[0:1], off
	;; [unrolled: 1-line block ×4, first 2 shown]
	s_waitcnt vmcnt(0)
	s_waitcnt_vscnt null, 0x0
	s_barrier
	buffer_gl0_inv
	ds_store_b64 v13, v[7:8] offset:2048
	ds_store_b64 v14, v[17:18] offset:2048
	;; [unrolled: 1-line block ×4, first 2 shown]
	s_waitcnt lgkmcnt(0)
	s_barrier
	buffer_gl0_inv
	ds_load_b64 v[0:1], v42
	ds_load_b64 v[7:8], v43
	;; [unrolled: 1-line block ×4, first 2 shown]
	ds_load_b64 v[17:18], v11 offset:2048
	ds_load_b64 v[19:20], v4 offset:26624
	s_waitcnt lgkmcnt(5)
	v_lshlrev_b64 v[21:22], 3, v[0:1]
	s_waitcnt lgkmcnt(4)
	v_lshlrev_b64 v[7:8], 3, v[7:8]
	ds_load_2addr_stride64_b64 v[0:3], v4 offset0:20 offset1:36
	s_waitcnt lgkmcnt(4)
	v_lshlrev_b64 v[13:14], 3, v[13:14]
	s_waitcnt lgkmcnt(3)
	v_lshlrev_b64 v[15:16], 3, v[15:16]
	v_add_co_u32 v4, s0, s22, v21
	s_delay_alu instid0(VALU_DEP_1) | instskip(SKIP_1) | instid1(VALU_DEP_1)
	v_add_co_ci_u32_e64 v11, s0, s23, v22, s0
	v_add_co_u32 v21, s0, s22, v7
	v_add_co_ci_u32_e64 v22, s0, s23, v8, s0
	v_add_co_u32 v25, s0, s22, v13
	s_delay_alu instid0(VALU_DEP_1) | instskip(SKIP_1) | instid1(VALU_DEP_1)
	v_add_co_ci_u32_e64 v26, s0, s23, v14, s0
	v_add_co_u32 v27, s0, s22, v15
	v_add_co_ci_u32_e64 v28, s0, s23, v16, s0
	;; [unrolled: 5-line block ×4, first 2 shown]
	s_waitcnt lgkmcnt(2)
	global_store_b64 v[7:8], v[17:18], off
	s_waitcnt lgkmcnt(0)
	s_clause 0x2
	global_store_b64 v[13:14], v[0:1], off
	global_store_b64 v[15:16], v[2:3], off
	;; [unrolled: 1-line block ×3, first 2 shown]
                                        ; implicit-def: $vgpr1_vgpr2
	s_and_saveexec_b32 s0, s1
; %bb.98:
	v_add_co_u32 v1, vcc_lo, v5, v12
	v_add_co_ci_u32_e32 v2, vcc_lo, 0, v6, vcc_lo
	s_or_b32 s8, s8, exec_lo
; %bb.99:
	s_or_b32 exec_lo, exec_lo, s0
.LBB157_100:
	s_and_saveexec_b32 s0, s8
	s_cbranch_execnz .LBB157_102
; %bb.101:
	s_nop 0
	s_sendmsg sendmsg(MSG_DEALLOC_VGPRS)
	s_endpgm
.LBB157_102:
	v_lshlrev_b32_e32 v0, 3, v9
	v_lshlrev_b64 v[5:6], 3, v[9:10]
	ds_load_b64 v[3:4], v0
	v_add_co_u32 v5, vcc_lo, s26, v5
	v_add_co_ci_u32_e32 v6, vcc_lo, s27, v6, vcc_lo
	s_waitcnt lgkmcnt(0)
	v_add_co_u32 v0, vcc_lo, v3, v1
	v_add_co_ci_u32_e32 v1, vcc_lo, v4, v2, vcc_lo
	global_store_b64 v[5:6], v[0:1], off
	s_nop 0
	s_sendmsg sendmsg(MSG_DEALLOC_VGPRS)
	s_endpgm
.LBB157_103:
	global_load_b64 v[1:2], v[10:11], off
	s_or_b32 exec_lo, exec_lo, s10
                                        ; implicit-def: $vgpr3_vgpr4
	s_and_saveexec_b32 s10, s2
	s_cbranch_execz .LBB157_47
.LBB157_104:
	global_load_b64 v[3:4], v[10:11], off offset:256
	s_or_b32 exec_lo, exec_lo, s10
                                        ; implicit-def: $vgpr5_vgpr6
	s_and_saveexec_b32 s2, s3
	s_cbranch_execz .LBB157_48
.LBB157_105:
	global_load_b64 v[5:6], v[10:11], off offset:512
	s_or_b32 exec_lo, exec_lo, s2
                                        ; implicit-def: $vgpr7_vgpr8
	s_and_saveexec_b32 s2, s4
	s_cbranch_execnz .LBB157_49
	s_branch .LBB157_50
.LBB157_106:
	v_lshlrev_b32_e32 v1, 3, v19
	ds_load_b64 v[1:2], v1
	ds_load_b64 v[3:4], v21 offset:2048
	s_waitcnt lgkmcnt(1)
	v_lshlrev_b64 v[1:2], 3, v[1:2]
	s_delay_alu instid0(VALU_DEP_1) | instskip(NEXT) | instid1(VALU_DEP_2)
	v_add_co_u32 v1, vcc_lo, s22, v1
	v_add_co_ci_u32_e32 v2, vcc_lo, s23, v2, vcc_lo
	s_delay_alu instid0(VALU_DEP_2) | instskip(NEXT) | instid1(VALU_DEP_2)
	v_add_co_u32 v1, vcc_lo, v1, v21
	v_add_co_ci_u32_e32 v2, vcc_lo, 0, v2, vcc_lo
	s_waitcnt lgkmcnt(0)
	global_store_b64 v[1:2], v[3:4], off
	s_or_b32 exec_lo, exec_lo, s2
	s_and_saveexec_b32 s2, s7
	s_cbranch_execz .LBB157_60
.LBB157_107:
	v_lshlrev_b32_e32 v1, 3, v10
	ds_load_b64 v[1:2], v1
	ds_load_b64 v[3:4], v21 offset:10240
	s_waitcnt lgkmcnt(1)
	v_lshlrev_b64 v[1:2], 3, v[1:2]
	s_delay_alu instid0(VALU_DEP_1) | instskip(NEXT) | instid1(VALU_DEP_2)
	v_add_co_u32 v1, vcc_lo, s22, v1
	v_add_co_ci_u32_e32 v2, vcc_lo, s23, v2, vcc_lo
	s_delay_alu instid0(VALU_DEP_2) | instskip(NEXT) | instid1(VALU_DEP_2)
	v_add_co_u32 v1, vcc_lo, v1, v22
	v_add_co_ci_u32_e32 v2, vcc_lo, 0, v2, vcc_lo
	s_waitcnt lgkmcnt(0)
	global_store_b64 v[1:2], v[3:4], off
	s_or_b32 exec_lo, exec_lo, s2
	s_and_saveexec_b32 s2, s8
	s_cbranch_execz .LBB157_61
.LBB157_108:
	v_lshlrev_b32_e32 v1, 3, v20
	ds_load_b64 v[1:2], v1
	ds_load_b64 v[3:4], v21 offset:18432
	s_waitcnt lgkmcnt(1)
	v_lshlrev_b64 v[1:2], 3, v[1:2]
	s_delay_alu instid0(VALU_DEP_1) | instskip(NEXT) | instid1(VALU_DEP_2)
	v_add_co_u32 v1, vcc_lo, s22, v1
	v_add_co_ci_u32_e32 v2, vcc_lo, s23, v2, vcc_lo
	s_delay_alu instid0(VALU_DEP_2) | instskip(NEXT) | instid1(VALU_DEP_2)
	v_add_co_u32 v1, vcc_lo, v1, v23
	v_add_co_ci_u32_e32 v2, vcc_lo, 0, v2, vcc_lo
	s_waitcnt lgkmcnt(0)
	global_store_b64 v[1:2], v[3:4], off
	s_or_b32 exec_lo, exec_lo, s2
	s_and_saveexec_b32 s2, s9
	s_cbranch_execnz .LBB157_62
	s_branch .LBB157_63
	.section	.rodata,"a",@progbits
	.p2align	6, 0x0
	.amdhsa_kernel _ZN7rocprim17ROCPRIM_304000_NS6detail25onesweep_iteration_kernelINS1_34wrapped_radix_sort_onesweep_configINS0_14default_configEdN2at4cuda3cub6detail10OpaqueTypeILi8EEEEELb0EPdSC_PSA_SD_mNS0_19identity_decomposerEEEvT1_T2_T3_T4_jPT5_SK_PNS1_23onesweep_lookback_stateET6_jjj
		.amdhsa_group_segment_fixed_size 36992
		.amdhsa_private_segment_fixed_size 0
		.amdhsa_kernarg_size 336
		.amdhsa_user_sgpr_count 15
		.amdhsa_user_sgpr_dispatch_ptr 0
		.amdhsa_user_sgpr_queue_ptr 0
		.amdhsa_user_sgpr_kernarg_segment_ptr 1
		.amdhsa_user_sgpr_dispatch_id 0
		.amdhsa_user_sgpr_private_segment_size 0
		.amdhsa_wavefront_size32 1
		.amdhsa_uses_dynamic_stack 0
		.amdhsa_enable_private_segment 0
		.amdhsa_system_sgpr_workgroup_id_x 1
		.amdhsa_system_sgpr_workgroup_id_y 0
		.amdhsa_system_sgpr_workgroup_id_z 0
		.amdhsa_system_sgpr_workgroup_info 0
		.amdhsa_system_vgpr_workitem_id 2
		.amdhsa_next_free_vgpr 48
		.amdhsa_next_free_sgpr 38
		.amdhsa_reserve_vcc 1
		.amdhsa_float_round_mode_32 0
		.amdhsa_float_round_mode_16_64 0
		.amdhsa_float_denorm_mode_32 3
		.amdhsa_float_denorm_mode_16_64 3
		.amdhsa_dx10_clamp 1
		.amdhsa_ieee_mode 1
		.amdhsa_fp16_overflow 0
		.amdhsa_workgroup_processor_mode 1
		.amdhsa_memory_ordered 1
		.amdhsa_forward_progress 0
		.amdhsa_shared_vgpr_count 0
		.amdhsa_exception_fp_ieee_invalid_op 0
		.amdhsa_exception_fp_denorm_src 0
		.amdhsa_exception_fp_ieee_div_zero 0
		.amdhsa_exception_fp_ieee_overflow 0
		.amdhsa_exception_fp_ieee_underflow 0
		.amdhsa_exception_fp_ieee_inexact 0
		.amdhsa_exception_int_div_zero 0
	.end_amdhsa_kernel
	.section	.text._ZN7rocprim17ROCPRIM_304000_NS6detail25onesweep_iteration_kernelINS1_34wrapped_radix_sort_onesweep_configINS0_14default_configEdN2at4cuda3cub6detail10OpaqueTypeILi8EEEEELb0EPdSC_PSA_SD_mNS0_19identity_decomposerEEEvT1_T2_T3_T4_jPT5_SK_PNS1_23onesweep_lookback_stateET6_jjj,"axG",@progbits,_ZN7rocprim17ROCPRIM_304000_NS6detail25onesweep_iteration_kernelINS1_34wrapped_radix_sort_onesweep_configINS0_14default_configEdN2at4cuda3cub6detail10OpaqueTypeILi8EEEEELb0EPdSC_PSA_SD_mNS0_19identity_decomposerEEEvT1_T2_T3_T4_jPT5_SK_PNS1_23onesweep_lookback_stateET6_jjj,comdat
.Lfunc_end157:
	.size	_ZN7rocprim17ROCPRIM_304000_NS6detail25onesweep_iteration_kernelINS1_34wrapped_radix_sort_onesweep_configINS0_14default_configEdN2at4cuda3cub6detail10OpaqueTypeILi8EEEEELb0EPdSC_PSA_SD_mNS0_19identity_decomposerEEEvT1_T2_T3_T4_jPT5_SK_PNS1_23onesweep_lookback_stateET6_jjj, .Lfunc_end157-_ZN7rocprim17ROCPRIM_304000_NS6detail25onesweep_iteration_kernelINS1_34wrapped_radix_sort_onesweep_configINS0_14default_configEdN2at4cuda3cub6detail10OpaqueTypeILi8EEEEELb0EPdSC_PSA_SD_mNS0_19identity_decomposerEEEvT1_T2_T3_T4_jPT5_SK_PNS1_23onesweep_lookback_stateET6_jjj
                                        ; -- End function
	.section	.AMDGPU.csdata,"",@progbits
; Kernel info:
; codeLenInByte = 10036
; NumSgprs: 40
; NumVgprs: 48
; ScratchSize: 0
; MemoryBound: 1
; FloatMode: 240
; IeeeMode: 1
; LDSByteSize: 36992 bytes/workgroup (compile time only)
; SGPRBlocks: 4
; VGPRBlocks: 5
; NumSGPRsForWavesPerEU: 40
; NumVGPRsForWavesPerEU: 48
; Occupancy: 16
; WaveLimiterHint : 1
; COMPUTE_PGM_RSRC2:SCRATCH_EN: 0
; COMPUTE_PGM_RSRC2:USER_SGPR: 15
; COMPUTE_PGM_RSRC2:TRAP_HANDLER: 0
; COMPUTE_PGM_RSRC2:TGID_X_EN: 1
; COMPUTE_PGM_RSRC2:TGID_Y_EN: 0
; COMPUTE_PGM_RSRC2:TGID_Z_EN: 0
; COMPUTE_PGM_RSRC2:TIDIG_COMP_CNT: 2
	.section	.text._ZN7rocprim17ROCPRIM_304000_NS6detail28radix_sort_block_sort_kernelINS1_36wrapped_radix_sort_block_sort_configINS0_13kernel_configILj256ELj4ELj4294967295EEEbN2at4cuda3cub6detail10OpaqueTypeILi8EEEEELb1EPKbPbPKSB_PSB_NS0_19identity_decomposerEEEvT1_T2_T3_T4_jT5_jj,"axG",@progbits,_ZN7rocprim17ROCPRIM_304000_NS6detail28radix_sort_block_sort_kernelINS1_36wrapped_radix_sort_block_sort_configINS0_13kernel_configILj256ELj4ELj4294967295EEEbN2at4cuda3cub6detail10OpaqueTypeILi8EEEEELb1EPKbPbPKSB_PSB_NS0_19identity_decomposerEEEvT1_T2_T3_T4_jT5_jj,comdat
	.protected	_ZN7rocprim17ROCPRIM_304000_NS6detail28radix_sort_block_sort_kernelINS1_36wrapped_radix_sort_block_sort_configINS0_13kernel_configILj256ELj4ELj4294967295EEEbN2at4cuda3cub6detail10OpaqueTypeILi8EEEEELb1EPKbPbPKSB_PSB_NS0_19identity_decomposerEEEvT1_T2_T3_T4_jT5_jj ; -- Begin function _ZN7rocprim17ROCPRIM_304000_NS6detail28radix_sort_block_sort_kernelINS1_36wrapped_radix_sort_block_sort_configINS0_13kernel_configILj256ELj4ELj4294967295EEEbN2at4cuda3cub6detail10OpaqueTypeILi8EEEEELb1EPKbPbPKSB_PSB_NS0_19identity_decomposerEEEvT1_T2_T3_T4_jT5_jj
	.globl	_ZN7rocprim17ROCPRIM_304000_NS6detail28radix_sort_block_sort_kernelINS1_36wrapped_radix_sort_block_sort_configINS0_13kernel_configILj256ELj4ELj4294967295EEEbN2at4cuda3cub6detail10OpaqueTypeILi8EEEEELb1EPKbPbPKSB_PSB_NS0_19identity_decomposerEEEvT1_T2_T3_T4_jT5_jj
	.p2align	8
	.type	_ZN7rocprim17ROCPRIM_304000_NS6detail28radix_sort_block_sort_kernelINS1_36wrapped_radix_sort_block_sort_configINS0_13kernel_configILj256ELj4ELj4294967295EEEbN2at4cuda3cub6detail10OpaqueTypeILi8EEEEELb1EPKbPbPKSB_PSB_NS0_19identity_decomposerEEEvT1_T2_T3_T4_jT5_jj,@function
_ZN7rocprim17ROCPRIM_304000_NS6detail28radix_sort_block_sort_kernelINS1_36wrapped_radix_sort_block_sort_configINS0_13kernel_configILj256ELj4ELj4294967295EEEbN2at4cuda3cub6detail10OpaqueTypeILi8EEEEELb1EPKbPbPKSB_PSB_NS0_19identity_decomposerEEEvT1_T2_T3_T4_jT5_jj: ; @_ZN7rocprim17ROCPRIM_304000_NS6detail28radix_sort_block_sort_kernelINS1_36wrapped_radix_sort_block_sort_configINS0_13kernel_configILj256ELj4ELj4294967295EEEbN2at4cuda3cub6detail10OpaqueTypeILi8EEEEELb1EPKbPbPKSB_PSB_NS0_19identity_decomposerEEEvT1_T2_T3_T4_jT5_jj
; %bb.0:
	s_clause 0x1
	s_load_b32 s2, s[0:1], 0x20
	s_load_b256 s[16:23], s[0:1], 0x0
	v_and_b32_e32 v8, 0x3ff, v0
	v_mbcnt_lo_u32_b32 v7, -1, 0
	s_lshl_b32 s24, s15, 10
	s_mov_b32 s25, 0
	s_delay_alu instid0(VALU_DEP_2) | instskip(NEXT) | instid1(VALU_DEP_2)
	v_lshlrev_b32_e32 v1, 2, v8
	v_lshlrev_b32_e32 v13, 3, v7
	s_delay_alu instid0(VALU_DEP_2) | instskip(NEXT) | instid1(VALU_DEP_1)
	v_and_b32_e32 v12, 0x380, v1
	v_lshlrev_b32_e32 v14, 3, v12
	v_add_nc_u32_e32 v11, v7, v12
	s_waitcnt lgkmcnt(0)
	s_lshr_b32 s3, s2, 10
	s_delay_alu instid0(SALU_CYCLE_1) | instskip(SKIP_4) | instid1(VALU_DEP_1)
	s_cmp_lg_u32 s15, s3
	s_cselect_b32 s26, -1, 0
	s_add_u32 s4, s16, s24
	s_addc_u32 s5, s17, 0
	v_add_co_u32 v1, s4, s4, v7
	v_add_co_ci_u32_e64 v2, null, s5, 0, s4
	s_cmp_eq_u32 s15, s3
	s_delay_alu instid0(VALU_DEP_2) | instskip(NEXT) | instid1(VALU_DEP_2)
	v_add_co_u32 v9, vcc_lo, v1, v12
	v_add_co_ci_u32_e32 v10, vcc_lo, 0, v2, vcc_lo
	s_mov_b32 s3, -1
	s_cbranch_scc1 .LBB158_2
; %bb.1:
	s_clause 0x2
	global_load_u8 v17, v[9:10], off
	global_load_u8 v18, v[9:10], off offset:32
	global_load_u8 v19, v[9:10], off offset:96
	s_lshl_b64 s[4:5], s[24:25], 3
	global_load_u8 v20, v[9:10], off offset:64
	s_add_u32 s3, s20, s4
	s_addc_u32 s4, s21, s5
	v_add_co_u32 v1, s3, s3, v13
	s_delay_alu instid0(VALU_DEP_1) | instskip(SKIP_1) | instid1(VALU_DEP_3)
	v_add_co_ci_u32_e64 v2, null, s4, 0, s3
	v_add_nc_u32_e32 v28, v7, v12
	v_add_co_u32 v15, vcc_lo, v1, v14
	s_delay_alu instid0(VALU_DEP_3) | instskip(NEXT) | instid1(VALU_DEP_3)
	v_add_co_ci_u32_e32 v16, vcc_lo, 0, v2, vcc_lo
	v_add_nc_u32_e32 v25, 32, v28
	v_add_nc_u32_e32 v26, 64, v28
	s_clause 0x3
	global_load_b64 v[1:2], v[15:16], off
	global_load_b64 v[3:4], v[15:16], off offset:256
	global_load_b64 v[5:6], v[15:16], off offset:512
	global_load_b64 v[21:22], v[15:16], off offset:768
	v_add_nc_u32_e32 v27, 0x60, v28
	s_mov_b32 s3, s25
	s_waitcnt vmcnt(6)
	v_lshlrev_b16 v15, 8, v18
	s_waitcnt vmcnt(5)
	v_lshlrev_b16 v16, 8, v19
	s_delay_alu instid0(VALU_DEP_2) | instskip(SKIP_1) | instid1(VALU_DEP_2)
	v_or_b32_e32 v15, v17, v15
	s_waitcnt vmcnt(4)
	v_or_b32_e32 v16, v20, v16
	s_delay_alu instid0(VALU_DEP_2) | instskip(NEXT) | instid1(VALU_DEP_2)
	v_and_b32_e32 v12, 0xffff, v15
	v_lshlrev_b32_e32 v15, 16, v16
	s_delay_alu instid0(VALU_DEP_1)
	v_or_b32_e32 v12, v12, v15
	s_and_not1_b32 vcc_lo, exec_lo, s3
	s_sub_i32 s16, s2, s24
	s_cbranch_vccz .LBB158_3
	s_branch .LBB158_17
.LBB158_2:
                                        ; implicit-def: $vgpr12
                                        ; implicit-def: $vgpr1_vgpr2
                                        ; implicit-def: $vgpr3_vgpr4
                                        ; implicit-def: $vgpr5_vgpr6
                                        ; implicit-def: $vgpr21_vgpr22
                                        ; implicit-def: $vgpr28
                                        ; implicit-def: $vgpr25
                                        ; implicit-def: $vgpr26
                                        ; implicit-def: $vgpr27
	s_and_not1_b32 vcc_lo, exec_lo, s3
	s_sub_i32 s16, s2, s24
	s_cbranch_vccnz .LBB158_17
.LBB158_3:
	v_cmp_gt_u32_e32 vcc_lo, s16, v11
	v_mov_b32_e32 v12, 0
	s_and_saveexec_b32 s2, vcc_lo
	s_cbranch_execz .LBB158_5
; %bb.4:
	global_load_u8 v12, v[9:10], off
.LBB158_5:
	s_or_b32 exec_lo, exec_lo, s2
	v_add_nc_u32_e32 v25, 32, v11
	s_delay_alu instid0(VALU_DEP_1) | instskip(NEXT) | instid1(VALU_DEP_1)
	v_cmp_gt_u32_e64 s2, s16, v25
	s_and_saveexec_b32 s3, s2
	s_cbranch_execz .LBB158_7
; %bb.6:
	global_load_u8 v1, v[9:10], off offset:32
	s_waitcnt vmcnt(0)
	v_lshlrev_b16 v1, 8, v1
	s_delay_alu instid0(VALU_DEP_1) | instskip(NEXT) | instid1(VALU_DEP_1)
	v_or_b32_e32 v1, v12, v1
	v_and_b32_e32 v12, 0xffff, v1
.LBB158_7:
	s_or_b32 exec_lo, exec_lo, s3
	v_add_nc_u32_e32 v26, 64, v11
	s_delay_alu instid0(VALU_DEP_1) | instskip(NEXT) | instid1(VALU_DEP_1)
	v_cmp_gt_u32_e64 s3, s16, v26
	s_and_saveexec_b32 s4, s3
	s_cbranch_execz .LBB158_9
; %bb.8:
	global_load_u8 v1, v[9:10], off offset:64
	s_waitcnt vmcnt(0)
	v_lshl_or_b32 v12, v1, 16, v12
.LBB158_9:
	s_or_b32 exec_lo, exec_lo, s4
	v_add_nc_u32_e32 v27, 0x60, v11
	s_delay_alu instid0(VALU_DEP_1) | instskip(NEXT) | instid1(VALU_DEP_1)
	v_cmp_gt_u32_e64 s4, s16, v27
	s_and_saveexec_b32 s5, s4
	s_cbranch_execz .LBB158_11
; %bb.10:
	global_load_u8 v1, v[9:10], off offset:96
	s_waitcnt vmcnt(1)
	v_lshrrev_b32_e32 v2, 16, v12
	s_waitcnt vmcnt(0)
	v_lshlrev_b16 v1, 8, v1
	s_delay_alu instid0(VALU_DEP_1) | instskip(NEXT) | instid1(VALU_DEP_1)
	v_or_b32_e32 v1, v2, v1
	v_lshlrev_b32_e32 v1, 16, v1
	s_delay_alu instid0(VALU_DEP_1)
	v_and_or_b32 v12, 0xffff, v12, v1
.LBB158_11:
	s_or_b32 exec_lo, exec_lo, s5
	s_lshl_b64 s[6:7], s[24:25], 3
	s_delay_alu instid0(SALU_CYCLE_1) | instskip(SKIP_3) | instid1(VALU_DEP_1)
	s_add_u32 s5, s20, s6
	s_addc_u32 s6, s21, s7
	s_waitcnt vmcnt(3)
	v_add_co_u32 v1, s5, s5, v13
	v_add_co_ci_u32_e64 v2, null, s6, 0, s5
	s_delay_alu instid0(VALU_DEP_2) | instskip(NEXT) | instid1(VALU_DEP_1)
	v_add_co_u32 v9, s5, v1, v14
	v_add_co_ci_u32_e64 v10, s5, 0, v2, s5
                                        ; implicit-def: $vgpr1_vgpr2
	s_and_saveexec_b32 s5, vcc_lo
	s_cbranch_execnz .LBB158_54
; %bb.12:
	s_or_b32 exec_lo, exec_lo, s5
                                        ; implicit-def: $vgpr3_vgpr4
	s_and_saveexec_b32 s5, s2
	s_cbranch_execnz .LBB158_55
.LBB158_13:
	s_or_b32 exec_lo, exec_lo, s5
                                        ; implicit-def: $vgpr5_vgpr6
	s_and_saveexec_b32 s2, s3
	s_cbranch_execnz .LBB158_56
.LBB158_14:
	s_or_b32 exec_lo, exec_lo, s2
                                        ; implicit-def: $vgpr21_vgpr22
	s_and_saveexec_b32 s2, s4
	s_cbranch_execz .LBB158_16
.LBB158_15:
	global_load_b64 v[21:22], v[9:10], off offset:768
.LBB158_16:
	s_or_b32 exec_lo, exec_lo, s2
	v_mov_b32_e32 v28, v11
.LBB158_17:
	s_waitcnt vmcnt(0)
	v_lshrrev_b16 v9, 8, v12
	s_mov_b32 s20, 0
	v_and_b32_e32 v10, 0x1000000, v12
	s_mov_b32 s21, s20
	v_and_b32_e32 v11, 0x10000, v12
	s_clause 0x1
	s_load_b32 s5, s[0:1], 0x3c
	s_load_b64 s[14:15], s[0:1], 0x28
	s_mov_b32 s28, s20
	s_mov_b32 s29, s20
	v_and_b32_e32 v9, 1, v9
	v_cmp_ne_u32_e64 s2, 0, v11
	v_and_b32_e32 v12, 1, v12
	v_cmp_ne_u32_e32 vcc_lo, 0, v10
	v_bfe_u32 v13, v0, 10, 10
	v_cmp_eq_u32_e64 s4, 1, v9
	s_xor_b32 s2, s2, -1
	v_cmp_eq_u32_e64 s3, 1, v12
	s_xor_b32 s6, vcc_lo, -1
	v_cndmask_b32_e64 v10, 0, 1, s2
	s_xor_b32 s2, s4, -1
	v_cndmask_b32_e64 v9, 0, 1, s6
	v_cndmask_b32_e64 v11, 0, 1, s2
	s_xor_b32 s2, s3, -1
	v_bfe_u32 v0, v0, 20, 10
	v_cndmask_b32_e64 v12, 0, 1, s2
	v_lshlrev_b16 v9, 8, v9
	v_lshlrev_b16 v11, 8, v11
	s_waitcnt lgkmcnt(0)
	s_lshr_b32 s2, s5, 16
	v_cmp_eq_u32_e64 s8, 0, v7
	v_mad_u32_u24 v0, v0, s2, v13
	v_or_b32_e32 v9, v10, v9
	v_or_b32_e32 v11, v12, v11
	s_and_b32 s2, s5, 0xffff
	v_mul_lo_u32 v13, v25, 7
	v_mul_lo_u32 v14, v26, 7
	v_lshlrev_b32_e32 v12, 16, v9
	v_mad_u64_u32 v[9:10], null, v0, s2, v[8:9]
	v_and_b32_e32 v0, 0xffff, v11
	v_and_b32_e32 v11, 0x3e0, v8
	;; [unrolled: 1-line block ×3, first 2 shown]
	v_mul_lo_u32 v15, v27, 7
	v_lshlrev_b32_e32 v29, 5, v8
	v_or_b32_e32 v40, v0, v12
	v_min_u32_e32 v0, 0xe0, v11
	v_add_nc_u32_e32 v11, -1, v7
	v_lshrrev_b32_e32 v31, 5, v9
	v_and_b32_e32 v9, 16, v7
	v_cmp_eq_u32_e64 s0, 0, v10
	v_or_b32_e32 v0, 31, v0
	v_cmp_gt_i32_e32 vcc_lo, 0, v11
	v_cmp_lt_u32_e64 s1, 1, v10
	v_cmp_eq_u32_e64 s4, 0, v9
	v_cmp_lt_u32_e64 s2, 3, v10
	v_cmp_eq_u32_e64 s5, v0, v8
	v_cndmask_b32_e32 v9, v11, v7, vcc_lo
	v_mov_b32_e32 v11, s28
	v_lshrrev_b32_e32 v0, 3, v8
	v_cmp_lt_u32_e64 s3, 7, v10
	v_add_nc_u32_e32 v30, 32, v29
	v_lshlrev_b32_e32 v32, 2, v9
	v_and_b32_e32 v9, 7, v7
	v_mul_lo_u32 v7, v28, 7
	v_and_b32_e32 v33, 0x7c, v0
	v_mul_i32_i24_e32 v0, 0xffffffe4, v8
	v_cmp_gt_u32_e64 s6, 8, v8
	v_cmp_eq_u32_e64 s10, 0, v9
	v_cmp_lt_u32_e64 s11, 1, v9
	v_cmp_lt_u32_e64 s12, 3, v9
	v_mov_b32_e32 v9, s20
	v_cmp_lt_u32_e64 s7, 31, v8
	v_cmp_eq_u32_e64 s9, 0, v8
	v_add_nc_u32_e32 v34, -4, v33
	v_mov_b32_e32 v10, s21
	v_dual_mov_b32 v12, s29 :: v_dual_add_nc_u32 v35, v29, v0
	v_add_nc_u32_e32 v36, v28, v7
	v_add_nc_u32_e32 v37, v25, v13
	;; [unrolled: 1-line block ×4, first 2 shown]
	s_add_i32 s17, s15, s14
	s_branch .LBB158_19
.LBB158_18:                             ;   in Loop: Header=BB158_19 Depth=1
	s_barrier
	buffer_gl0_inv
	ds_store_b8 v24, v40
	ds_store_b8 v23, v48
	;; [unrolled: 1-line block ×4, first 2 shown]
	s_waitcnt lgkmcnt(0)
	s_barrier
	buffer_gl0_inv
	ds_load_u8 v5, v25
	ds_load_u8 v6, v27
	;; [unrolled: 1-line block ×4, first 2 shown]
	v_mad_u64_u32 v[1:2], null, v24, 7, v[24:25]
	v_mad_u64_u32 v[2:3], null, v23, 7, v[23:24]
	;; [unrolled: 1-line block ×3, first 2 shown]
	s_waitcnt lgkmcnt(0)
	s_barrier
	buffer_gl0_inv
	s_add_i32 s15, s15, -8
	v_lshlrev_b16 v43, 8, v5
	v_mad_u64_u32 v[4:5], null, v0, 7, v[0:1]
	v_lshlrev_b16 v44, 8, v6
	ds_store_b64 v1, v[19:20]
	ds_store_b64 v2, v[17:18]
	;; [unrolled: 1-line block ×4, first 2 shown]
	s_waitcnt lgkmcnt(0)
	s_barrier
	buffer_gl0_inv
	ds_load_b64 v[1:2], v36
	ds_load_b64 v[3:4], v37
	;; [unrolled: 1-line block ×4, first 2 shown]
	v_or_b32_e32 v40, v40, v43
	v_or_b32_e32 v42, v42, v44
	s_waitcnt lgkmcnt(0)
	s_barrier
	buffer_gl0_inv
	v_and_b32_e32 v40, 0xffff, v40
	v_lshlrev_b32_e32 v42, 16, v42
	s_delay_alu instid0(VALU_DEP_1)
	v_or_b32_e32 v40, v40, v42
	s_cbranch_execz .LBB158_35
.LBB158_19:                             ; =>This Inner Loop Header: Depth=1
	s_delay_alu instid0(VALU_DEP_1) | instskip(SKIP_3) | instid1(VALU_DEP_2)
	v_and_b32_e32 v0, 0xff, v40
	s_min_u32 s13, s15, 8
	v_dual_mov_b32 v20, v2 :: v_dual_mov_b32 v19, v1
	s_lshl_b32 s13, -1, s13
	v_lshrrev_b32_e32 v0, s14, v0
	s_not_b32 s20, s13
	v_dual_mov_b32 v16, v6 :: v_dual_mov_b32 v15, v5
	ds_store_2addr_b64 v29, v[9:10], v[11:12] offset0:4 offset1:5
	ds_store_2addr_b64 v30, v[9:10], v[11:12] offset0:2 offset1:3
	v_dual_mov_b32 v18, v4 :: v_dual_and_b32 v7, s20, v0
	s_waitcnt lgkmcnt(0)
	s_barrier
	buffer_gl0_inv
	v_add_co_u32 v0, s13, v7, -1
	s_delay_alu instid0(VALU_DEP_1) | instskip(SKIP_2) | instid1(VALU_DEP_3)
	v_cndmask_b32_e64 v13, 0, 1, s13
	v_lshl_add_u32 v1, v7, 3, v31
	; wave barrier
	v_mov_b32_e32 v17, v3
	v_cmp_ne_u32_e32 vcc_lo, 0, v13
	v_dual_mov_b32 v13, v21 :: v_dual_mov_b32 v14, v22
	s_delay_alu instid0(VALU_DEP_4) | instskip(SKIP_1) | instid1(VALU_DEP_1)
	v_lshl_add_u32 v22, v1, 2, 32
	v_xor_b32_e32 v0, vcc_lo, v0
	v_and_b32_e32 v0, exec_lo, v0
	s_delay_alu instid0(VALU_DEP_1) | instskip(SKIP_1) | instid1(VALU_DEP_2)
	v_mbcnt_lo_u32_b32 v21, v0, 0
	v_cmp_ne_u32_e64 s13, 0, v0
	v_cmp_eq_u32_e32 vcc_lo, 0, v21
	s_delay_alu instid0(VALU_DEP_2) | instskip(NEXT) | instid1(SALU_CYCLE_1)
	s_and_b32 s21, s13, vcc_lo
	s_and_saveexec_b32 s13, s21
	s_cbranch_execz .LBB158_21
; %bb.20:                               ;   in Loop: Header=BB158_19 Depth=1
	v_bcnt_u32_b32 v0, v0, 0
	ds_store_b32 v22, v0
.LBB158_21:                             ;   in Loop: Header=BB158_19 Depth=1
	s_or_b32 exec_lo, exec_lo, s13
	v_bfe_u32 v0, v40, 8, 8
	; wave barrier
	s_delay_alu instid0(VALU_DEP_1) | instskip(NEXT) | instid1(VALU_DEP_1)
	v_lshrrev_b32_e32 v0, s14, v0
	v_and_b32_e32 v0, s20, v0
	s_delay_alu instid0(VALU_DEP_1) | instskip(NEXT) | instid1(VALU_DEP_1)
	v_add_co_u32 v1, s13, v0, -1
	v_cndmask_b32_e64 v2, 0, 1, s13
	v_lshlrev_b32_e32 v0, 3, v0
	s_delay_alu instid0(VALU_DEP_2) | instskip(NEXT) | instid1(VALU_DEP_2)
	v_cmp_ne_u32_e32 vcc_lo, 0, v2
	v_add_lshl_u32 v2, v0, v31, 2
	v_xor_b32_e32 v0, vcc_lo, v1
	ds_load_b32 v23, v2 offset:32
	v_add_nc_u32_e32 v24, 32, v2
	; wave barrier
	v_and_b32_e32 v0, exec_lo, v0
	s_delay_alu instid0(VALU_DEP_1) | instskip(SKIP_1) | instid1(VALU_DEP_2)
	v_mbcnt_lo_u32_b32 v42, v0, 0
	v_cmp_ne_u32_e64 s13, 0, v0
	v_cmp_eq_u32_e32 vcc_lo, 0, v42
	s_delay_alu instid0(VALU_DEP_2) | instskip(NEXT) | instid1(SALU_CYCLE_1)
	s_and_b32 s21, s13, vcc_lo
	s_and_saveexec_b32 s13, s21
	s_cbranch_execz .LBB158_23
; %bb.22:                               ;   in Loop: Header=BB158_19 Depth=1
	s_waitcnt lgkmcnt(0)
	v_bcnt_u32_b32 v0, v0, v23
	ds_store_b32 v24, v0
.LBB158_23:                             ;   in Loop: Header=BB158_19 Depth=1
	s_or_b32 exec_lo, exec_lo, s13
	v_bfe_u32 v0, v40, 16, 8
	; wave barrier
	s_delay_alu instid0(VALU_DEP_1) | instskip(NEXT) | instid1(VALU_DEP_1)
	v_lshrrev_b32_e32 v0, s14, v0
	v_and_b32_e32 v0, s20, v0
	s_delay_alu instid0(VALU_DEP_1) | instskip(NEXT) | instid1(VALU_DEP_1)
	v_add_co_u32 v1, s13, v0, -1
	v_cndmask_b32_e64 v2, 0, 1, s13
	v_lshlrev_b32_e32 v0, 3, v0
	s_delay_alu instid0(VALU_DEP_2) | instskip(NEXT) | instid1(VALU_DEP_2)
	v_cmp_ne_u32_e32 vcc_lo, 0, v2
	v_add_lshl_u32 v2, v0, v31, 2
	v_xor_b32_e32 v0, vcc_lo, v1
	ds_load_b32 v43, v2 offset:32
	v_add_nc_u32_e32 v45, 32, v2
	; wave barrier
	v_and_b32_e32 v0, exec_lo, v0
	s_delay_alu instid0(VALU_DEP_1) | instskip(SKIP_1) | instid1(VALU_DEP_2)
	v_mbcnt_lo_u32_b32 v44, v0, 0
	v_cmp_ne_u32_e64 s13, 0, v0
	v_cmp_eq_u32_e32 vcc_lo, 0, v44
	s_delay_alu instid0(VALU_DEP_2) | instskip(NEXT) | instid1(SALU_CYCLE_1)
	s_and_b32 s21, s13, vcc_lo
	s_and_saveexec_b32 s13, s21
	s_cbranch_execz .LBB158_25
; %bb.24:                               ;   in Loop: Header=BB158_19 Depth=1
	s_waitcnt lgkmcnt(0)
	v_bcnt_u32_b32 v0, v0, v43
	ds_store_b32 v45, v0
.LBB158_25:                             ;   in Loop: Header=BB158_19 Depth=1
	s_or_b32 exec_lo, exec_lo, s13
	v_lshrrev_b32_e32 v41, 24, v40
	; wave barrier
	s_delay_alu instid0(VALU_DEP_1) | instskip(NEXT) | instid1(VALU_DEP_1)
	v_lshrrev_b32_e32 v0, s14, v41
	v_and_b32_e32 v0, s20, v0
	s_delay_alu instid0(VALU_DEP_1) | instskip(NEXT) | instid1(VALU_DEP_1)
	v_add_co_u32 v1, s13, v0, -1
	v_cndmask_b32_e64 v2, 0, 1, s13
	v_lshlrev_b32_e32 v0, 3, v0
	s_delay_alu instid0(VALU_DEP_2) | instskip(NEXT) | instid1(VALU_DEP_2)
	v_cmp_ne_u32_e32 vcc_lo, 0, v2
	v_add_lshl_u32 v2, v0, v31, 2
	v_xor_b32_e32 v0, vcc_lo, v1
	ds_load_b32 v46, v2 offset:32
	v_add_nc_u32_e32 v48, 32, v2
	; wave barrier
	v_and_b32_e32 v0, exec_lo, v0
	s_delay_alu instid0(VALU_DEP_1) | instskip(SKIP_1) | instid1(VALU_DEP_2)
	v_mbcnt_lo_u32_b32 v47, v0, 0
	v_cmp_ne_u32_e64 s13, 0, v0
	v_cmp_eq_u32_e32 vcc_lo, 0, v47
	s_delay_alu instid0(VALU_DEP_2) | instskip(NEXT) | instid1(SALU_CYCLE_1)
	s_and_b32 s20, s13, vcc_lo
	s_and_saveexec_b32 s13, s20
	s_cbranch_execz .LBB158_27
; %bb.26:                               ;   in Loop: Header=BB158_19 Depth=1
	s_waitcnt lgkmcnt(0)
	v_bcnt_u32_b32 v0, v0, v46
	ds_store_b32 v48, v0
.LBB158_27:                             ;   in Loop: Header=BB158_19 Depth=1
	s_or_b32 exec_lo, exec_lo, s13
	; wave barrier
	s_waitcnt lgkmcnt(0)
	s_barrier
	buffer_gl0_inv
	ds_load_2addr_b64 v[4:7], v29 offset0:4 offset1:5
	ds_load_2addr_b64 v[0:3], v30 offset0:2 offset1:3
	s_waitcnt lgkmcnt(1)
	v_add_nc_u32_e32 v49, v5, v4
	s_delay_alu instid0(VALU_DEP_1) | instskip(SKIP_1) | instid1(VALU_DEP_1)
	v_add3_u32 v49, v49, v6, v7
	s_waitcnt lgkmcnt(0)
	v_add3_u32 v49, v49, v0, v1
	s_delay_alu instid0(VALU_DEP_1) | instskip(NEXT) | instid1(VALU_DEP_1)
	v_add3_u32 v3, v49, v2, v3
	v_mov_b32_dpp v49, v3 row_shr:1 row_mask:0xf bank_mask:0xf
	s_delay_alu instid0(VALU_DEP_1) | instskip(NEXT) | instid1(VALU_DEP_1)
	v_cndmask_b32_e64 v49, v49, 0, s0
	v_add_nc_u32_e32 v3, v49, v3
	s_delay_alu instid0(VALU_DEP_1) | instskip(NEXT) | instid1(VALU_DEP_1)
	v_mov_b32_dpp v49, v3 row_shr:2 row_mask:0xf bank_mask:0xf
	v_cndmask_b32_e64 v49, 0, v49, s1
	s_delay_alu instid0(VALU_DEP_1) | instskip(NEXT) | instid1(VALU_DEP_1)
	v_add_nc_u32_e32 v3, v3, v49
	v_mov_b32_dpp v49, v3 row_shr:4 row_mask:0xf bank_mask:0xf
	s_delay_alu instid0(VALU_DEP_1) | instskip(NEXT) | instid1(VALU_DEP_1)
	v_cndmask_b32_e64 v49, 0, v49, s2
	v_add_nc_u32_e32 v3, v3, v49
	s_delay_alu instid0(VALU_DEP_1) | instskip(NEXT) | instid1(VALU_DEP_1)
	v_mov_b32_dpp v49, v3 row_shr:8 row_mask:0xf bank_mask:0xf
	v_cndmask_b32_e64 v49, 0, v49, s3
	s_delay_alu instid0(VALU_DEP_1) | instskip(SKIP_3) | instid1(VALU_DEP_1)
	v_add_nc_u32_e32 v3, v3, v49
	ds_swizzle_b32 v49, v3 offset:swizzle(BROADCAST,32,15)
	s_waitcnt lgkmcnt(0)
	v_cndmask_b32_e64 v49, v49, 0, s4
	v_add_nc_u32_e32 v3, v3, v49
	s_and_saveexec_b32 s13, s5
	s_cbranch_execz .LBB158_29
; %bb.28:                               ;   in Loop: Header=BB158_19 Depth=1
	ds_store_b32 v33, v3
.LBB158_29:                             ;   in Loop: Header=BB158_19 Depth=1
	s_or_b32 exec_lo, exec_lo, s13
	s_waitcnt lgkmcnt(0)
	s_barrier
	buffer_gl0_inv
	s_and_saveexec_b32 s13, s6
	s_cbranch_execz .LBB158_31
; %bb.30:                               ;   in Loop: Header=BB158_19 Depth=1
	ds_load_b32 v49, v35
	s_waitcnt lgkmcnt(0)
	v_mov_b32_dpp v50, v49 row_shr:1 row_mask:0xf bank_mask:0xf
	s_delay_alu instid0(VALU_DEP_1) | instskip(NEXT) | instid1(VALU_DEP_1)
	v_cndmask_b32_e64 v50, v50, 0, s10
	v_add_nc_u32_e32 v49, v50, v49
	s_delay_alu instid0(VALU_DEP_1) | instskip(NEXT) | instid1(VALU_DEP_1)
	v_mov_b32_dpp v50, v49 row_shr:2 row_mask:0xf bank_mask:0xf
	v_cndmask_b32_e64 v50, 0, v50, s11
	s_delay_alu instid0(VALU_DEP_1) | instskip(NEXT) | instid1(VALU_DEP_1)
	v_add_nc_u32_e32 v49, v49, v50
	v_mov_b32_dpp v50, v49 row_shr:4 row_mask:0xf bank_mask:0xf
	s_delay_alu instid0(VALU_DEP_1) | instskip(NEXT) | instid1(VALU_DEP_1)
	v_cndmask_b32_e64 v50, 0, v50, s12
	v_add_nc_u32_e32 v49, v49, v50
	ds_store_b32 v35, v49
.LBB158_31:                             ;   in Loop: Header=BB158_19 Depth=1
	s_or_b32 exec_lo, exec_lo, s13
	v_mov_b32_e32 v49, 0
	s_waitcnt lgkmcnt(0)
	s_barrier
	buffer_gl0_inv
	s_and_saveexec_b32 s13, s7
	s_cbranch_execz .LBB158_33
; %bb.32:                               ;   in Loop: Header=BB158_19 Depth=1
	ds_load_b32 v49, v34
.LBB158_33:                             ;   in Loop: Header=BB158_19 Depth=1
	s_or_b32 exec_lo, exec_lo, s13
	s_waitcnt lgkmcnt(0)
	v_add_nc_u32_e32 v3, v49, v3
	s_add_i32 s14, s14, 8
	s_delay_alu instid0(SALU_CYCLE_1) | instskip(SKIP_3) | instid1(VALU_DEP_1)
	s_cmp_ge_u32 s14, s17
	ds_bpermute_b32 v3, v32, v3
	s_waitcnt lgkmcnt(0)
	v_cndmask_b32_e64 v3, v3, v49, s8
	v_cndmask_b32_e64 v3, v3, 0, s9
	s_delay_alu instid0(VALU_DEP_1) | instskip(NEXT) | instid1(VALU_DEP_1)
	v_add_nc_u32_e32 v4, v3, v4
	v_add_nc_u32_e32 v5, v4, v5
	s_delay_alu instid0(VALU_DEP_1) | instskip(NEXT) | instid1(VALU_DEP_1)
	v_add_nc_u32_e32 v6, v5, v6
	v_add_nc_u32_e32 v49, v6, v7
	;; [unrolled: 3-line block ×3, first 2 shown]
	s_delay_alu instid0(VALU_DEP_1)
	v_add_nc_u32_e32 v1, v0, v2
	ds_store_2addr_b64 v29, v[3:4], v[5:6] offset0:4 offset1:5
	ds_store_2addr_b64 v30, v[49:50], v[0:1] offset0:2 offset1:3
	s_waitcnt lgkmcnt(0)
	s_barrier
	buffer_gl0_inv
	ds_load_b32 v0, v22
	ds_load_b32 v1, v24
	;; [unrolled: 1-line block ×4, first 2 shown]
	v_mov_b32_e32 v45, v40
	v_lshrrev_b32_e32 v48, 8, v40
	v_lshrrev_b32_e32 v49, 16, v40
	s_waitcnt lgkmcnt(0)
	v_add_nc_u32_e32 v24, v0, v21
	v_add3_u32 v23, v42, v23, v1
	v_add3_u32 v7, v44, v43, v2
	;; [unrolled: 1-line block ×3, first 2 shown]
	s_cbranch_scc0 .LBB158_18
; %bb.34:
                                        ; implicit-def: $sgpr14
                                        ; implicit-def: $vgpr40
                                        ; implicit-def: $vgpr1_vgpr2
                                        ; implicit-def: $vgpr3_vgpr4
                                        ; implicit-def: $vgpr5_vgpr6
                                        ; implicit-def: $vgpr21_vgpr22
.LBB158_35:
	v_mad_u64_u32 v[1:2], null, v24, 7, v[24:25]
	v_mad_u64_u32 v[2:3], null, v23, 7, v[23:24]
	;; [unrolled: 1-line block ×3, first 2 shown]
	s_barrier
	buffer_gl0_inv
	v_mad_u64_u32 v[4:5], null, v0, 7, v[0:1]
	ds_store_b8 v24, v45
	ds_store_b8 v23, v48
	;; [unrolled: 1-line block ×4, first 2 shown]
	s_waitcnt lgkmcnt(0)
	s_barrier
	buffer_gl0_inv
	ds_load_u8 v9, v8
	ds_load_u8 v10, v8 offset:256
	ds_load_u8 v11, v8 offset:512
	;; [unrolled: 1-line block ×3, first 2 shown]
	v_mad_u32_u24 v0, v8, 7, v8
	s_waitcnt lgkmcnt(0)
	s_barrier
	buffer_gl0_inv
	ds_store_b64 v1, v[19:20]
	ds_store_b64 v2, v[17:18]
	;; [unrolled: 1-line block ×4, first 2 shown]
	s_waitcnt lgkmcnt(0)
	s_barrier
	buffer_gl0_inv
	ds_load_2addr_stride64_b64 v[4:7], v0 offset1:4
	ds_load_2addr_stride64_b64 v[0:3], v0 offset0:8 offset1:12
	s_add_u32 s0, s18, s24
	s_addc_u32 s1, s19, 0
	s_mov_b32 s2, 0
	s_and_not1_b32 vcc_lo, exec_lo, s26
	v_xor_b32_e32 v15, 1, v9
	v_add_co_u32 v9, s0, s0, v8
	v_xor_b32_e32 v13, 1, v10
	v_xor_b32_e32 v14, 1, v11
	;; [unrolled: 1-line block ×3, first 2 shown]
	v_add_co_ci_u32_e64 v10, null, s1, 0, s0
	v_lshlrev_b32_e32 v11, 3, v8
	s_mov_b32 s0, -1
	s_cbranch_vccz .LBB158_39
; %bb.36:
	s_and_not1_b32 vcc_lo, exec_lo, s0
	s_cbranch_vccz .LBB158_40
.LBB158_37:
	s_and_saveexec_b32 s0, s2
	s_cbranch_execnz .LBB158_53
.LBB158_38:
	s_nop 0
	s_sendmsg sendmsg(MSG_DEALLOC_VGPRS)
	s_endpgm
.LBB158_39:
	s_lshl_b64 s[0:1], s[24:25], 3
	s_mov_b32 s2, -1
	s_add_u32 s4, s22, s0
	s_addc_u32 s5, s23, s1
	v_add_co_u32 v16, s0, s4, v11
	s_delay_alu instid0(VALU_DEP_1) | instskip(NEXT) | instid1(VALU_DEP_2)
	v_add_co_ci_u32_e64 v17, null, s5, 0, s0
	v_add_co_u32 v16, vcc_lo, 0x1000, v16
	s_delay_alu instid0(VALU_DEP_2)
	v_add_co_ci_u32_e32 v17, vcc_lo, 0, v17, vcc_lo
	s_clause 0x3
	global_store_b8 v[9:10], v15, off
	global_store_b8 v[9:10], v13, off offset:256
	global_store_b8 v[9:10], v14, off offset:512
	;; [unrolled: 1-line block ×3, first 2 shown]
	s_waitcnt lgkmcnt(1)
	s_clause 0x1
	global_store_b64 v11, v[6:7], s[4:5] offset:2048
	global_store_b64 v11, v[4:5], s[4:5]
	s_waitcnt lgkmcnt(0)
	global_store_b64 v[16:17], v[0:1], off
	s_cbranch_execnz .LBB158_37
.LBB158_40:
	v_cmp_gt_u32_e32 vcc_lo, s16, v8
	s_and_saveexec_b32 s0, vcc_lo
	s_cbranch_execz .LBB158_42
; %bb.41:
	global_store_b8 v[9:10], v15, off
.LBB158_42:
	s_or_b32 exec_lo, exec_lo, s0
	v_add_nc_u32_e32 v15, 0x100, v8
	s_delay_alu instid0(VALU_DEP_1) | instskip(NEXT) | instid1(VALU_DEP_1)
	v_cmp_gt_u32_e64 s0, s16, v15
	s_and_saveexec_b32 s1, s0
	s_cbranch_execz .LBB158_44
; %bb.43:
	global_store_b8 v[9:10], v13, off offset:256
.LBB158_44:
	s_or_b32 exec_lo, exec_lo, s1
	v_add_nc_u32_e32 v13, 0x200, v8
	s_delay_alu instid0(VALU_DEP_1) | instskip(NEXT) | instid1(VALU_DEP_1)
	v_cmp_gt_u32_e64 s1, s16, v13
	s_and_saveexec_b32 s2, s1
	s_cbranch_execz .LBB158_46
; %bb.45:
	global_store_b8 v[9:10], v14, off offset:512
.LBB158_46:
	;; [unrolled: 9-line block ×3, first 2 shown]
	s_or_b32 exec_lo, exec_lo, s3
	s_lshl_b64 s[4:5], s[24:25], 3
	s_delay_alu instid0(SALU_CYCLE_1) | instskip(SKIP_2) | instid1(VALU_DEP_1)
	s_add_u32 s3, s22, s4
	s_addc_u32 s4, s23, s5
	v_add_co_u32 v8, s3, s3, v11
	v_add_co_ci_u32_e64 v9, null, s4, 0, s3
	s_and_saveexec_b32 s3, vcc_lo
	s_cbranch_execnz .LBB158_57
; %bb.49:
	s_or_b32 exec_lo, exec_lo, s3
	s_and_saveexec_b32 s3, s0
	s_cbranch_execnz .LBB158_58
.LBB158_50:
	s_or_b32 exec_lo, exec_lo, s3
	s_and_saveexec_b32 s0, s1
	s_cbranch_execz .LBB158_52
.LBB158_51:
	s_waitcnt lgkmcnt(1)
	v_add_co_u32 v4, vcc_lo, 0x1000, v8
	v_add_co_ci_u32_e32 v5, vcc_lo, 0, v9, vcc_lo
	s_waitcnt lgkmcnt(0)
	global_store_b64 v[4:5], v[0:1], off
.LBB158_52:
	s_or_b32 exec_lo, exec_lo, s0
	s_and_saveexec_b32 s0, s2
	s_cbranch_execz .LBB158_38
.LBB158_53:
	s_lshl_b64 s[0:1], s[24:25], 3
	s_delay_alu instid0(SALU_CYCLE_1) | instskip(SKIP_3) | instid1(VALU_DEP_1)
	s_add_u32 s0, s22, s0
	s_addc_u32 s1, s23, s1
	s_waitcnt lgkmcnt(0)
	v_add_co_u32 v0, s0, s0, v11
	v_add_co_ci_u32_e64 v1, null, s1, 0, s0
	s_delay_alu instid0(VALU_DEP_2) | instskip(NEXT) | instid1(VALU_DEP_2)
	v_add_co_u32 v0, vcc_lo, 0x1000, v0
	v_add_co_ci_u32_e32 v1, vcc_lo, 0, v1, vcc_lo
	global_store_b64 v[0:1], v[2:3], off offset:2048
	s_nop 0
	s_sendmsg sendmsg(MSG_DEALLOC_VGPRS)
	s_endpgm
.LBB158_54:
	global_load_b64 v[1:2], v[9:10], off
	s_or_b32 exec_lo, exec_lo, s5
                                        ; implicit-def: $vgpr3_vgpr4
	s_and_saveexec_b32 s5, s2
	s_cbranch_execz .LBB158_13
.LBB158_55:
	global_load_b64 v[3:4], v[9:10], off offset:256
	s_or_b32 exec_lo, exec_lo, s5
                                        ; implicit-def: $vgpr5_vgpr6
	s_and_saveexec_b32 s2, s3
	s_cbranch_execz .LBB158_14
.LBB158_56:
	global_load_b64 v[5:6], v[9:10], off offset:512
	s_or_b32 exec_lo, exec_lo, s2
                                        ; implicit-def: $vgpr21_vgpr22
	s_and_saveexec_b32 s2, s4
	s_cbranch_execnz .LBB158_15
	s_branch .LBB158_16
.LBB158_57:
	s_waitcnt lgkmcnt(1)
	global_store_b64 v[8:9], v[4:5], off
	s_or_b32 exec_lo, exec_lo, s3
	s_and_saveexec_b32 s3, s0
	s_cbranch_execz .LBB158_50
.LBB158_58:
	s_waitcnt lgkmcnt(1)
	global_store_b64 v[8:9], v[6:7], off offset:2048
	s_or_b32 exec_lo, exec_lo, s3
	s_and_saveexec_b32 s0, s1
	s_cbranch_execnz .LBB158_51
	s_branch .LBB158_52
	.section	.rodata,"a",@progbits
	.p2align	6, 0x0
	.amdhsa_kernel _ZN7rocprim17ROCPRIM_304000_NS6detail28radix_sort_block_sort_kernelINS1_36wrapped_radix_sort_block_sort_configINS0_13kernel_configILj256ELj4ELj4294967295EEEbN2at4cuda3cub6detail10OpaqueTypeILi8EEEEELb1EPKbPbPKSB_PSB_NS0_19identity_decomposerEEEvT1_T2_T3_T4_jT5_jj
		.amdhsa_group_segment_fixed_size 8224
		.amdhsa_private_segment_fixed_size 0
		.amdhsa_kernarg_size 304
		.amdhsa_user_sgpr_count 15
		.amdhsa_user_sgpr_dispatch_ptr 0
		.amdhsa_user_sgpr_queue_ptr 0
		.amdhsa_user_sgpr_kernarg_segment_ptr 1
		.amdhsa_user_sgpr_dispatch_id 0
		.amdhsa_user_sgpr_private_segment_size 0
		.amdhsa_wavefront_size32 1
		.amdhsa_uses_dynamic_stack 0
		.amdhsa_enable_private_segment 0
		.amdhsa_system_sgpr_workgroup_id_x 1
		.amdhsa_system_sgpr_workgroup_id_y 0
		.amdhsa_system_sgpr_workgroup_id_z 0
		.amdhsa_system_sgpr_workgroup_info 0
		.amdhsa_system_vgpr_workitem_id 2
		.amdhsa_next_free_vgpr 51
		.amdhsa_next_free_sgpr 30
		.amdhsa_reserve_vcc 1
		.amdhsa_float_round_mode_32 0
		.amdhsa_float_round_mode_16_64 0
		.amdhsa_float_denorm_mode_32 3
		.amdhsa_float_denorm_mode_16_64 3
		.amdhsa_dx10_clamp 1
		.amdhsa_ieee_mode 1
		.amdhsa_fp16_overflow 0
		.amdhsa_workgroup_processor_mode 1
		.amdhsa_memory_ordered 1
		.amdhsa_forward_progress 0
		.amdhsa_shared_vgpr_count 0
		.amdhsa_exception_fp_ieee_invalid_op 0
		.amdhsa_exception_fp_denorm_src 0
		.amdhsa_exception_fp_ieee_div_zero 0
		.amdhsa_exception_fp_ieee_overflow 0
		.amdhsa_exception_fp_ieee_underflow 0
		.amdhsa_exception_fp_ieee_inexact 0
		.amdhsa_exception_int_div_zero 0
	.end_amdhsa_kernel
	.section	.text._ZN7rocprim17ROCPRIM_304000_NS6detail28radix_sort_block_sort_kernelINS1_36wrapped_radix_sort_block_sort_configINS0_13kernel_configILj256ELj4ELj4294967295EEEbN2at4cuda3cub6detail10OpaqueTypeILi8EEEEELb1EPKbPbPKSB_PSB_NS0_19identity_decomposerEEEvT1_T2_T3_T4_jT5_jj,"axG",@progbits,_ZN7rocprim17ROCPRIM_304000_NS6detail28radix_sort_block_sort_kernelINS1_36wrapped_radix_sort_block_sort_configINS0_13kernel_configILj256ELj4ELj4294967295EEEbN2at4cuda3cub6detail10OpaqueTypeILi8EEEEELb1EPKbPbPKSB_PSB_NS0_19identity_decomposerEEEvT1_T2_T3_T4_jT5_jj,comdat
.Lfunc_end158:
	.size	_ZN7rocprim17ROCPRIM_304000_NS6detail28radix_sort_block_sort_kernelINS1_36wrapped_radix_sort_block_sort_configINS0_13kernel_configILj256ELj4ELj4294967295EEEbN2at4cuda3cub6detail10OpaqueTypeILi8EEEEELb1EPKbPbPKSB_PSB_NS0_19identity_decomposerEEEvT1_T2_T3_T4_jT5_jj, .Lfunc_end158-_ZN7rocprim17ROCPRIM_304000_NS6detail28radix_sort_block_sort_kernelINS1_36wrapped_radix_sort_block_sort_configINS0_13kernel_configILj256ELj4ELj4294967295EEEbN2at4cuda3cub6detail10OpaqueTypeILi8EEEEELb1EPKbPbPKSB_PSB_NS0_19identity_decomposerEEEvT1_T2_T3_T4_jT5_jj
                                        ; -- End function
	.section	.AMDGPU.csdata,"",@progbits
; Kernel info:
; codeLenInByte = 3620
; NumSgprs: 32
; NumVgprs: 51
; ScratchSize: 0
; MemoryBound: 0
; FloatMode: 240
; IeeeMode: 1
; LDSByteSize: 8224 bytes/workgroup (compile time only)
; SGPRBlocks: 3
; VGPRBlocks: 6
; NumSGPRsForWavesPerEU: 32
; NumVGPRsForWavesPerEU: 51
; Occupancy: 16
; WaveLimiterHint : 1
; COMPUTE_PGM_RSRC2:SCRATCH_EN: 0
; COMPUTE_PGM_RSRC2:USER_SGPR: 15
; COMPUTE_PGM_RSRC2:TRAP_HANDLER: 0
; COMPUTE_PGM_RSRC2:TGID_X_EN: 1
; COMPUTE_PGM_RSRC2:TGID_Y_EN: 0
; COMPUTE_PGM_RSRC2:TGID_Z_EN: 0
; COMPUTE_PGM_RSRC2:TIDIG_COMP_CNT: 2
	.section	.text._ZN7rocprim17ROCPRIM_304000_NS6detail39device_merge_sort_compile_time_verifierINS1_36wrapped_merge_sort_block_sort_configINS1_28merge_sort_block_sort_configILj256ELj4ELNS0_20block_sort_algorithmE0EEEbN2at4cuda3cub6detail10OpaqueTypeILi8EEEEENS1_37wrapped_merge_sort_block_merge_configINS0_14default_configEbSC_EEEEvv,"axG",@progbits,_ZN7rocprim17ROCPRIM_304000_NS6detail39device_merge_sort_compile_time_verifierINS1_36wrapped_merge_sort_block_sort_configINS1_28merge_sort_block_sort_configILj256ELj4ELNS0_20block_sort_algorithmE0EEEbN2at4cuda3cub6detail10OpaqueTypeILi8EEEEENS1_37wrapped_merge_sort_block_merge_configINS0_14default_configEbSC_EEEEvv,comdat
	.protected	_ZN7rocprim17ROCPRIM_304000_NS6detail39device_merge_sort_compile_time_verifierINS1_36wrapped_merge_sort_block_sort_configINS1_28merge_sort_block_sort_configILj256ELj4ELNS0_20block_sort_algorithmE0EEEbN2at4cuda3cub6detail10OpaqueTypeILi8EEEEENS1_37wrapped_merge_sort_block_merge_configINS0_14default_configEbSC_EEEEvv ; -- Begin function _ZN7rocprim17ROCPRIM_304000_NS6detail39device_merge_sort_compile_time_verifierINS1_36wrapped_merge_sort_block_sort_configINS1_28merge_sort_block_sort_configILj256ELj4ELNS0_20block_sort_algorithmE0EEEbN2at4cuda3cub6detail10OpaqueTypeILi8EEEEENS1_37wrapped_merge_sort_block_merge_configINS0_14default_configEbSC_EEEEvv
	.globl	_ZN7rocprim17ROCPRIM_304000_NS6detail39device_merge_sort_compile_time_verifierINS1_36wrapped_merge_sort_block_sort_configINS1_28merge_sort_block_sort_configILj256ELj4ELNS0_20block_sort_algorithmE0EEEbN2at4cuda3cub6detail10OpaqueTypeILi8EEEEENS1_37wrapped_merge_sort_block_merge_configINS0_14default_configEbSC_EEEEvv
	.p2align	8
	.type	_ZN7rocprim17ROCPRIM_304000_NS6detail39device_merge_sort_compile_time_verifierINS1_36wrapped_merge_sort_block_sort_configINS1_28merge_sort_block_sort_configILj256ELj4ELNS0_20block_sort_algorithmE0EEEbN2at4cuda3cub6detail10OpaqueTypeILi8EEEEENS1_37wrapped_merge_sort_block_merge_configINS0_14default_configEbSC_EEEEvv,@function
_ZN7rocprim17ROCPRIM_304000_NS6detail39device_merge_sort_compile_time_verifierINS1_36wrapped_merge_sort_block_sort_configINS1_28merge_sort_block_sort_configILj256ELj4ELNS0_20block_sort_algorithmE0EEEbN2at4cuda3cub6detail10OpaqueTypeILi8EEEEENS1_37wrapped_merge_sort_block_merge_configINS0_14default_configEbSC_EEEEvv: ; @_ZN7rocprim17ROCPRIM_304000_NS6detail39device_merge_sort_compile_time_verifierINS1_36wrapped_merge_sort_block_sort_configINS1_28merge_sort_block_sort_configILj256ELj4ELNS0_20block_sort_algorithmE0EEEbN2at4cuda3cub6detail10OpaqueTypeILi8EEEEENS1_37wrapped_merge_sort_block_merge_configINS0_14default_configEbSC_EEEEvv
; %bb.0:
	s_endpgm
	.section	.rodata,"a",@progbits
	.p2align	6, 0x0
	.amdhsa_kernel _ZN7rocprim17ROCPRIM_304000_NS6detail39device_merge_sort_compile_time_verifierINS1_36wrapped_merge_sort_block_sort_configINS1_28merge_sort_block_sort_configILj256ELj4ELNS0_20block_sort_algorithmE0EEEbN2at4cuda3cub6detail10OpaqueTypeILi8EEEEENS1_37wrapped_merge_sort_block_merge_configINS0_14default_configEbSC_EEEEvv
		.amdhsa_group_segment_fixed_size 0
		.amdhsa_private_segment_fixed_size 0
		.amdhsa_kernarg_size 0
		.amdhsa_user_sgpr_count 15
		.amdhsa_user_sgpr_dispatch_ptr 0
		.amdhsa_user_sgpr_queue_ptr 0
		.amdhsa_user_sgpr_kernarg_segment_ptr 0
		.amdhsa_user_sgpr_dispatch_id 0
		.amdhsa_user_sgpr_private_segment_size 0
		.amdhsa_wavefront_size32 1
		.amdhsa_uses_dynamic_stack 0
		.amdhsa_enable_private_segment 0
		.amdhsa_system_sgpr_workgroup_id_x 1
		.amdhsa_system_sgpr_workgroup_id_y 0
		.amdhsa_system_sgpr_workgroup_id_z 0
		.amdhsa_system_sgpr_workgroup_info 0
		.amdhsa_system_vgpr_workitem_id 0
		.amdhsa_next_free_vgpr 1
		.amdhsa_next_free_sgpr 1
		.amdhsa_reserve_vcc 0
		.amdhsa_float_round_mode_32 0
		.amdhsa_float_round_mode_16_64 0
		.amdhsa_float_denorm_mode_32 3
		.amdhsa_float_denorm_mode_16_64 3
		.amdhsa_dx10_clamp 1
		.amdhsa_ieee_mode 1
		.amdhsa_fp16_overflow 0
		.amdhsa_workgroup_processor_mode 1
		.amdhsa_memory_ordered 1
		.amdhsa_forward_progress 0
		.amdhsa_shared_vgpr_count 0
		.amdhsa_exception_fp_ieee_invalid_op 0
		.amdhsa_exception_fp_denorm_src 0
		.amdhsa_exception_fp_ieee_div_zero 0
		.amdhsa_exception_fp_ieee_overflow 0
		.amdhsa_exception_fp_ieee_underflow 0
		.amdhsa_exception_fp_ieee_inexact 0
		.amdhsa_exception_int_div_zero 0
	.end_amdhsa_kernel
	.section	.text._ZN7rocprim17ROCPRIM_304000_NS6detail39device_merge_sort_compile_time_verifierINS1_36wrapped_merge_sort_block_sort_configINS1_28merge_sort_block_sort_configILj256ELj4ELNS0_20block_sort_algorithmE0EEEbN2at4cuda3cub6detail10OpaqueTypeILi8EEEEENS1_37wrapped_merge_sort_block_merge_configINS0_14default_configEbSC_EEEEvv,"axG",@progbits,_ZN7rocprim17ROCPRIM_304000_NS6detail39device_merge_sort_compile_time_verifierINS1_36wrapped_merge_sort_block_sort_configINS1_28merge_sort_block_sort_configILj256ELj4ELNS0_20block_sort_algorithmE0EEEbN2at4cuda3cub6detail10OpaqueTypeILi8EEEEENS1_37wrapped_merge_sort_block_merge_configINS0_14default_configEbSC_EEEEvv,comdat
.Lfunc_end159:
	.size	_ZN7rocprim17ROCPRIM_304000_NS6detail39device_merge_sort_compile_time_verifierINS1_36wrapped_merge_sort_block_sort_configINS1_28merge_sort_block_sort_configILj256ELj4ELNS0_20block_sort_algorithmE0EEEbN2at4cuda3cub6detail10OpaqueTypeILi8EEEEENS1_37wrapped_merge_sort_block_merge_configINS0_14default_configEbSC_EEEEvv, .Lfunc_end159-_ZN7rocprim17ROCPRIM_304000_NS6detail39device_merge_sort_compile_time_verifierINS1_36wrapped_merge_sort_block_sort_configINS1_28merge_sort_block_sort_configILj256ELj4ELNS0_20block_sort_algorithmE0EEEbN2at4cuda3cub6detail10OpaqueTypeILi8EEEEENS1_37wrapped_merge_sort_block_merge_configINS0_14default_configEbSC_EEEEvv
                                        ; -- End function
	.section	.AMDGPU.csdata,"",@progbits
; Kernel info:
; codeLenInByte = 4
; NumSgprs: 0
; NumVgprs: 0
; ScratchSize: 0
; MemoryBound: 0
; FloatMode: 240
; IeeeMode: 1
; LDSByteSize: 0 bytes/workgroup (compile time only)
; SGPRBlocks: 0
; VGPRBlocks: 0
; NumSGPRsForWavesPerEU: 1
; NumVGPRsForWavesPerEU: 1
; Occupancy: 16
; WaveLimiterHint : 0
; COMPUTE_PGM_RSRC2:SCRATCH_EN: 0
; COMPUTE_PGM_RSRC2:USER_SGPR: 15
; COMPUTE_PGM_RSRC2:TRAP_HANDLER: 0
; COMPUTE_PGM_RSRC2:TGID_X_EN: 1
; COMPUTE_PGM_RSRC2:TGID_Y_EN: 0
; COMPUTE_PGM_RSRC2:TGID_Z_EN: 0
; COMPUTE_PGM_RSRC2:TIDIG_COMP_CNT: 0
	.section	.text._ZN7rocprim17ROCPRIM_304000_NS6detail45device_block_merge_mergepath_partition_kernelINS1_37wrapped_merge_sort_block_merge_configINS0_14default_configEbN2at4cuda3cub6detail10OpaqueTypeILi8EEEEEPbjNS1_19radix_merge_compareILb1ELb0EbNS0_19identity_decomposerEEEEEvT0_T1_jPSH_T2_SH_,"axG",@progbits,_ZN7rocprim17ROCPRIM_304000_NS6detail45device_block_merge_mergepath_partition_kernelINS1_37wrapped_merge_sort_block_merge_configINS0_14default_configEbN2at4cuda3cub6detail10OpaqueTypeILi8EEEEEPbjNS1_19radix_merge_compareILb1ELb0EbNS0_19identity_decomposerEEEEEvT0_T1_jPSH_T2_SH_,comdat
	.protected	_ZN7rocprim17ROCPRIM_304000_NS6detail45device_block_merge_mergepath_partition_kernelINS1_37wrapped_merge_sort_block_merge_configINS0_14default_configEbN2at4cuda3cub6detail10OpaqueTypeILi8EEEEEPbjNS1_19radix_merge_compareILb1ELb0EbNS0_19identity_decomposerEEEEEvT0_T1_jPSH_T2_SH_ ; -- Begin function _ZN7rocprim17ROCPRIM_304000_NS6detail45device_block_merge_mergepath_partition_kernelINS1_37wrapped_merge_sort_block_merge_configINS0_14default_configEbN2at4cuda3cub6detail10OpaqueTypeILi8EEEEEPbjNS1_19radix_merge_compareILb1ELb0EbNS0_19identity_decomposerEEEEEvT0_T1_jPSH_T2_SH_
	.globl	_ZN7rocprim17ROCPRIM_304000_NS6detail45device_block_merge_mergepath_partition_kernelINS1_37wrapped_merge_sort_block_merge_configINS0_14default_configEbN2at4cuda3cub6detail10OpaqueTypeILi8EEEEEPbjNS1_19radix_merge_compareILb1ELb0EbNS0_19identity_decomposerEEEEEvT0_T1_jPSH_T2_SH_
	.p2align	8
	.type	_ZN7rocprim17ROCPRIM_304000_NS6detail45device_block_merge_mergepath_partition_kernelINS1_37wrapped_merge_sort_block_merge_configINS0_14default_configEbN2at4cuda3cub6detail10OpaqueTypeILi8EEEEEPbjNS1_19radix_merge_compareILb1ELb0EbNS0_19identity_decomposerEEEEEvT0_T1_jPSH_T2_SH_,@function
_ZN7rocprim17ROCPRIM_304000_NS6detail45device_block_merge_mergepath_partition_kernelINS1_37wrapped_merge_sort_block_merge_configINS0_14default_configEbN2at4cuda3cub6detail10OpaqueTypeILi8EEEEEPbjNS1_19radix_merge_compareILb1ELb0EbNS0_19identity_decomposerEEEEEvT0_T1_jPSH_T2_SH_: ; @_ZN7rocprim17ROCPRIM_304000_NS6detail45device_block_merge_mergepath_partition_kernelINS1_37wrapped_merge_sort_block_merge_configINS0_14default_configEbN2at4cuda3cub6detail10OpaqueTypeILi8EEEEEPbjNS1_19radix_merge_compareILb1ELb0EbNS0_19identity_decomposerEEEEEvT0_T1_jPSH_T2_SH_
; %bb.0:
	s_load_b64 s[2:3], s[0:1], 0x8
	v_lshl_or_b32 v0, s15, 7, v0
	s_waitcnt lgkmcnt(0)
	s_delay_alu instid0(VALU_DEP_1)
	v_cmp_gt_u32_e32 vcc_lo, s3, v0
	s_and_saveexec_b32 s3, vcc_lo
	s_cbranch_execz .LBB160_6
; %bb.1:
	s_load_b32 s3, s[0:1], 0x1c
	s_waitcnt lgkmcnt(0)
	s_lshr_b32 s4, s3, 9
	s_delay_alu instid0(SALU_CYCLE_1) | instskip(NEXT) | instid1(SALU_CYCLE_1)
	s_and_b32 s4, s4, 0x7ffffe
	s_sub_i32 s5, 0, s4
	s_add_i32 s4, s4, -1
	v_and_b32_e32 v1, s5, v0
	v_and_b32_e32 v4, s4, v0
	s_delay_alu instid0(VALU_DEP_2) | instskip(NEXT) | instid1(VALU_DEP_1)
	v_lshlrev_b32_e32 v1, 10, v1
	v_add_nc_u32_e32 v2, s3, v1
	s_delay_alu instid0(VALU_DEP_1) | instskip(SKIP_1) | instid1(VALU_DEP_2)
	v_min_u32_e32 v7, s2, v2
	v_min_u32_e32 v2, s2, v1
	v_add_nc_u32_e32 v3, s3, v7
	s_delay_alu instid0(VALU_DEP_1) | instskip(SKIP_2) | instid1(VALU_DEP_2)
	v_min_u32_e32 v1, s2, v3
	v_lshlrev_b32_e32 v3, 10, v4
	s_mov_b32 s2, exec_lo
	v_sub_nc_u32_e32 v4, v1, v2
	v_sub_nc_u32_e32 v5, v1, v7
	s_delay_alu instid0(VALU_DEP_2) | instskip(SKIP_1) | instid1(VALU_DEP_2)
	v_min_u32_e32 v1, v4, v3
	v_sub_nc_u32_e32 v4, v7, v2
	v_sub_nc_u32_e64 v3, v1, v5 clamp
	s_delay_alu instid0(VALU_DEP_2) | instskip(NEXT) | instid1(VALU_DEP_1)
	v_min_u32_e32 v4, v1, v4
	v_cmpx_lt_u32_e64 v3, v4
	s_cbranch_execz .LBB160_5
; %bb.2:
	s_load_b64 s[4:5], s[0:1], 0x0
	s_waitcnt lgkmcnt(0)
	v_add_co_u32 v5, s3, s4, v2
	s_delay_alu instid0(VALU_DEP_1) | instskip(SKIP_1) | instid1(VALU_DEP_1)
	v_add_co_ci_u32_e64 v6, null, s5, 0, s3
	v_add_co_u32 v7, s3, s4, v7
	v_add_co_ci_u32_e64 v8, null, s5, 0, s3
	s_mov_b32 s3, 0
	.p2align	6
.LBB160_3:                              ; =>This Inner Loop Header: Depth=1
	v_add_nc_u32_e32 v9, v4, v3
	s_delay_alu instid0(VALU_DEP_1) | instskip(NEXT) | instid1(VALU_DEP_1)
	v_lshrrev_b32_e32 v13, 1, v9
	v_xad_u32 v11, v13, -1, v1
	v_add_co_u32 v9, vcc_lo, v5, v13
	v_add_co_ci_u32_e32 v10, vcc_lo, 0, v6, vcc_lo
	s_delay_alu instid0(VALU_DEP_3)
	v_add_co_u32 v11, vcc_lo, v7, v11
	v_add_co_ci_u32_e32 v12, vcc_lo, 0, v8, vcc_lo
	s_clause 0x1
	global_load_u8 v9, v[9:10], off
	global_load_u8 v10, v[11:12], off
	v_add_nc_u32_e32 v11, 1, v13
	s_waitcnt vmcnt(0)
	v_cmp_gt_u16_e32 vcc_lo, v10, v9
	s_delay_alu instid0(VALU_DEP_2) | instskip(NEXT) | instid1(VALU_DEP_1)
	v_dual_cndmask_b32 v4, v4, v13 :: v_dual_cndmask_b32 v3, v11, v3
	v_cmp_ge_u32_e32 vcc_lo, v3, v4
	s_or_b32 s3, vcc_lo, s3
	s_delay_alu instid0(SALU_CYCLE_1)
	s_and_not1_b32 exec_lo, exec_lo, s3
	s_cbranch_execnz .LBB160_3
; %bb.4:
	s_or_b32 exec_lo, exec_lo, s3
.LBB160_5:
	s_delay_alu instid0(SALU_CYCLE_1) | instskip(SKIP_2) | instid1(VALU_DEP_1)
	s_or_b32 exec_lo, exec_lo, s2
	s_load_b64 s[0:1], s[0:1], 0x10
	v_dual_mov_b32 v1, 0 :: v_dual_add_nc_u32 v2, v3, v2
	v_lshlrev_b64 v[0:1], 2, v[0:1]
	s_waitcnt lgkmcnt(0)
	s_delay_alu instid0(VALU_DEP_1) | instskip(NEXT) | instid1(VALU_DEP_2)
	v_add_co_u32 v0, vcc_lo, s0, v0
	v_add_co_ci_u32_e32 v1, vcc_lo, s1, v1, vcc_lo
	global_store_b32 v[0:1], v2, off
.LBB160_6:
	s_nop 0
	s_sendmsg sendmsg(MSG_DEALLOC_VGPRS)
	s_endpgm
	.section	.rodata,"a",@progbits
	.p2align	6, 0x0
	.amdhsa_kernel _ZN7rocprim17ROCPRIM_304000_NS6detail45device_block_merge_mergepath_partition_kernelINS1_37wrapped_merge_sort_block_merge_configINS0_14default_configEbN2at4cuda3cub6detail10OpaqueTypeILi8EEEEEPbjNS1_19radix_merge_compareILb1ELb0EbNS0_19identity_decomposerEEEEEvT0_T1_jPSH_T2_SH_
		.amdhsa_group_segment_fixed_size 0
		.amdhsa_private_segment_fixed_size 0
		.amdhsa_kernarg_size 32
		.amdhsa_user_sgpr_count 15
		.amdhsa_user_sgpr_dispatch_ptr 0
		.amdhsa_user_sgpr_queue_ptr 0
		.amdhsa_user_sgpr_kernarg_segment_ptr 1
		.amdhsa_user_sgpr_dispatch_id 0
		.amdhsa_user_sgpr_private_segment_size 0
		.amdhsa_wavefront_size32 1
		.amdhsa_uses_dynamic_stack 0
		.amdhsa_enable_private_segment 0
		.amdhsa_system_sgpr_workgroup_id_x 1
		.amdhsa_system_sgpr_workgroup_id_y 0
		.amdhsa_system_sgpr_workgroup_id_z 0
		.amdhsa_system_sgpr_workgroup_info 0
		.amdhsa_system_vgpr_workitem_id 0
		.amdhsa_next_free_vgpr 14
		.amdhsa_next_free_sgpr 16
		.amdhsa_reserve_vcc 1
		.amdhsa_float_round_mode_32 0
		.amdhsa_float_round_mode_16_64 0
		.amdhsa_float_denorm_mode_32 3
		.amdhsa_float_denorm_mode_16_64 3
		.amdhsa_dx10_clamp 1
		.amdhsa_ieee_mode 1
		.amdhsa_fp16_overflow 0
		.amdhsa_workgroup_processor_mode 1
		.amdhsa_memory_ordered 1
		.amdhsa_forward_progress 0
		.amdhsa_shared_vgpr_count 0
		.amdhsa_exception_fp_ieee_invalid_op 0
		.amdhsa_exception_fp_denorm_src 0
		.amdhsa_exception_fp_ieee_div_zero 0
		.amdhsa_exception_fp_ieee_overflow 0
		.amdhsa_exception_fp_ieee_underflow 0
		.amdhsa_exception_fp_ieee_inexact 0
		.amdhsa_exception_int_div_zero 0
	.end_amdhsa_kernel
	.section	.text._ZN7rocprim17ROCPRIM_304000_NS6detail45device_block_merge_mergepath_partition_kernelINS1_37wrapped_merge_sort_block_merge_configINS0_14default_configEbN2at4cuda3cub6detail10OpaqueTypeILi8EEEEEPbjNS1_19radix_merge_compareILb1ELb0EbNS0_19identity_decomposerEEEEEvT0_T1_jPSH_T2_SH_,"axG",@progbits,_ZN7rocprim17ROCPRIM_304000_NS6detail45device_block_merge_mergepath_partition_kernelINS1_37wrapped_merge_sort_block_merge_configINS0_14default_configEbN2at4cuda3cub6detail10OpaqueTypeILi8EEEEEPbjNS1_19radix_merge_compareILb1ELb0EbNS0_19identity_decomposerEEEEEvT0_T1_jPSH_T2_SH_,comdat
.Lfunc_end160:
	.size	_ZN7rocprim17ROCPRIM_304000_NS6detail45device_block_merge_mergepath_partition_kernelINS1_37wrapped_merge_sort_block_merge_configINS0_14default_configEbN2at4cuda3cub6detail10OpaqueTypeILi8EEEEEPbjNS1_19radix_merge_compareILb1ELb0EbNS0_19identity_decomposerEEEEEvT0_T1_jPSH_T2_SH_, .Lfunc_end160-_ZN7rocprim17ROCPRIM_304000_NS6detail45device_block_merge_mergepath_partition_kernelINS1_37wrapped_merge_sort_block_merge_configINS0_14default_configEbN2at4cuda3cub6detail10OpaqueTypeILi8EEEEEPbjNS1_19radix_merge_compareILb1ELb0EbNS0_19identity_decomposerEEEEEvT0_T1_jPSH_T2_SH_
                                        ; -- End function
	.section	.AMDGPU.csdata,"",@progbits
; Kernel info:
; codeLenInByte = 412
; NumSgprs: 18
; NumVgprs: 14
; ScratchSize: 0
; MemoryBound: 0
; FloatMode: 240
; IeeeMode: 1
; LDSByteSize: 0 bytes/workgroup (compile time only)
; SGPRBlocks: 2
; VGPRBlocks: 1
; NumSGPRsForWavesPerEU: 18
; NumVGPRsForWavesPerEU: 14
; Occupancy: 16
; WaveLimiterHint : 0
; COMPUTE_PGM_RSRC2:SCRATCH_EN: 0
; COMPUTE_PGM_RSRC2:USER_SGPR: 15
; COMPUTE_PGM_RSRC2:TRAP_HANDLER: 0
; COMPUTE_PGM_RSRC2:TGID_X_EN: 1
; COMPUTE_PGM_RSRC2:TGID_Y_EN: 0
; COMPUTE_PGM_RSRC2:TGID_Z_EN: 0
; COMPUTE_PGM_RSRC2:TIDIG_COMP_CNT: 0
	.section	.text._ZN7rocprim17ROCPRIM_304000_NS6detail35device_block_merge_mergepath_kernelINS1_37wrapped_merge_sort_block_merge_configINS0_14default_configEbN2at4cuda3cub6detail10OpaqueTypeILi8EEEEEPbSC_PSA_SD_jNS1_19radix_merge_compareILb1ELb0EbNS0_19identity_decomposerEEEEEvT0_T1_T2_T3_T4_SL_jT5_PKSL_NS1_7vsmem_tE,"axG",@progbits,_ZN7rocprim17ROCPRIM_304000_NS6detail35device_block_merge_mergepath_kernelINS1_37wrapped_merge_sort_block_merge_configINS0_14default_configEbN2at4cuda3cub6detail10OpaqueTypeILi8EEEEEPbSC_PSA_SD_jNS1_19radix_merge_compareILb1ELb0EbNS0_19identity_decomposerEEEEEvT0_T1_T2_T3_T4_SL_jT5_PKSL_NS1_7vsmem_tE,comdat
	.protected	_ZN7rocprim17ROCPRIM_304000_NS6detail35device_block_merge_mergepath_kernelINS1_37wrapped_merge_sort_block_merge_configINS0_14default_configEbN2at4cuda3cub6detail10OpaqueTypeILi8EEEEEPbSC_PSA_SD_jNS1_19radix_merge_compareILb1ELb0EbNS0_19identity_decomposerEEEEEvT0_T1_T2_T3_T4_SL_jT5_PKSL_NS1_7vsmem_tE ; -- Begin function _ZN7rocprim17ROCPRIM_304000_NS6detail35device_block_merge_mergepath_kernelINS1_37wrapped_merge_sort_block_merge_configINS0_14default_configEbN2at4cuda3cub6detail10OpaqueTypeILi8EEEEEPbSC_PSA_SD_jNS1_19radix_merge_compareILb1ELb0EbNS0_19identity_decomposerEEEEEvT0_T1_T2_T3_T4_SL_jT5_PKSL_NS1_7vsmem_tE
	.globl	_ZN7rocprim17ROCPRIM_304000_NS6detail35device_block_merge_mergepath_kernelINS1_37wrapped_merge_sort_block_merge_configINS0_14default_configEbN2at4cuda3cub6detail10OpaqueTypeILi8EEEEEPbSC_PSA_SD_jNS1_19radix_merge_compareILb1ELb0EbNS0_19identity_decomposerEEEEEvT0_T1_T2_T3_T4_SL_jT5_PKSL_NS1_7vsmem_tE
	.p2align	8
	.type	_ZN7rocprim17ROCPRIM_304000_NS6detail35device_block_merge_mergepath_kernelINS1_37wrapped_merge_sort_block_merge_configINS0_14default_configEbN2at4cuda3cub6detail10OpaqueTypeILi8EEEEEPbSC_PSA_SD_jNS1_19radix_merge_compareILb1ELb0EbNS0_19identity_decomposerEEEEEvT0_T1_T2_T3_T4_SL_jT5_PKSL_NS1_7vsmem_tE,@function
_ZN7rocprim17ROCPRIM_304000_NS6detail35device_block_merge_mergepath_kernelINS1_37wrapped_merge_sort_block_merge_configINS0_14default_configEbN2at4cuda3cub6detail10OpaqueTypeILi8EEEEEPbSC_PSA_SD_jNS1_19radix_merge_compareILb1ELb0EbNS0_19identity_decomposerEEEEEvT0_T1_T2_T3_T4_SL_jT5_PKSL_NS1_7vsmem_tE: ; @_ZN7rocprim17ROCPRIM_304000_NS6detail35device_block_merge_mergepath_kernelINS1_37wrapped_merge_sort_block_merge_configINS0_14default_configEbN2at4cuda3cub6detail10OpaqueTypeILi8EEEEEPbSC_PSA_SD_jNS1_19radix_merge_compareILb1ELb0EbNS0_19identity_decomposerEEEEEvT0_T1_T2_T3_T4_SL_jT5_PKSL_NS1_7vsmem_tE
; %bb.0:
	s_clause 0x1
	s_load_b64 s[22:23], s[0:1], 0x40
	s_load_b128 s[16:19], s[0:1], 0x20
	s_add_u32 s20, s0, 64
	s_addc_u32 s21, s1, 0
	s_waitcnt lgkmcnt(0)
	s_mul_i32 s2, s23, s15
	s_delay_alu instid0(SALU_CYCLE_1) | instskip(NEXT) | instid1(SALU_CYCLE_1)
	s_add_i32 s2, s2, s14
	s_mul_i32 s2, s2, s22
	s_delay_alu instid0(SALU_CYCLE_1) | instskip(NEXT) | instid1(SALU_CYCLE_1)
	s_add_i32 s2, s2, s13
	s_cmp_ge_u32 s2, s18
	s_cbranch_scc1 .LBB161_53
; %bb.1:
	v_mov_b32_e32 v1, 0
	s_load_b64 s[4:5], s[0:1], 0x30
	s_lshr_b32 s26, s16, 10
	s_mov_b32 s15, 0
	s_cmp_lg_u32 s2, s26
	global_load_b32 v2, v1, s[20:21] offset:14
	s_mov_b32 s3, s15
	s_cselect_b32 s18, -1, 0
	s_lshl_b64 s[6:7], s[2:3], 2
	s_waitcnt lgkmcnt(0)
	s_add_u32 s4, s4, s6
	s_addc_u32 s5, s5, s7
	s_lshr_b32 s3, s17, 9
	s_load_b64 s[24:25], s[4:5], 0x0
	s_and_b32 s3, s3, 0x7ffffe
	s_load_b256 s[4:11], s[0:1], 0x0
	s_sub_i32 s0, 0, s3
	s_lshl_b32 s3, s2, 10
	s_and_b32 s1, s2, s0
	s_or_b32 s0, s2, s0
	s_lshl_b32 s12, s1, 11
	s_lshl_b32 s1, s1, 10
	s_add_i32 s12, s12, s17
	s_sub_i32 s14, s3, s1
	s_sub_i32 s1, s12, s1
	s_add_i32 s12, s12, s14
	s_min_u32 s14, s16, s1
	s_add_i32 s1, s1, s17
	s_waitcnt lgkmcnt(0)
	s_sub_i32 s17, s12, s24
	s_sub_i32 s19, s12, s25
	s_min_u32 s12, s16, s17
	s_addk_i32 s19, 0x400
	s_cmp_eq_u32 s0, -1
	s_cselect_b32 s0, s1, s19
	s_cselect_b32 s1, s14, s25
	s_min_u32 s0, s0, s16
	s_sub_i32 s17, s1, s24
	s_sub_i32 s19, s0, s12
	s_add_u32 s23, s4, s24
	s_mov_b32 s14, s24
	s_addc_u32 s24, s5, 0
	s_add_u32 s0, s4, s12
	s_addc_u32 s1, s5, 0
	s_cmp_lt_u32 s13, s22
	v_cmp_gt_u32_e32 vcc_lo, s17, v0
	s_cselect_b32 s4, 12, 18
	s_mov_b32 s13, s15
	s_add_u32 s4, s20, s4
	s_addc_u32 s5, s21, 0
	s_cmp_eq_u32 s2, s26
	s_waitcnt vmcnt(0)
	v_lshrrev_b32_e32 v3, 16, v2
	v_and_b32_e32 v2, 0xffff, v2
	global_load_u16 v1, v1, s[4:5]
	s_mov_b32 s5, -1
	v_mul_lo_u32 v2, v2, v3
	s_waitcnt vmcnt(0)
	s_delay_alu instid0(VALU_DEP_1) | instskip(NEXT) | instid1(VALU_DEP_1)
	v_mul_lo_u32 v2, v2, v1
	v_add_nc_u32_e32 v1, v2, v0
	s_cbranch_scc1 .LBB161_4
; %bb.2:
	v_cndmask_b32_e64 v3, s17, 0, vcc_lo
	v_dual_mov_b32 v4, s23 :: v_dual_mov_b32 v5, s24
	s_add_i32 s2, s19, s17
	s_delay_alu instid0(VALU_DEP_2) | instskip(NEXT) | instid1(VALU_DEP_2)
	v_sub_nc_u32_e32 v3, v0, v3
	v_cndmask_b32_e32 v4, s0, v4, vcc_lo
	s_delay_alu instid0(VALU_DEP_3) | instskip(SKIP_1) | instid1(VALU_DEP_2)
	v_dual_cndmask_b32 v5, s1, v5 :: v_dual_add_nc_u32 v2, v2, v0
	s_mov_b32 s4, -1
	v_add_co_u32 v3, vcc_lo, v4, v3
	s_delay_alu instid0(VALU_DEP_2)
	v_add_co_ci_u32_e32 v4, vcc_lo, 0, v5, vcc_lo
	global_load_u8 v5, v[3:4], off
	s_cbranch_execz .LBB161_5
.LBB161_3:
	v_dual_mov_b32 v1, v2 :: v_dual_mov_b32 v8, s2
                                        ; implicit-def: $vgpr7
	s_and_saveexec_b32 s5, s4
	s_cbranch_execnz .LBB161_8
	s_branch .LBB161_9
.LBB161_4:
	s_mov_b32 s4, s15
                                        ; implicit-def: $vgpr2
                                        ; implicit-def: $vgpr5
                                        ; implicit-def: $sgpr2
	s_and_not1_b32 vcc_lo, exec_lo, s5
	s_cbranch_vccnz .LBB161_3
.LBB161_5:
	s_add_i32 s2, s19, s17
	s_mov_b32 s4, exec_lo
                                        ; implicit-def: $vgpr5
	v_cmpx_gt_u32_e64 s2, v0
	s_cbranch_execz .LBB161_7
; %bb.6:
	v_dual_mov_b32 v2, s24 :: v_dual_mov_b32 v3, s23
	v_cmp_gt_u32_e32 vcc_lo, s17, v0
	s_delay_alu instid0(VALU_DEP_2) | instskip(SKIP_1) | instid1(VALU_DEP_4)
	v_cndmask_b32_e32 v4, s1, v2, vcc_lo
	v_cndmask_b32_e64 v2, s17, 0, vcc_lo
	v_cndmask_b32_e32 v3, s0, v3, vcc_lo
	s_delay_alu instid0(VALU_DEP_2) | instskip(NEXT) | instid1(VALU_DEP_1)
	v_sub_nc_u32_e32 v2, v0, v2
	v_add_co_u32 v2, vcc_lo, v3, v2
	v_add_co_ci_u32_e32 v3, vcc_lo, 0, v4, vcc_lo
	global_load_u8 v5, v[2:3], off
.LBB161_7:
	s_or_b32 exec_lo, exec_lo, s4
	v_cmp_gt_u32_e64 s4, s2, v1
	v_mov_b32_e32 v8, s2
                                        ; implicit-def: $vgpr7
	s_delay_alu instid0(VALU_DEP_2)
	s_and_saveexec_b32 s5, s4
	s_cbranch_execz .LBB161_9
.LBB161_8:
	s_delay_alu instid0(VALU_DEP_1) | instskip(SKIP_3) | instid1(VALU_DEP_1)
	v_cmp_gt_u32_e32 vcc_lo, s17, v1
	v_dual_mov_b32 v3, s23 :: v_dual_mov_b32 v4, s24
	v_mov_b32_e32 v8, s2
	v_cndmask_b32_e64 v2, s17, 0, vcc_lo
	v_sub_nc_u32_e32 v1, v1, v2
	s_delay_alu instid0(VALU_DEP_4) | instskip(SKIP_1) | instid1(VALU_DEP_2)
	v_cndmask_b32_e32 v2, s0, v3, vcc_lo
	v_cndmask_b32_e32 v3, s1, v4, vcc_lo
	v_add_co_u32 v1, vcc_lo, v2, v1
	s_delay_alu instid0(VALU_DEP_2)
	v_add_co_ci_u32_e32 v2, vcc_lo, 0, v3, vcc_lo
	global_load_u8 v7, v[1:2], off
.LBB161_9:
	s_or_b32 exec_lo, exec_lo, s5
	v_lshlrev_b32_e32 v6, 1, v0
	s_mov_b32 s0, exec_lo
	s_waitcnt vmcnt(0)
	ds_store_b8 v0, v5
	ds_store_b8 v0, v7 offset:512
	s_waitcnt lgkmcnt(0)
	s_barrier
	v_min_u32_e32 v2, v8, v6
	buffer_gl0_inv
	v_sub_nc_u32_e64 v1, v2, s19 clamp
	v_min_u32_e32 v3, s17, v2
	s_delay_alu instid0(VALU_DEP_1)
	v_cmpx_lt_u32_e64 v1, v3
	s_cbranch_execz .LBB161_13
; %bb.10:
	v_add_nc_u32_e32 v4, s17, v2
	s_mov_b32 s1, 0
.LBB161_11:                             ; =>This Inner Loop Header: Depth=1
	v_add_nc_u32_e32 v9, v3, v1
	s_delay_alu instid0(VALU_DEP_1) | instskip(NEXT) | instid1(VALU_DEP_1)
	v_lshrrev_b32_e32 v9, 1, v9
	v_xad_u32 v10, v9, -1, v4
	v_add_nc_u32_e32 v12, 1, v9
	ds_load_u8 v11, v9
	ds_load_u8 v10, v10
	s_waitcnt lgkmcnt(0)
	v_cmp_gt_u16_e32 vcc_lo, v10, v11
	v_cndmask_b32_e32 v3, v3, v9, vcc_lo
	v_cndmask_b32_e32 v1, v12, v1, vcc_lo
	s_delay_alu instid0(VALU_DEP_1) | instskip(SKIP_1) | instid1(SALU_CYCLE_1)
	v_cmp_ge_u32_e32 vcc_lo, v1, v3
	s_or_b32 s1, vcc_lo, s1
	s_and_not1_b32 exec_lo, exec_lo, s1
	s_cbranch_execnz .LBB161_11
; %bb.12:
	s_or_b32 exec_lo, exec_lo, s1
.LBB161_13:
	s_delay_alu instid0(SALU_CYCLE_1) | instskip(SKIP_2) | instid1(VALU_DEP_2)
	s_or_b32 exec_lo, exec_lo, s0
	v_sub_nc_u32_e32 v2, v2, v1
	v_cmp_ge_u32_e32 vcc_lo, s17, v1
                                        ; implicit-def: $vgpr10
                                        ; implicit-def: $vgpr11
	v_add_nc_u32_e32 v2, s17, v2
	s_delay_alu instid0(VALU_DEP_1) | instskip(NEXT) | instid1(VALU_DEP_1)
	v_cmp_le_u32_e64 s0, v2, v8
	s_or_b32 s0, vcc_lo, s0
	s_delay_alu instid0(SALU_CYCLE_1)
	s_and_saveexec_b32 s4, s0
	s_cbranch_execz .LBB161_19
; %bb.14:
	v_cmp_gt_u32_e32 vcc_lo, s17, v1
                                        ; implicit-def: $vgpr3
	s_and_saveexec_b32 s0, vcc_lo
	s_cbranch_execz .LBB161_16
; %bb.15:
	ds_load_u8 v3, v1
.LBB161_16:
	s_or_b32 exec_lo, exec_lo, s0
	v_cmp_ge_u32_e64 s0, v2, v8
	s_mov_b32 s2, exec_lo
                                        ; implicit-def: $vgpr4
	v_cmpx_lt_u32_e64 v2, v8
	s_cbranch_execz .LBB161_18
; %bb.17:
	ds_load_u8 v4, v2
.LBB161_18:
	s_or_b32 exec_lo, exec_lo, s2
	s_waitcnt lgkmcnt(0)
	v_and_b32_e32 v5, 0xff, v3
	v_and_b32_e32 v7, 0xff, v4
	s_delay_alu instid0(VALU_DEP_1) | instskip(NEXT) | instid1(VALU_DEP_1)
	v_cmp_le_u16_e64 s1, v7, v5
	s_and_b32 s1, vcc_lo, s1
	s_delay_alu instid0(SALU_CYCLE_1) | instskip(SKIP_2) | instid1(VALU_DEP_2)
	s_or_b32 vcc_lo, s0, s1
	v_cndmask_b32_e32 v11, v2, v1, vcc_lo
	v_cndmask_b32_e64 v5, v8, s17, vcc_lo
	v_add_nc_u32_e32 v7, 1, v11
	s_delay_alu instid0(VALU_DEP_2) | instskip(NEXT) | instid1(VALU_DEP_2)
	v_add_nc_u32_e32 v5, -1, v5
	v_cndmask_b32_e32 v1, v1, v7, vcc_lo
	s_delay_alu instid0(VALU_DEP_2) | instskip(SKIP_1) | instid1(VALU_DEP_3)
	v_min_u32_e32 v5, v7, v5
	v_cndmask_b32_e32 v2, v7, v2, vcc_lo
	v_cmp_gt_u32_e64 s0, s17, v1
	ds_load_u8 v5, v5
	v_cmp_ge_u32_e64 s2, v2, v8
	s_waitcnt lgkmcnt(0)
	v_dual_cndmask_b32 v9, v5, v4 :: v_dual_cndmask_b32 v12, v3, v5
	s_delay_alu instid0(VALU_DEP_1) | instskip(NEXT) | instid1(VALU_DEP_2)
	v_and_b32_e32 v5, 0xff, v9
	v_and_b32_e32 v10, 0xff, v12
	s_delay_alu instid0(VALU_DEP_1) | instskip(SKIP_1) | instid1(VALU_DEP_2)
	v_cmp_le_u16_e64 s1, v5, v10
	v_cndmask_b32_e32 v5, v4, v3, vcc_lo
	s_and_b32 s0, s1, s0
	s_delay_alu instid0(SALU_CYCLE_1)
	s_or_b32 vcc_lo, s2, s0
	v_dual_cndmask_b32 v10, v2, v1 :: v_dual_cndmask_b32 v7, v9, v12
.LBB161_19:
	s_or_b32 exec_lo, exec_lo, s4
	s_lshl_b64 s[0:1], s[14:15], 3
	v_or_b32_e32 v9, 0x200, v0
	s_add_u32 s2, s8, s0
	s_addc_u32 s4, s9, s1
	s_lshl_b64 s[12:13], s[12:13], 3
	v_cmp_gt_u32_e64 s1, s17, v0
	v_cmp_le_u32_e64 s0, s17, v0
	s_add_u32 s8, s8, s12
	s_mov_b32 s5, 0
	s_addc_u32 s9, s9, s13
	s_and_not1_b32 vcc_lo, exec_lo, s18
	s_barrier
	buffer_gl0_inv
	s_cbranch_vccnz .LBB161_21
; %bb.20:
	v_subrev_nc_u32_e32 v1, s17, v0
	v_mov_b32_e32 v2, 0
	v_lshlrev_b32_e32 v14, 3, v0
	s_delay_alu instid0(VALU_DEP_2) | instskip(NEXT) | instid1(VALU_DEP_2)
	v_lshlrev_b64 v[3:4], 3, v[1:2]
	v_add_co_u32 v15, s5, s2, v14
	s_delay_alu instid0(VALU_DEP_1) | instskip(SKIP_1) | instid1(VALU_DEP_3)
	v_add_co_ci_u32_e64 v16, null, s4, 0, s5
	s_mov_b32 s5, -1
	v_add_co_u32 v1, vcc_lo, s8, v3
	s_delay_alu instid0(VALU_DEP_4) | instskip(NEXT) | instid1(VALU_DEP_1)
	v_add_co_ci_u32_e32 v3, vcc_lo, s9, v4, vcc_lo
	v_cndmask_b32_e64 v4, v3, v16, s1
	s_delay_alu instid0(VALU_DEP_3)
	v_cndmask_b32_e64 v3, v1, v15, s1
	v_subrev_nc_u32_e32 v1, s17, v9
	global_load_b64 v[12:13], v[3:4], off
	v_lshlrev_b64 v[1:2], 3, v[1:2]
	v_add_co_u32 v3, vcc_lo, 0x1000, v15
	v_add_co_ci_u32_e32 v4, vcc_lo, 0, v16, vcc_lo
	s_delay_alu instid0(VALU_DEP_3) | instskip(NEXT) | instid1(VALU_DEP_4)
	v_add_co_u32 v1, vcc_lo, s8, v1
	v_add_co_ci_u32_e32 v2, vcc_lo, s9, v2, vcc_lo
	v_cmp_gt_u32_e32 vcc_lo, s17, v9
	s_delay_alu instid0(VALU_DEP_2)
	v_dual_cndmask_b32 v1, v1, v3 :: v_dual_cndmask_b32 v2, v2, v4
	v_or_b32_e32 v4, 0x1000, v14
	s_waitcnt vmcnt(0)
	ds_store_b64 v14, v[12:13]
	s_cbranch_execz .LBB161_22
	s_branch .LBB161_33
.LBB161_21:
                                        ; implicit-def: $vgpr4
                                        ; implicit-def: $vgpr1_vgpr2
.LBB161_22:
	s_mov_b32 s1, 0
                                        ; implicit-def: $vgpr1_vgpr2
	s_and_saveexec_b32 s12, s0
	s_delay_alu instid0(SALU_CYCLE_1)
	s_xor_b32 s0, exec_lo, s12
	s_cbranch_execnz .LBB161_54
; %bb.23:
	s_and_not1_saveexec_b32 s0, s0
	s_cbranch_execnz .LBB161_57
.LBB161_24:
	s_or_b32 exec_lo, exec_lo, s0
	s_and_saveexec_b32 s0, s1
	s_cbranch_execz .LBB161_26
.LBB161_25:
	global_load_b64 v[1:2], v[1:2], off
	v_mad_u32_u24 v3, v0, 7, v0
	s_waitcnt vmcnt(0)
	ds_store_b64 v3, v[1:2]
.LBB161_26:
	s_or_b32 exec_lo, exec_lo, s0
	s_delay_alu instid0(SALU_CYCLE_1)
	s_mov_b32 s0, exec_lo
                                        ; implicit-def: $vgpr4
                                        ; implicit-def: $vgpr1_vgpr2
	v_cmpx_le_u32_e64 s17, v9
	s_xor_b32 s0, exec_lo, s0
	s_cbranch_execz .LBB161_30
; %bb.27:
	v_subrev_nc_u32_e32 v3, s17, v9
	s_mov_b32 s12, s5
	s_mov_b32 s1, exec_lo
                                        ; implicit-def: $vgpr4
                                        ; implicit-def: $vgpr1_vgpr2
	s_delay_alu instid0(VALU_DEP_1)
	v_cmpx_gt_u32_e64 s19, v3
; %bb.28:
	v_mov_b32_e32 v4, 0
	v_mul_u32_u24_e32 v12, 7, v0
	s_or_b32 s12, s5, exec_lo
	s_delay_alu instid0(VALU_DEP_2) | instskip(NEXT) | instid1(VALU_DEP_2)
	v_lshlrev_b64 v[1:2], 3, v[3:4]
	v_add3_u32 v4, v0, v12, 0x1000
	s_delay_alu instid0(VALU_DEP_2) | instskip(NEXT) | instid1(VALU_DEP_3)
	v_add_co_u32 v1, vcc_lo, s8, v1
	v_add_co_ci_u32_e32 v2, vcc_lo, s9, v2, vcc_lo
; %bb.29:
	s_or_b32 exec_lo, exec_lo, s1
	s_delay_alu instid0(SALU_CYCLE_1) | instskip(SKIP_1) | instid1(SALU_CYCLE_1)
	s_and_not1_b32 s1, s5, exec_lo
	s_and_b32 s5, s12, exec_lo
	s_or_b32 s5, s1, s5
.LBB161_30:
	s_and_not1_saveexec_b32 s0, s0
; %bb.31:
	v_lshlrev_b32_e32 v1, 3, v9
	v_mul_u32_u24_e32 v3, 7, v0
	s_or_b32 s5, s5, exec_lo
	s_delay_alu instid0(VALU_DEP_2) | instskip(NEXT) | instid1(VALU_DEP_1)
	v_add_co_u32 v1, s1, s2, v1
	v_add_co_ci_u32_e64 v2, null, s4, 0, s1
	s_delay_alu instid0(VALU_DEP_3)
	v_add3_u32 v4, v0, v3, 0x1000
; %bb.32:
	s_or_b32 exec_lo, exec_lo, s0
.LBB161_33:
	s_and_saveexec_b32 s0, s5
	s_cbranch_execz .LBB161_35
; %bb.34:
	global_load_b64 v[1:2], v[1:2], off
	s_waitcnt vmcnt(0)
	ds_store_b64 v4, v[1:2]
.LBB161_35:
	s_or_b32 exec_lo, exec_lo, s0
	v_add_nc_u32_e32 v1, s3, v6
	s_and_not1_b32 vcc_lo, exec_lo, s18
	s_waitcnt lgkmcnt(0)
	s_barrier
	buffer_gl0_inv
	s_cbranch_vccnz .LBB161_37
; %bb.36:
	v_lshlrev_b32_e32 v2, 3, v11
	s_mov_b32 s0, -1
	ds_load_b64 v[3:4], v2
	v_mov_b32_e32 v2, 0
	s_delay_alu instid0(VALU_DEP_1) | instskip(NEXT) | instid1(VALU_DEP_1)
	v_lshlrev_b64 v[12:13], 3, v[1:2]
	v_add_co_u32 v12, vcc_lo, s10, v12
	s_delay_alu instid0(VALU_DEP_2)
	v_add_co_ci_u32_e32 v13, vcc_lo, s11, v13, vcc_lo
	s_waitcnt lgkmcnt(0)
	global_store_b64 v[12:13], v[3:4], off
	s_cbranch_execz .LBB161_38
	s_branch .LBB161_43
.LBB161_37:
	s_mov_b32 s0, 0
.LBB161_38:
	s_mov_b32 s1, exec_lo
	v_cmpx_lt_u32_e64 v6, v8
	s_cbranch_execz .LBB161_40
; %bb.39:
	v_lshlrev_b32_e32 v2, 3, v11
	ds_load_b64 v[3:4], v2
	v_mov_b32_e32 v2, 0
	s_delay_alu instid0(VALU_DEP_1) | instskip(NEXT) | instid1(VALU_DEP_1)
	v_lshlrev_b64 v[11:12], 3, v[1:2]
	v_add_co_u32 v11, vcc_lo, s10, v11
	s_delay_alu instid0(VALU_DEP_2)
	v_add_co_ci_u32_e32 v12, vcc_lo, s11, v12, vcc_lo
	s_waitcnt lgkmcnt(0)
	global_store_b64 v[11:12], v[3:4], off
.LBB161_40:
	s_or_b32 exec_lo, exec_lo, s1
	v_or_b32_e32 v2, 1, v6
	s_mov_b32 s1, exec_lo
	s_delay_alu instid0(VALU_DEP_1)
	v_cmpx_lt_u32_e64 v2, v8
; %bb.41:
	v_mov_b32_e32 v2, 0
	s_or_b32 s0, s0, exec_lo
; %bb.42:
	s_or_b32 exec_lo, exec_lo, s1
.LBB161_43:
	s_and_saveexec_b32 s1, s0
	s_cbranch_execz .LBB161_45
; %bb.44:
	v_lshlrev_b32_e32 v3, 3, v10
	v_lshlrev_b64 v[1:2], 3, v[1:2]
	ds_load_b64 v[3:4], v3
	v_add_co_u32 v1, vcc_lo, s10, v1
	v_add_co_ci_u32_e32 v2, vcc_lo, s11, v2, vcc_lo
	s_waitcnt lgkmcnt(0)
	global_store_b64 v[1:2], v[3:4], off offset:8
.LBB161_45:
	s_or_b32 exec_lo, exec_lo, s1
	v_lshrrev_b32_e32 v1, 4, v0
	v_and_b32_e32 v2, 0xff, v5
	v_lshlrev_b16 v3, 8, v7
	v_lshrrev_b32_e32 v4, 5, v9
	s_add_u32 s1, s6, s3
	v_and_b32_e32 v1, 28, v1
	s_waitcnt_vscnt null, 0x0
	v_or_b32_e32 v2, v2, v3
	v_lshrrev_b32_e32 v3, 5, v0
	v_and_b32_e32 v4, 28, v4
	v_add_nc_u32_e32 v1, v1, v6
	s_barrier
	buffer_gl0_inv
	s_barrier
	buffer_gl0_inv
	s_addc_u32 s2, s7, 0
	ds_store_b16 v1, v2
	v_add_co_u32 v1, s1, s1, v0
	v_and_b32_e32 v3, 12, v3
	v_add_co_ci_u32_e64 v2, null, s2, 0, s1
	v_add_nc_u32_e32 v5, v0, v4
	s_mov_b32 s0, 0
	s_and_b32 vcc_lo, exec_lo, s18
	s_waitcnt lgkmcnt(0)
	s_cbranch_vccz .LBB161_47
; %bb.46:
	v_add_nc_u32_e32 v4, v0, v3
	s_barrier
	buffer_gl0_inv
	s_mov_b32 s0, -1
	ds_load_u8 v6, v4
	ds_load_u8 v4, v5 offset:512
	s_waitcnt lgkmcnt(1)
	global_store_b8 v[1:2], v6, off
	s_cbranch_execz .LBB161_48
	s_branch .LBB161_51
.LBB161_47:
                                        ; implicit-def: $vgpr4
.LBB161_48:
	s_waitcnt lgkmcnt(0)
	s_waitcnt_vscnt null, 0x0
	s_barrier
	buffer_gl0_inv
	ds_load_u8 v4, v5 offset:512
	s_sub_i32 s0, s16, s3
	s_mov_b32 s1, exec_lo
	v_cmpx_gt_u32_e64 s0, v0
	s_cbranch_execz .LBB161_50
; %bb.49:
	v_add_nc_u32_e32 v0, v0, v3
	ds_load_u8 v0, v0
	s_waitcnt lgkmcnt(0)
	global_store_b8 v[1:2], v0, off
.LBB161_50:
	s_or_b32 exec_lo, exec_lo, s1
	v_cmp_gt_u32_e64 s0, s0, v9
.LBB161_51:
	s_delay_alu instid0(VALU_DEP_1)
	s_and_saveexec_b32 s1, s0
	s_cbranch_execz .LBB161_53
; %bb.52:
	s_waitcnt lgkmcnt(0)
	global_store_b8 v[1:2], v4, off offset:512
.LBB161_53:
	s_nop 0
	s_sendmsg sendmsg(MSG_DEALLOC_VGPRS)
	s_endpgm
.LBB161_54:
	v_subrev_nc_u32_e32 v3, s17, v0
	s_mov_b32 s12, exec_lo
                                        ; implicit-def: $vgpr1_vgpr2
	s_delay_alu instid0(VALU_DEP_1)
	v_cmpx_gt_u32_e64 s19, v3
	s_xor_b32 s12, exec_lo, s12
; %bb.55:
	v_mov_b32_e32 v4, 0
	s_mov_b32 s1, exec_lo
	s_delay_alu instid0(VALU_DEP_1) | instskip(NEXT) | instid1(VALU_DEP_1)
	v_lshlrev_b64 v[1:2], 3, v[3:4]
	v_add_co_u32 v1, vcc_lo, s8, v1
	s_delay_alu instid0(VALU_DEP_2)
	v_add_co_ci_u32_e32 v2, vcc_lo, s9, v2, vcc_lo
; %bb.56:
	s_or_b32 exec_lo, exec_lo, s12
	s_delay_alu instid0(SALU_CYCLE_1)
	s_and_b32 s1, s1, exec_lo
	s_and_not1_saveexec_b32 s0, s0
	s_cbranch_execz .LBB161_24
.LBB161_57:
	v_lshlrev_b32_e32 v1, 3, v0
	s_or_b32 s1, s1, exec_lo
	s_delay_alu instid0(VALU_DEP_1) | instskip(NEXT) | instid1(VALU_DEP_1)
	v_add_co_u32 v1, s12, s2, v1
	v_add_co_ci_u32_e64 v2, null, s4, 0, s12
	s_or_b32 exec_lo, exec_lo, s0
	s_and_saveexec_b32 s0, s1
	s_cbranch_execnz .LBB161_25
	s_branch .LBB161_26
	.section	.rodata,"a",@progbits
	.p2align	6, 0x0
	.amdhsa_kernel _ZN7rocprim17ROCPRIM_304000_NS6detail35device_block_merge_mergepath_kernelINS1_37wrapped_merge_sort_block_merge_configINS0_14default_configEbN2at4cuda3cub6detail10OpaqueTypeILi8EEEEEPbSC_PSA_SD_jNS1_19radix_merge_compareILb1ELb0EbNS0_19identity_decomposerEEEEEvT0_T1_T2_T3_T4_SL_jT5_PKSL_NS1_7vsmem_tE
		.amdhsa_group_segment_fixed_size 8208
		.amdhsa_private_segment_fixed_size 0
		.amdhsa_kernarg_size 320
		.amdhsa_user_sgpr_count 13
		.amdhsa_user_sgpr_dispatch_ptr 0
		.amdhsa_user_sgpr_queue_ptr 0
		.amdhsa_user_sgpr_kernarg_segment_ptr 1
		.amdhsa_user_sgpr_dispatch_id 0
		.amdhsa_user_sgpr_private_segment_size 0
		.amdhsa_wavefront_size32 1
		.amdhsa_uses_dynamic_stack 0
		.amdhsa_enable_private_segment 0
		.amdhsa_system_sgpr_workgroup_id_x 1
		.amdhsa_system_sgpr_workgroup_id_y 1
		.amdhsa_system_sgpr_workgroup_id_z 1
		.amdhsa_system_sgpr_workgroup_info 0
		.amdhsa_system_vgpr_workitem_id 0
		.amdhsa_next_free_vgpr 17
		.amdhsa_next_free_sgpr 27
		.amdhsa_reserve_vcc 1
		.amdhsa_float_round_mode_32 0
		.amdhsa_float_round_mode_16_64 0
		.amdhsa_float_denorm_mode_32 3
		.amdhsa_float_denorm_mode_16_64 3
		.amdhsa_dx10_clamp 1
		.amdhsa_ieee_mode 1
		.amdhsa_fp16_overflow 0
		.amdhsa_workgroup_processor_mode 1
		.amdhsa_memory_ordered 1
		.amdhsa_forward_progress 0
		.amdhsa_shared_vgpr_count 0
		.amdhsa_exception_fp_ieee_invalid_op 0
		.amdhsa_exception_fp_denorm_src 0
		.amdhsa_exception_fp_ieee_div_zero 0
		.amdhsa_exception_fp_ieee_overflow 0
		.amdhsa_exception_fp_ieee_underflow 0
		.amdhsa_exception_fp_ieee_inexact 0
		.amdhsa_exception_int_div_zero 0
	.end_amdhsa_kernel
	.section	.text._ZN7rocprim17ROCPRIM_304000_NS6detail35device_block_merge_mergepath_kernelINS1_37wrapped_merge_sort_block_merge_configINS0_14default_configEbN2at4cuda3cub6detail10OpaqueTypeILi8EEEEEPbSC_PSA_SD_jNS1_19radix_merge_compareILb1ELb0EbNS0_19identity_decomposerEEEEEvT0_T1_T2_T3_T4_SL_jT5_PKSL_NS1_7vsmem_tE,"axG",@progbits,_ZN7rocprim17ROCPRIM_304000_NS6detail35device_block_merge_mergepath_kernelINS1_37wrapped_merge_sort_block_merge_configINS0_14default_configEbN2at4cuda3cub6detail10OpaqueTypeILi8EEEEEPbSC_PSA_SD_jNS1_19radix_merge_compareILb1ELb0EbNS0_19identity_decomposerEEEEEvT0_T1_T2_T3_T4_SL_jT5_PKSL_NS1_7vsmem_tE,comdat
.Lfunc_end161:
	.size	_ZN7rocprim17ROCPRIM_304000_NS6detail35device_block_merge_mergepath_kernelINS1_37wrapped_merge_sort_block_merge_configINS0_14default_configEbN2at4cuda3cub6detail10OpaqueTypeILi8EEEEEPbSC_PSA_SD_jNS1_19radix_merge_compareILb1ELb0EbNS0_19identity_decomposerEEEEEvT0_T1_T2_T3_T4_SL_jT5_PKSL_NS1_7vsmem_tE, .Lfunc_end161-_ZN7rocprim17ROCPRIM_304000_NS6detail35device_block_merge_mergepath_kernelINS1_37wrapped_merge_sort_block_merge_configINS0_14default_configEbN2at4cuda3cub6detail10OpaqueTypeILi8EEEEEPbSC_PSA_SD_jNS1_19radix_merge_compareILb1ELb0EbNS0_19identity_decomposerEEEEEvT0_T1_T2_T3_T4_SL_jT5_PKSL_NS1_7vsmem_tE
                                        ; -- End function
	.section	.AMDGPU.csdata,"",@progbits
; Kernel info:
; codeLenInByte = 2312
; NumSgprs: 29
; NumVgprs: 17
; ScratchSize: 0
; MemoryBound: 1
; FloatMode: 240
; IeeeMode: 1
; LDSByteSize: 8208 bytes/workgroup (compile time only)
; SGPRBlocks: 3
; VGPRBlocks: 2
; NumSGPRsForWavesPerEU: 29
; NumVGPRsForWavesPerEU: 17
; Occupancy: 16
; WaveLimiterHint : 1
; COMPUTE_PGM_RSRC2:SCRATCH_EN: 0
; COMPUTE_PGM_RSRC2:USER_SGPR: 13
; COMPUTE_PGM_RSRC2:TRAP_HANDLER: 0
; COMPUTE_PGM_RSRC2:TGID_X_EN: 1
; COMPUTE_PGM_RSRC2:TGID_Y_EN: 1
; COMPUTE_PGM_RSRC2:TGID_Z_EN: 1
; COMPUTE_PGM_RSRC2:TIDIG_COMP_CNT: 0
	.section	.text._ZN7rocprim17ROCPRIM_304000_NS6detail33device_block_merge_oddeven_kernelINS1_37wrapped_merge_sort_block_merge_configINS0_14default_configEbN2at4cuda3cub6detail10OpaqueTypeILi8EEEEEPbSC_PSA_SD_jNS1_19radix_merge_compareILb1ELb0EbNS0_19identity_decomposerEEEEEvT0_T1_T2_T3_T4_SL_T5_,"axG",@progbits,_ZN7rocprim17ROCPRIM_304000_NS6detail33device_block_merge_oddeven_kernelINS1_37wrapped_merge_sort_block_merge_configINS0_14default_configEbN2at4cuda3cub6detail10OpaqueTypeILi8EEEEEPbSC_PSA_SD_jNS1_19radix_merge_compareILb1ELb0EbNS0_19identity_decomposerEEEEEvT0_T1_T2_T3_T4_SL_T5_,comdat
	.protected	_ZN7rocprim17ROCPRIM_304000_NS6detail33device_block_merge_oddeven_kernelINS1_37wrapped_merge_sort_block_merge_configINS0_14default_configEbN2at4cuda3cub6detail10OpaqueTypeILi8EEEEEPbSC_PSA_SD_jNS1_19radix_merge_compareILb1ELb0EbNS0_19identity_decomposerEEEEEvT0_T1_T2_T3_T4_SL_T5_ ; -- Begin function _ZN7rocprim17ROCPRIM_304000_NS6detail33device_block_merge_oddeven_kernelINS1_37wrapped_merge_sort_block_merge_configINS0_14default_configEbN2at4cuda3cub6detail10OpaqueTypeILi8EEEEEPbSC_PSA_SD_jNS1_19radix_merge_compareILb1ELb0EbNS0_19identity_decomposerEEEEEvT0_T1_T2_T3_T4_SL_T5_
	.globl	_ZN7rocprim17ROCPRIM_304000_NS6detail33device_block_merge_oddeven_kernelINS1_37wrapped_merge_sort_block_merge_configINS0_14default_configEbN2at4cuda3cub6detail10OpaqueTypeILi8EEEEEPbSC_PSA_SD_jNS1_19radix_merge_compareILb1ELb0EbNS0_19identity_decomposerEEEEEvT0_T1_T2_T3_T4_SL_T5_
	.p2align	8
	.type	_ZN7rocprim17ROCPRIM_304000_NS6detail33device_block_merge_oddeven_kernelINS1_37wrapped_merge_sort_block_merge_configINS0_14default_configEbN2at4cuda3cub6detail10OpaqueTypeILi8EEEEEPbSC_PSA_SD_jNS1_19radix_merge_compareILb1ELb0EbNS0_19identity_decomposerEEEEEvT0_T1_T2_T3_T4_SL_T5_,@function
_ZN7rocprim17ROCPRIM_304000_NS6detail33device_block_merge_oddeven_kernelINS1_37wrapped_merge_sort_block_merge_configINS0_14default_configEbN2at4cuda3cub6detail10OpaqueTypeILi8EEEEEPbSC_PSA_SD_jNS1_19radix_merge_compareILb1ELb0EbNS0_19identity_decomposerEEEEEvT0_T1_T2_T3_T4_SL_T5_: ; @_ZN7rocprim17ROCPRIM_304000_NS6detail33device_block_merge_oddeven_kernelINS1_37wrapped_merge_sort_block_merge_configINS0_14default_configEbN2at4cuda3cub6detail10OpaqueTypeILi8EEEEEPbSC_PSA_SD_jNS1_19radix_merge_compareILb1ELb0EbNS0_19identity_decomposerEEEEEvT0_T1_T2_T3_T4_SL_T5_
; %bb.0:
	s_load_b64 s[16:17], s[0:1], 0x20
	s_waitcnt lgkmcnt(0)
	s_lshr_b32 s2, s16, 8
	s_delay_alu instid0(SALU_CYCLE_1) | instskip(SKIP_4) | instid1(SALU_CYCLE_1)
	s_cmp_lg_u32 s15, s2
	s_cselect_b32 s4, -1, 0
	s_cmp_eq_u32 s15, s2
	s_cselect_b32 s3, -1, 0
	s_lshl_b32 s12, s15, 8
	s_sub_i32 s2, s16, s12
	s_delay_alu instid0(SALU_CYCLE_1) | instskip(NEXT) | instid1(VALU_DEP_1)
	v_cmp_gt_u32_e64 s2, s2, v0
	s_or_b32 s4, s4, s2
	s_delay_alu instid0(SALU_CYCLE_1)
	s_and_saveexec_b32 s5, s4
	s_cbranch_execz .LBB162_26
; %bb.1:
	s_load_b256 s[4:11], s[0:1], 0x0
	s_mov_b32 s13, 0
	v_lshlrev_b32_e32 v1, 3, v0
	v_add_nc_u32_e32 v5, s12, v0
	s_waitcnt lgkmcnt(0)
	s_add_u32 s0, s4, s12
	s_addc_u32 s1, s5, 0
	s_lshl_b64 s[18:19], s[12:13], 3
	s_delay_alu instid0(SALU_CYCLE_1) | instskip(SKIP_4) | instid1(SALU_CYCLE_1)
	s_add_u32 s8, s8, s18
	s_addc_u32 s9, s9, s19
	global_load_b64 v[1:2], v1, s[8:9]
	global_load_u8 v7, v0, s[0:1]
	s_lshr_b32 s0, s17, 8
	s_sub_i32 s1, 0, s0
	s_delay_alu instid0(SALU_CYCLE_1) | instskip(NEXT) | instid1(SALU_CYCLE_1)
	s_and_b32 s1, s15, s1
	s_and_b32 s0, s1, s0
	s_lshl_b32 s9, s1, 8
	s_sub_i32 s1, 0, s17
	s_cmp_eq_u32 s0, 0
	s_cselect_b32 s0, -1, 0
	s_delay_alu instid0(SALU_CYCLE_1) | instskip(SKIP_1) | instid1(SALU_CYCLE_1)
	s_and_b32 s8, s0, exec_lo
	s_cselect_b32 s1, s17, s1
	s_add_i32 s1, s1, s9
	s_delay_alu instid0(SALU_CYCLE_1)
	s_cmp_lt_u32 s1, s16
	s_cbranch_scc1 .LBB162_6
; %bb.2:
	s_and_b32 vcc_lo, exec_lo, s3
	s_cbranch_vccz .LBB162_7
; %bb.3:
	s_mov_b32 s8, 0
	s_mov_b32 s12, exec_lo
                                        ; implicit-def: $vgpr3_vgpr4
	v_cmpx_gt_u32_e64 s16, v5
	s_cbranch_execz .LBB162_5
; %bb.4:
	v_mov_b32_e32 v6, 0
	s_mov_b32 s13, exec_lo
	s_waitcnt vmcnt(0)
	global_store_b8 v5, v7, s[6:7]
	v_lshlrev_b64 v[3:4], 3, v[5:6]
	s_delay_alu instid0(VALU_DEP_1) | instskip(NEXT) | instid1(VALU_DEP_2)
	v_add_co_u32 v3, vcc_lo, s10, v3
	v_add_co_ci_u32_e32 v4, vcc_lo, s11, v4, vcc_lo
.LBB162_5:
	s_or_b32 exec_lo, exec_lo, s12
	s_delay_alu instid0(SALU_CYCLE_1)
	s_and_b32 vcc_lo, exec_lo, s8
	s_cbranch_vccnz .LBB162_8
	s_branch .LBB162_9
.LBB162_6:
                                        ; implicit-def: $vgpr3_vgpr4
	s_cbranch_execnz .LBB162_10
	s_branch .LBB162_24
.LBB162_7:
                                        ; implicit-def: $vgpr3_vgpr4
	s_cbranch_execz .LBB162_9
.LBB162_8:
	v_mov_b32_e32 v6, 0
	s_or_b32 s13, s13, exec_lo
	s_waitcnt vmcnt(0)
	global_store_b8 v5, v7, s[6:7]
	v_lshlrev_b64 v[3:4], 3, v[5:6]
	s_delay_alu instid0(VALU_DEP_1) | instskip(NEXT) | instid1(VALU_DEP_2)
	v_add_co_u32 v3, vcc_lo, s10, v3
	v_add_co_ci_u32_e32 v4, vcc_lo, s11, v4, vcc_lo
.LBB162_9:
	s_branch .LBB162_24
.LBB162_10:
	s_min_u32 s8, s1, s16
	s_and_b32 vcc_lo, exec_lo, s3
	s_add_i32 s12, s9, s8
	s_min_u32 s9, s9, s8
	v_subrev_nc_u32_e32 v0, s12, v5
	s_add_i32 s12, s8, s17
	s_delay_alu instid0(SALU_CYCLE_1) | instskip(NEXT) | instid1(VALU_DEP_1)
	s_min_u32 s3, s12, s16
	v_add_nc_u32_e32 v0, s9, v0
	s_cbranch_vccz .LBB162_18
; %bb.11:
                                        ; implicit-def: $vgpr3_vgpr4
	s_and_saveexec_b32 s9, s2
	s_cbranch_execz .LBB162_17
; %bb.12:
	v_mov_b32_e32 v3, s8
	s_cmp_ge_u32 s1, s3
	s_cbranch_scc1 .LBB162_16
; %bb.13:
	v_dual_mov_b32 v4, s3 :: v_dual_mov_b32 v3, s8
	s_waitcnt vmcnt(0)
	v_and_b32_e32 v5, 0xff, v7
	s_mov_b32 s2, 0
	.p2align	6
.LBB162_14:                             ; =>This Inner Loop Header: Depth=1
	s_delay_alu instid0(VALU_DEP_2) | instskip(NEXT) | instid1(VALU_DEP_1)
	v_add_nc_u32_e32 v6, v3, v4
	v_lshrrev_b32_e32 v6, 1, v6
	global_load_u8 v8, v6, s[4:5]
	s_waitcnt vmcnt(0)
	v_cmp_gt_u16_e32 vcc_lo, v8, v5
	v_cndmask_b32_e64 v9, 0, 1, vcc_lo
	v_cmp_le_u16_e32 vcc_lo, v5, v8
	v_cndmask_b32_e64 v8, 0, 1, vcc_lo
	s_delay_alu instid0(VALU_DEP_1) | instskip(SKIP_1) | instid1(VALU_DEP_2)
	v_cndmask_b32_e64 v8, v8, v9, s0
	v_add_nc_u32_e32 v9, 1, v6
	v_and_b32_e32 v8, 1, v8
	s_delay_alu instid0(VALU_DEP_1) | instskip(NEXT) | instid1(VALU_DEP_3)
	v_cmp_eq_u32_e32 vcc_lo, 1, v8
	v_dual_cndmask_b32 v4, v6, v4 :: v_dual_cndmask_b32 v3, v3, v9
	s_delay_alu instid0(VALU_DEP_1) | instskip(SKIP_1) | instid1(SALU_CYCLE_1)
	v_cmp_ge_u32_e32 vcc_lo, v3, v4
	s_or_b32 s2, vcc_lo, s2
	s_and_not1_b32 exec_lo, exec_lo, s2
	s_cbranch_execnz .LBB162_14
; %bb.15:
	s_or_b32 exec_lo, exec_lo, s2
.LBB162_16:
	s_delay_alu instid0(VALU_DEP_1) | instskip(SKIP_4) | instid1(VALU_DEP_1)
	v_dual_mov_b32 v6, 0 :: v_dual_add_nc_u32 v5, v3, v0
	s_or_b32 s13, s13, exec_lo
	s_waitcnt vmcnt(0)
	global_store_b8 v5, v7, s[6:7]
	v_lshlrev_b64 v[3:4], 3, v[5:6]
	v_add_co_u32 v3, vcc_lo, s10, v3
	s_delay_alu instid0(VALU_DEP_2)
	v_add_co_ci_u32_e32 v4, vcc_lo, s11, v4, vcc_lo
.LBB162_17:
	s_or_b32 exec_lo, exec_lo, s9
	s_branch .LBB162_24
.LBB162_18:
                                        ; implicit-def: $vgpr3_vgpr4
	s_cbranch_execz .LBB162_24
; %bb.19:
	v_mov_b32_e32 v3, s8
	s_cmp_ge_u32 s1, s3
	s_cbranch_scc1 .LBB162_23
; %bb.20:
	v_dual_mov_b32 v4, s3 :: v_dual_mov_b32 v3, s8
	s_waitcnt vmcnt(0)
	v_and_b32_e32 v5, 0xff, v7
	s_mov_b32 s1, 0
	.p2align	6
.LBB162_21:                             ; =>This Inner Loop Header: Depth=1
	s_delay_alu instid0(VALU_DEP_2) | instskip(NEXT) | instid1(VALU_DEP_1)
	v_add_nc_u32_e32 v6, v3, v4
	v_lshrrev_b32_e32 v6, 1, v6
	global_load_u8 v8, v6, s[4:5]
	s_waitcnt vmcnt(0)
	v_cmp_gt_u16_e32 vcc_lo, v8, v5
	v_cndmask_b32_e64 v9, 0, 1, vcc_lo
	v_cmp_le_u16_e32 vcc_lo, v5, v8
	v_cndmask_b32_e64 v8, 0, 1, vcc_lo
	s_delay_alu instid0(VALU_DEP_1) | instskip(SKIP_1) | instid1(VALU_DEP_2)
	v_cndmask_b32_e64 v8, v8, v9, s0
	v_add_nc_u32_e32 v9, 1, v6
	v_and_b32_e32 v8, 1, v8
	s_delay_alu instid0(VALU_DEP_1) | instskip(NEXT) | instid1(VALU_DEP_3)
	v_cmp_eq_u32_e32 vcc_lo, 1, v8
	v_dual_cndmask_b32 v4, v6, v4 :: v_dual_cndmask_b32 v3, v3, v9
	s_delay_alu instid0(VALU_DEP_1) | instskip(SKIP_1) | instid1(SALU_CYCLE_1)
	v_cmp_ge_u32_e32 vcc_lo, v3, v4
	s_or_b32 s1, vcc_lo, s1
	s_and_not1_b32 exec_lo, exec_lo, s1
	s_cbranch_execnz .LBB162_21
; %bb.22:
	s_or_b32 exec_lo, exec_lo, s1
.LBB162_23:
	s_delay_alu instid0(VALU_DEP_1) | instskip(SKIP_4) | instid1(VALU_DEP_1)
	v_dual_mov_b32 v6, 0 :: v_dual_add_nc_u32 v5, v3, v0
	s_mov_b32 s13, -1
	s_waitcnt vmcnt(0)
	global_store_b8 v5, v7, s[6:7]
	v_lshlrev_b64 v[3:4], 3, v[5:6]
	v_add_co_u32 v3, vcc_lo, s10, v3
	s_delay_alu instid0(VALU_DEP_2)
	v_add_co_ci_u32_e32 v4, vcc_lo, s11, v4, vcc_lo
.LBB162_24:
	s_and_b32 exec_lo, exec_lo, s13
	s_cbranch_execz .LBB162_26
; %bb.25:
	s_waitcnt vmcnt(1)
	global_store_b64 v[3:4], v[1:2], off
.LBB162_26:
	s_nop 0
	s_sendmsg sendmsg(MSG_DEALLOC_VGPRS)
	s_endpgm
	.section	.rodata,"a",@progbits
	.p2align	6, 0x0
	.amdhsa_kernel _ZN7rocprim17ROCPRIM_304000_NS6detail33device_block_merge_oddeven_kernelINS1_37wrapped_merge_sort_block_merge_configINS0_14default_configEbN2at4cuda3cub6detail10OpaqueTypeILi8EEEEEPbSC_PSA_SD_jNS1_19radix_merge_compareILb1ELb0EbNS0_19identity_decomposerEEEEEvT0_T1_T2_T3_T4_SL_T5_
		.amdhsa_group_segment_fixed_size 0
		.amdhsa_private_segment_fixed_size 0
		.amdhsa_kernarg_size 44
		.amdhsa_user_sgpr_count 15
		.amdhsa_user_sgpr_dispatch_ptr 0
		.amdhsa_user_sgpr_queue_ptr 0
		.amdhsa_user_sgpr_kernarg_segment_ptr 1
		.amdhsa_user_sgpr_dispatch_id 0
		.amdhsa_user_sgpr_private_segment_size 0
		.amdhsa_wavefront_size32 1
		.amdhsa_uses_dynamic_stack 0
		.amdhsa_enable_private_segment 0
		.amdhsa_system_sgpr_workgroup_id_x 1
		.amdhsa_system_sgpr_workgroup_id_y 0
		.amdhsa_system_sgpr_workgroup_id_z 0
		.amdhsa_system_sgpr_workgroup_info 0
		.amdhsa_system_vgpr_workitem_id 0
		.amdhsa_next_free_vgpr 10
		.amdhsa_next_free_sgpr 20
		.amdhsa_reserve_vcc 1
		.amdhsa_float_round_mode_32 0
		.amdhsa_float_round_mode_16_64 0
		.amdhsa_float_denorm_mode_32 3
		.amdhsa_float_denorm_mode_16_64 3
		.amdhsa_dx10_clamp 1
		.amdhsa_ieee_mode 1
		.amdhsa_fp16_overflow 0
		.amdhsa_workgroup_processor_mode 1
		.amdhsa_memory_ordered 1
		.amdhsa_forward_progress 0
		.amdhsa_shared_vgpr_count 0
		.amdhsa_exception_fp_ieee_invalid_op 0
		.amdhsa_exception_fp_denorm_src 0
		.amdhsa_exception_fp_ieee_div_zero 0
		.amdhsa_exception_fp_ieee_overflow 0
		.amdhsa_exception_fp_ieee_underflow 0
		.amdhsa_exception_fp_ieee_inexact 0
		.amdhsa_exception_int_div_zero 0
	.end_amdhsa_kernel
	.section	.text._ZN7rocprim17ROCPRIM_304000_NS6detail33device_block_merge_oddeven_kernelINS1_37wrapped_merge_sort_block_merge_configINS0_14default_configEbN2at4cuda3cub6detail10OpaqueTypeILi8EEEEEPbSC_PSA_SD_jNS1_19radix_merge_compareILb1ELb0EbNS0_19identity_decomposerEEEEEvT0_T1_T2_T3_T4_SL_T5_,"axG",@progbits,_ZN7rocprim17ROCPRIM_304000_NS6detail33device_block_merge_oddeven_kernelINS1_37wrapped_merge_sort_block_merge_configINS0_14default_configEbN2at4cuda3cub6detail10OpaqueTypeILi8EEEEEPbSC_PSA_SD_jNS1_19radix_merge_compareILb1ELb0EbNS0_19identity_decomposerEEEEEvT0_T1_T2_T3_T4_SL_T5_,comdat
.Lfunc_end162:
	.size	_ZN7rocprim17ROCPRIM_304000_NS6detail33device_block_merge_oddeven_kernelINS1_37wrapped_merge_sort_block_merge_configINS0_14default_configEbN2at4cuda3cub6detail10OpaqueTypeILi8EEEEEPbSC_PSA_SD_jNS1_19radix_merge_compareILb1ELb0EbNS0_19identity_decomposerEEEEEvT0_T1_T2_T3_T4_SL_T5_, .Lfunc_end162-_ZN7rocprim17ROCPRIM_304000_NS6detail33device_block_merge_oddeven_kernelINS1_37wrapped_merge_sort_block_merge_configINS0_14default_configEbN2at4cuda3cub6detail10OpaqueTypeILi8EEEEEPbSC_PSA_SD_jNS1_19radix_merge_compareILb1ELb0EbNS0_19identity_decomposerEEEEEvT0_T1_T2_T3_T4_SL_T5_
                                        ; -- End function
	.section	.AMDGPU.csdata,"",@progbits
; Kernel info:
; codeLenInByte = 836
; NumSgprs: 22
; NumVgprs: 10
; ScratchSize: 0
; MemoryBound: 0
; FloatMode: 240
; IeeeMode: 1
; LDSByteSize: 0 bytes/workgroup (compile time only)
; SGPRBlocks: 2
; VGPRBlocks: 1
; NumSGPRsForWavesPerEU: 22
; NumVGPRsForWavesPerEU: 10
; Occupancy: 16
; WaveLimiterHint : 0
; COMPUTE_PGM_RSRC2:SCRATCH_EN: 0
; COMPUTE_PGM_RSRC2:USER_SGPR: 15
; COMPUTE_PGM_RSRC2:TRAP_HANDLER: 0
; COMPUTE_PGM_RSRC2:TGID_X_EN: 1
; COMPUTE_PGM_RSRC2:TGID_Y_EN: 0
; COMPUTE_PGM_RSRC2:TGID_Z_EN: 0
; COMPUTE_PGM_RSRC2:TIDIG_COMP_CNT: 0
	.section	.text._ZN7rocprim17ROCPRIM_304000_NS6detail16transform_kernelINS1_24wrapped_transform_configINS0_14default_configEbEEbPbS6_NS0_8identityIbEEEEvT1_mT2_T3_,"axG",@progbits,_ZN7rocprim17ROCPRIM_304000_NS6detail16transform_kernelINS1_24wrapped_transform_configINS0_14default_configEbEEbPbS6_NS0_8identityIbEEEEvT1_mT2_T3_,comdat
	.protected	_ZN7rocprim17ROCPRIM_304000_NS6detail16transform_kernelINS1_24wrapped_transform_configINS0_14default_configEbEEbPbS6_NS0_8identityIbEEEEvT1_mT2_T3_ ; -- Begin function _ZN7rocprim17ROCPRIM_304000_NS6detail16transform_kernelINS1_24wrapped_transform_configINS0_14default_configEbEEbPbS6_NS0_8identityIbEEEEvT1_mT2_T3_
	.globl	_ZN7rocprim17ROCPRIM_304000_NS6detail16transform_kernelINS1_24wrapped_transform_configINS0_14default_configEbEEbPbS6_NS0_8identityIbEEEEvT1_mT2_T3_
	.p2align	8
	.type	_ZN7rocprim17ROCPRIM_304000_NS6detail16transform_kernelINS1_24wrapped_transform_configINS0_14default_configEbEEbPbS6_NS0_8identityIbEEEEvT1_mT2_T3_,@function
_ZN7rocprim17ROCPRIM_304000_NS6detail16transform_kernelINS1_24wrapped_transform_configINS0_14default_configEbEEbPbS6_NS0_8identityIbEEEEvT1_mT2_T3_: ; @_ZN7rocprim17ROCPRIM_304000_NS6detail16transform_kernelINS1_24wrapped_transform_configINS0_14default_configEbEEbPbS6_NS0_8identityIbEEEEvT1_mT2_T3_
; %bb.0:
	s_clause 0x2
	s_load_b32 s2, s[0:1], 0x20
	s_load_b128 s[4:7], s[0:1], 0x0
	s_load_b64 s[8:9], s[0:1], 0x10
	s_lshl_b32 s3, s15, 12
	s_waitcnt lgkmcnt(0)
	s_add_i32 s2, s2, -1
	s_add_u32 s0, s4, s3
	s_addc_u32 s1, s5, 0
	v_add_co_u32 v1, s0, s0, v0
	s_delay_alu instid0(VALU_DEP_1)
	v_add_co_ci_u32_e64 v2, null, s1, 0, s0
	s_mov_b32 s4, 0
	s_cmp_lg_u32 s15, s2
	s_mov_b32 s0, -1
	s_cbranch_scc0 .LBB163_2
; %bb.1:
	s_clause 0x3
	global_load_u8 v6, v[1:2], off
	global_load_u8 v7, v[1:2], off offset:1024
	global_load_u8 v8, v[1:2], off offset:2048
	;; [unrolled: 1-line block ×3, first 2 shown]
	s_add_u32 s0, s8, s3
	s_addc_u32 s1, s9, 0
	v_add_co_u32 v4, s0, s0, v0
	s_delay_alu instid0(VALU_DEP_1)
	v_add_co_ci_u32_e64 v5, null, s1, 0, s0
	s_mov_b32 s4, -1
	s_waitcnt vmcnt(3)
	global_store_b8 v[4:5], v6, off
	s_waitcnt vmcnt(2)
	global_store_b8 v[4:5], v7, off offset:1024
	s_waitcnt vmcnt(1)
	global_store_b8 v[4:5], v8, off offset:2048
	s_cbranch_execz .LBB163_3
	s_branch .LBB163_17
.LBB163_2:
                                        ; implicit-def: $vgpr3
	s_and_not1_b32 vcc_lo, exec_lo, s0
	s_cbranch_vccnz .LBB163_17
.LBB163_3:
	s_sub_i32 s2, s6, s3
                                        ; implicit-def: $vgpr3
	s_delay_alu instid0(SALU_CYCLE_1)
	v_cmp_gt_u32_e32 vcc_lo, s2, v0
	s_and_saveexec_b32 s0, vcc_lo
	s_cbranch_execz .LBB163_5
; %bb.4:
	global_load_u8 v3, v[1:2], off
.LBB163_5:
	s_or_b32 exec_lo, exec_lo, s0
	v_or_b32_e32 v4, 0x400, v0
	s_delay_alu instid0(VALU_DEP_1) | instskip(NEXT) | instid1(VALU_DEP_1)
	v_cmp_gt_u32_e64 s0, s2, v4
                                        ; implicit-def: $vgpr4
	s_and_saveexec_b32 s1, s0
	s_cbranch_execz .LBB163_7
; %bb.6:
	global_load_u8 v4, v[1:2], off offset:1024
.LBB163_7:
	s_or_b32 exec_lo, exec_lo, s1
	v_or_b32_e32 v5, 0x800, v0
	s_delay_alu instid0(VALU_DEP_1) | instskip(NEXT) | instid1(VALU_DEP_1)
	v_cmp_gt_u32_e64 s1, s2, v5
                                        ; implicit-def: $vgpr5
	s_and_saveexec_b32 s5, s1
	s_cbranch_execz .LBB163_9
; %bb.8:
	global_load_u8 v5, v[1:2], off offset:2048
.LBB163_9:
	s_or_b32 exec_lo, exec_lo, s5
	v_or_b32_e32 v6, 0xc00, v0
	s_delay_alu instid0(VALU_DEP_1) | instskip(NEXT) | instid1(VALU_DEP_1)
	v_cmp_gt_u32_e64 s2, s2, v6
                                        ; implicit-def: $vgpr6
	s_and_saveexec_b32 s5, s2
	s_cbranch_execz .LBB163_11
; %bb.10:
	global_load_u8 v6, v[1:2], off offset:3072
.LBB163_11:
	s_or_b32 exec_lo, exec_lo, s5
	s_waitcnt vmcnt(0)
	v_and_b32_e32 v1, 1, v4
	v_and_b32_e32 v2, 1, v3
	;; [unrolled: 1-line block ×3, first 2 shown]
	s_add_u32 s5, s8, s3
	s_addc_u32 s6, s9, 0
	v_lshlrev_b16 v1, 8, v1
	s_delay_alu instid0(VALU_DEP_2) | instskip(NEXT) | instid1(VALU_DEP_2)
	v_lshlrev_b32_e32 v3, 16, v3
	v_or_b32_e32 v1, v2, v1
	v_and_b32_e32 v2, 0xffff, v2
	s_delay_alu instid0(VALU_DEP_2) | instskip(NEXT) | instid1(VALU_DEP_1)
	v_and_b32_e32 v1, 0xffff, v1
	v_cndmask_b32_e64 v1, v2, v1, s0
	s_delay_alu instid0(VALU_DEP_1) | instskip(NEXT) | instid1(VALU_DEP_1)
	v_or_b32_e32 v2, v1, v3
	v_cndmask_b32_e64 v1, v1, v2, s1
	v_and_b32_e32 v2, 1, v6
	s_delay_alu instid0(VALU_DEP_2) | instskip(NEXT) | instid1(VALU_DEP_2)
	v_lshrrev_b32_e32 v3, 16, v1
	v_lshlrev_b16 v2, 8, v2
	s_delay_alu instid0(VALU_DEP_2) | instskip(NEXT) | instid1(VALU_DEP_1)
	v_and_b32_e32 v3, 0xff, v3
	v_or_b32_e32 v2, v3, v2
	s_delay_alu instid0(VALU_DEP_1) | instskip(NEXT) | instid1(VALU_DEP_1)
	v_lshlrev_b32_e32 v2, 16, v2
	v_and_or_b32 v2, 0xff01, v1, v2
	s_delay_alu instid0(VALU_DEP_1) | instskip(SKIP_1) | instid1(VALU_DEP_1)
	v_cndmask_b32_e64 v4, v1, v2, s2
	v_add_co_u32 v1, s5, s5, v0
	v_add_co_ci_u32_e64 v2, null, s6, 0, s5
	s_and_saveexec_b32 s5, vcc_lo
	s_cbranch_execnz .LBB163_20
; %bb.12:
	s_or_b32 exec_lo, exec_lo, s5
	s_and_saveexec_b32 s5, s0
	s_cbranch_execnz .LBB163_21
.LBB163_13:
	s_or_b32 exec_lo, exec_lo, s5
	s_and_saveexec_b32 s0, s1
	s_cbranch_execnz .LBB163_22
.LBB163_14:
	s_or_b32 exec_lo, exec_lo, s0
                                        ; implicit-def: $vgpr3
	s_and_saveexec_b32 s0, s2
.LBB163_15:
	v_lshrrev_b32_e32 v3, 24, v4
	s_or_b32 s4, s4, exec_lo
.LBB163_16:
	s_or_b32 exec_lo, exec_lo, s0
.LBB163_17:
	s_and_saveexec_b32 s0, s4
	s_cbranch_execnz .LBB163_19
; %bb.18:
	s_nop 0
	s_sendmsg sendmsg(MSG_DEALLOC_VGPRS)
	s_endpgm
.LBB163_19:
	s_add_u32 s0, s8, s3
	s_addc_u32 s1, s9, 0
	v_add_co_u32 v0, s0, s0, v0
	s_delay_alu instid0(VALU_DEP_1)
	v_add_co_ci_u32_e64 v1, null, s1, 0, s0
	s_waitcnt vmcnt(0)
	global_store_b8 v[0:1], v3, off offset:3072
	s_nop 0
	s_sendmsg sendmsg(MSG_DEALLOC_VGPRS)
	s_endpgm
.LBB163_20:
	global_store_b8 v[1:2], v4, off
	s_or_b32 exec_lo, exec_lo, s5
	s_and_saveexec_b32 s5, s0
	s_cbranch_execz .LBB163_13
.LBB163_21:
	v_lshrrev_b32_e32 v3, 8, v4
	global_store_b8 v[1:2], v3, off offset:1024
	s_or_b32 exec_lo, exec_lo, s5
	s_and_saveexec_b32 s0, s1
	s_cbranch_execz .LBB163_14
.LBB163_22:
	global_store_d16_hi_b8 v[1:2], v4, off offset:2048
	s_or_b32 exec_lo, exec_lo, s0
                                        ; implicit-def: $vgpr3
	s_and_saveexec_b32 s0, s2
	s_cbranch_execnz .LBB163_15
	s_branch .LBB163_16
	.section	.rodata,"a",@progbits
	.p2align	6, 0x0
	.amdhsa_kernel _ZN7rocprim17ROCPRIM_304000_NS6detail16transform_kernelINS1_24wrapped_transform_configINS0_14default_configEbEEbPbS6_NS0_8identityIbEEEEvT1_mT2_T3_
		.amdhsa_group_segment_fixed_size 0
		.amdhsa_private_segment_fixed_size 0
		.amdhsa_kernarg_size 288
		.amdhsa_user_sgpr_count 15
		.amdhsa_user_sgpr_dispatch_ptr 0
		.amdhsa_user_sgpr_queue_ptr 0
		.amdhsa_user_sgpr_kernarg_segment_ptr 1
		.amdhsa_user_sgpr_dispatch_id 0
		.amdhsa_user_sgpr_private_segment_size 0
		.amdhsa_wavefront_size32 1
		.amdhsa_uses_dynamic_stack 0
		.amdhsa_enable_private_segment 0
		.amdhsa_system_sgpr_workgroup_id_x 1
		.amdhsa_system_sgpr_workgroup_id_y 0
		.amdhsa_system_sgpr_workgroup_id_z 0
		.amdhsa_system_sgpr_workgroup_info 0
		.amdhsa_system_vgpr_workitem_id 0
		.amdhsa_next_free_vgpr 9
		.amdhsa_next_free_sgpr 16
		.amdhsa_reserve_vcc 1
		.amdhsa_float_round_mode_32 0
		.amdhsa_float_round_mode_16_64 0
		.amdhsa_float_denorm_mode_32 3
		.amdhsa_float_denorm_mode_16_64 3
		.amdhsa_dx10_clamp 1
		.amdhsa_ieee_mode 1
		.amdhsa_fp16_overflow 0
		.amdhsa_workgroup_processor_mode 1
		.amdhsa_memory_ordered 1
		.amdhsa_forward_progress 0
		.amdhsa_shared_vgpr_count 0
		.amdhsa_exception_fp_ieee_invalid_op 0
		.amdhsa_exception_fp_denorm_src 0
		.amdhsa_exception_fp_ieee_div_zero 0
		.amdhsa_exception_fp_ieee_overflow 0
		.amdhsa_exception_fp_ieee_underflow 0
		.amdhsa_exception_fp_ieee_inexact 0
		.amdhsa_exception_int_div_zero 0
	.end_amdhsa_kernel
	.section	.text._ZN7rocprim17ROCPRIM_304000_NS6detail16transform_kernelINS1_24wrapped_transform_configINS0_14default_configEbEEbPbS6_NS0_8identityIbEEEEvT1_mT2_T3_,"axG",@progbits,_ZN7rocprim17ROCPRIM_304000_NS6detail16transform_kernelINS1_24wrapped_transform_configINS0_14default_configEbEEbPbS6_NS0_8identityIbEEEEvT1_mT2_T3_,comdat
.Lfunc_end163:
	.size	_ZN7rocprim17ROCPRIM_304000_NS6detail16transform_kernelINS1_24wrapped_transform_configINS0_14default_configEbEEbPbS6_NS0_8identityIbEEEEvT1_mT2_T3_, .Lfunc_end163-_ZN7rocprim17ROCPRIM_304000_NS6detail16transform_kernelINS1_24wrapped_transform_configINS0_14default_configEbEEbPbS6_NS0_8identityIbEEEEvT1_mT2_T3_
                                        ; -- End function
	.section	.AMDGPU.csdata,"",@progbits
; Kernel info:
; codeLenInByte = 720
; NumSgprs: 18
; NumVgprs: 9
; ScratchSize: 0
; MemoryBound: 0
; FloatMode: 240
; IeeeMode: 1
; LDSByteSize: 0 bytes/workgroup (compile time only)
; SGPRBlocks: 2
; VGPRBlocks: 1
; NumSGPRsForWavesPerEU: 18
; NumVGPRsForWavesPerEU: 9
; Occupancy: 16
; WaveLimiterHint : 1
; COMPUTE_PGM_RSRC2:SCRATCH_EN: 0
; COMPUTE_PGM_RSRC2:USER_SGPR: 15
; COMPUTE_PGM_RSRC2:TRAP_HANDLER: 0
; COMPUTE_PGM_RSRC2:TGID_X_EN: 1
; COMPUTE_PGM_RSRC2:TGID_Y_EN: 0
; COMPUTE_PGM_RSRC2:TGID_Z_EN: 0
; COMPUTE_PGM_RSRC2:TIDIG_COMP_CNT: 0
	.section	.text._ZN7rocprim17ROCPRIM_304000_NS6detail45device_block_merge_mergepath_partition_kernelINS1_37wrapped_merge_sort_block_merge_configINS0_14default_configEbN2at4cuda3cub6detail10OpaqueTypeILi8EEEEEPbjNS1_19radix_merge_compareILb1ELb1EbNS0_19identity_decomposerEEEEEvT0_T1_jPSH_T2_SH_,"axG",@progbits,_ZN7rocprim17ROCPRIM_304000_NS6detail45device_block_merge_mergepath_partition_kernelINS1_37wrapped_merge_sort_block_merge_configINS0_14default_configEbN2at4cuda3cub6detail10OpaqueTypeILi8EEEEEPbjNS1_19radix_merge_compareILb1ELb1EbNS0_19identity_decomposerEEEEEvT0_T1_jPSH_T2_SH_,comdat
	.protected	_ZN7rocprim17ROCPRIM_304000_NS6detail45device_block_merge_mergepath_partition_kernelINS1_37wrapped_merge_sort_block_merge_configINS0_14default_configEbN2at4cuda3cub6detail10OpaqueTypeILi8EEEEEPbjNS1_19radix_merge_compareILb1ELb1EbNS0_19identity_decomposerEEEEEvT0_T1_jPSH_T2_SH_ ; -- Begin function _ZN7rocprim17ROCPRIM_304000_NS6detail45device_block_merge_mergepath_partition_kernelINS1_37wrapped_merge_sort_block_merge_configINS0_14default_configEbN2at4cuda3cub6detail10OpaqueTypeILi8EEEEEPbjNS1_19radix_merge_compareILb1ELb1EbNS0_19identity_decomposerEEEEEvT0_T1_jPSH_T2_SH_
	.globl	_ZN7rocprim17ROCPRIM_304000_NS6detail45device_block_merge_mergepath_partition_kernelINS1_37wrapped_merge_sort_block_merge_configINS0_14default_configEbN2at4cuda3cub6detail10OpaqueTypeILi8EEEEEPbjNS1_19radix_merge_compareILb1ELb1EbNS0_19identity_decomposerEEEEEvT0_T1_jPSH_T2_SH_
	.p2align	8
	.type	_ZN7rocprim17ROCPRIM_304000_NS6detail45device_block_merge_mergepath_partition_kernelINS1_37wrapped_merge_sort_block_merge_configINS0_14default_configEbN2at4cuda3cub6detail10OpaqueTypeILi8EEEEEPbjNS1_19radix_merge_compareILb1ELb1EbNS0_19identity_decomposerEEEEEvT0_T1_jPSH_T2_SH_,@function
_ZN7rocprim17ROCPRIM_304000_NS6detail45device_block_merge_mergepath_partition_kernelINS1_37wrapped_merge_sort_block_merge_configINS0_14default_configEbN2at4cuda3cub6detail10OpaqueTypeILi8EEEEEPbjNS1_19radix_merge_compareILb1ELb1EbNS0_19identity_decomposerEEEEEvT0_T1_jPSH_T2_SH_: ; @_ZN7rocprim17ROCPRIM_304000_NS6detail45device_block_merge_mergepath_partition_kernelINS1_37wrapped_merge_sort_block_merge_configINS0_14default_configEbN2at4cuda3cub6detail10OpaqueTypeILi8EEEEEPbjNS1_19radix_merge_compareILb1ELb1EbNS0_19identity_decomposerEEEEEvT0_T1_jPSH_T2_SH_
; %bb.0:
	s_load_b64 s[4:5], s[0:1], 0x8
	v_lshl_or_b32 v0, s15, 7, v0
	s_mov_b32 s2, exec_lo
	s_waitcnt lgkmcnt(0)
	s_delay_alu instid0(VALU_DEP_1)
	v_cmpx_gt_u32_e64 s5, v0
	s_cbranch_execz .LBB164_6
; %bb.1:
	s_load_b64 s[2:3], s[0:1], 0x18
	s_waitcnt lgkmcnt(0)
	s_lshr_b32 s5, s3, 9
	s_delay_alu instid0(SALU_CYCLE_1) | instskip(NEXT) | instid1(SALU_CYCLE_1)
	s_and_b32 s5, s5, 0x7ffffe
	s_sub_i32 s6, 0, s5
	s_add_i32 s5, s5, -1
	v_and_b32_e32 v1, s6, v0
	v_and_b32_e32 v4, s5, v0
	s_delay_alu instid0(VALU_DEP_2) | instskip(NEXT) | instid1(VALU_DEP_1)
	v_lshlrev_b32_e32 v1, 10, v1
	v_add_nc_u32_e32 v2, s3, v1
	s_delay_alu instid0(VALU_DEP_1) | instskip(SKIP_1) | instid1(VALU_DEP_2)
	v_min_u32_e32 v7, s4, v2
	v_min_u32_e32 v2, s4, v1
	v_add_nc_u32_e32 v3, s3, v7
	s_mov_b32 s3, exec_lo
	s_delay_alu instid0(VALU_DEP_1) | instskip(SKIP_1) | instid1(VALU_DEP_2)
	v_min_u32_e32 v1, s4, v3
	v_lshlrev_b32_e32 v3, 10, v4
	v_sub_nc_u32_e32 v4, v1, v2
	v_sub_nc_u32_e32 v5, v1, v7
	s_delay_alu instid0(VALU_DEP_2) | instskip(SKIP_1) | instid1(VALU_DEP_2)
	v_min_u32_e32 v1, v4, v3
	v_sub_nc_u32_e32 v4, v7, v2
	v_sub_nc_u32_e64 v3, v1, v5 clamp
	s_delay_alu instid0(VALU_DEP_2) | instskip(NEXT) | instid1(VALU_DEP_1)
	v_min_u32_e32 v4, v1, v4
	v_cmpx_lt_u32_e64 v3, v4
	s_cbranch_execz .LBB164_5
; %bb.2:
	s_load_b64 s[4:5], s[0:1], 0x0
	v_and_b32_e64 v9, s2, 1
	s_mov_b32 s2, 0
	s_waitcnt lgkmcnt(0)
	v_add_co_u32 v5, s6, s4, v2
	v_add_co_u32 v7, s4, s4, v7
	v_add_co_ci_u32_e64 v6, null, s5, 0, s6
	v_add_co_ci_u32_e64 v8, null, s5, 0, s4
	.p2align	6
.LBB164_3:                              ; =>This Inner Loop Header: Depth=1
	v_add_nc_u32_e32 v10, v4, v3
	s_delay_alu instid0(VALU_DEP_1) | instskip(NEXT) | instid1(VALU_DEP_1)
	v_lshrrev_b32_e32 v14, 1, v10
	v_xad_u32 v12, v14, -1, v1
	v_add_co_u32 v10, vcc_lo, v5, v14
	v_add_co_ci_u32_e32 v11, vcc_lo, 0, v6, vcc_lo
	s_delay_alu instid0(VALU_DEP_3)
	v_add_co_u32 v12, vcc_lo, v7, v12
	v_add_co_ci_u32_e32 v13, vcc_lo, 0, v8, vcc_lo
	s_clause 0x1
	global_load_u8 v10, v[10:11], off
	global_load_u8 v11, v[12:13], off
	v_add_nc_u32_e32 v12, 1, v14
	s_waitcnt vmcnt(1)
	v_and_b32_e32 v10, v10, v9
	s_waitcnt vmcnt(0)
	v_and_b32_e32 v11, v11, v9
	s_delay_alu instid0(VALU_DEP_1) | instskip(SKIP_2) | instid1(VALU_DEP_1)
	v_cmp_gt_u16_e32 vcc_lo, v11, v10
	v_cndmask_b32_e32 v4, v4, v14, vcc_lo
	v_cndmask_b32_e32 v3, v12, v3, vcc_lo
	v_cmp_ge_u32_e32 vcc_lo, v3, v4
	s_or_b32 s2, vcc_lo, s2
	s_delay_alu instid0(SALU_CYCLE_1)
	s_and_not1_b32 exec_lo, exec_lo, s2
	s_cbranch_execnz .LBB164_3
; %bb.4:
	s_or_b32 exec_lo, exec_lo, s2
.LBB164_5:
	s_delay_alu instid0(SALU_CYCLE_1) | instskip(SKIP_2) | instid1(VALU_DEP_1)
	s_or_b32 exec_lo, exec_lo, s3
	s_load_b64 s[0:1], s[0:1], 0x10
	v_dual_mov_b32 v1, 0 :: v_dual_add_nc_u32 v2, v3, v2
	v_lshlrev_b64 v[0:1], 2, v[0:1]
	s_waitcnt lgkmcnt(0)
	s_delay_alu instid0(VALU_DEP_1) | instskip(NEXT) | instid1(VALU_DEP_2)
	v_add_co_u32 v0, vcc_lo, s0, v0
	v_add_co_ci_u32_e32 v1, vcc_lo, s1, v1, vcc_lo
	global_store_b32 v[0:1], v2, off
.LBB164_6:
	s_nop 0
	s_sendmsg sendmsg(MSG_DEALLOC_VGPRS)
	s_endpgm
	.section	.rodata,"a",@progbits
	.p2align	6, 0x0
	.amdhsa_kernel _ZN7rocprim17ROCPRIM_304000_NS6detail45device_block_merge_mergepath_partition_kernelINS1_37wrapped_merge_sort_block_merge_configINS0_14default_configEbN2at4cuda3cub6detail10OpaqueTypeILi8EEEEEPbjNS1_19radix_merge_compareILb1ELb1EbNS0_19identity_decomposerEEEEEvT0_T1_jPSH_T2_SH_
		.amdhsa_group_segment_fixed_size 0
		.amdhsa_private_segment_fixed_size 0
		.amdhsa_kernarg_size 32
		.amdhsa_user_sgpr_count 15
		.amdhsa_user_sgpr_dispatch_ptr 0
		.amdhsa_user_sgpr_queue_ptr 0
		.amdhsa_user_sgpr_kernarg_segment_ptr 1
		.amdhsa_user_sgpr_dispatch_id 0
		.amdhsa_user_sgpr_private_segment_size 0
		.amdhsa_wavefront_size32 1
		.amdhsa_uses_dynamic_stack 0
		.amdhsa_enable_private_segment 0
		.amdhsa_system_sgpr_workgroup_id_x 1
		.amdhsa_system_sgpr_workgroup_id_y 0
		.amdhsa_system_sgpr_workgroup_id_z 0
		.amdhsa_system_sgpr_workgroup_info 0
		.amdhsa_system_vgpr_workitem_id 0
		.amdhsa_next_free_vgpr 15
		.amdhsa_next_free_sgpr 16
		.amdhsa_reserve_vcc 1
		.amdhsa_float_round_mode_32 0
		.amdhsa_float_round_mode_16_64 0
		.amdhsa_float_denorm_mode_32 3
		.amdhsa_float_denorm_mode_16_64 3
		.amdhsa_dx10_clamp 1
		.amdhsa_ieee_mode 1
		.amdhsa_fp16_overflow 0
		.amdhsa_workgroup_processor_mode 1
		.amdhsa_memory_ordered 1
		.amdhsa_forward_progress 0
		.amdhsa_shared_vgpr_count 0
		.amdhsa_exception_fp_ieee_invalid_op 0
		.amdhsa_exception_fp_denorm_src 0
		.amdhsa_exception_fp_ieee_div_zero 0
		.amdhsa_exception_fp_ieee_overflow 0
		.amdhsa_exception_fp_ieee_underflow 0
		.amdhsa_exception_fp_ieee_inexact 0
		.amdhsa_exception_int_div_zero 0
	.end_amdhsa_kernel
	.section	.text._ZN7rocprim17ROCPRIM_304000_NS6detail45device_block_merge_mergepath_partition_kernelINS1_37wrapped_merge_sort_block_merge_configINS0_14default_configEbN2at4cuda3cub6detail10OpaqueTypeILi8EEEEEPbjNS1_19radix_merge_compareILb1ELb1EbNS0_19identity_decomposerEEEEEvT0_T1_jPSH_T2_SH_,"axG",@progbits,_ZN7rocprim17ROCPRIM_304000_NS6detail45device_block_merge_mergepath_partition_kernelINS1_37wrapped_merge_sort_block_merge_configINS0_14default_configEbN2at4cuda3cub6detail10OpaqueTypeILi8EEEEEPbjNS1_19radix_merge_compareILb1ELb1EbNS0_19identity_decomposerEEEEEvT0_T1_jPSH_T2_SH_,comdat
.Lfunc_end164:
	.size	_ZN7rocprim17ROCPRIM_304000_NS6detail45device_block_merge_mergepath_partition_kernelINS1_37wrapped_merge_sort_block_merge_configINS0_14default_configEbN2at4cuda3cub6detail10OpaqueTypeILi8EEEEEPbjNS1_19radix_merge_compareILb1ELb1EbNS0_19identity_decomposerEEEEEvT0_T1_jPSH_T2_SH_, .Lfunc_end164-_ZN7rocprim17ROCPRIM_304000_NS6detail45device_block_merge_mergepath_partition_kernelINS1_37wrapped_merge_sort_block_merge_configINS0_14default_configEbN2at4cuda3cub6detail10OpaqueTypeILi8EEEEEPbjNS1_19radix_merge_compareILb1ELb1EbNS0_19identity_decomposerEEEEEvT0_T1_jPSH_T2_SH_
                                        ; -- End function
	.section	.AMDGPU.csdata,"",@progbits
; Kernel info:
; codeLenInByte = 432
; NumSgprs: 18
; NumVgprs: 15
; ScratchSize: 0
; MemoryBound: 0
; FloatMode: 240
; IeeeMode: 1
; LDSByteSize: 0 bytes/workgroup (compile time only)
; SGPRBlocks: 2
; VGPRBlocks: 1
; NumSGPRsForWavesPerEU: 18
; NumVGPRsForWavesPerEU: 15
; Occupancy: 16
; WaveLimiterHint : 0
; COMPUTE_PGM_RSRC2:SCRATCH_EN: 0
; COMPUTE_PGM_RSRC2:USER_SGPR: 15
; COMPUTE_PGM_RSRC2:TRAP_HANDLER: 0
; COMPUTE_PGM_RSRC2:TGID_X_EN: 1
; COMPUTE_PGM_RSRC2:TGID_Y_EN: 0
; COMPUTE_PGM_RSRC2:TGID_Z_EN: 0
; COMPUTE_PGM_RSRC2:TIDIG_COMP_CNT: 0
	.section	.text._ZN7rocprim17ROCPRIM_304000_NS6detail35device_block_merge_mergepath_kernelINS1_37wrapped_merge_sort_block_merge_configINS0_14default_configEbN2at4cuda3cub6detail10OpaqueTypeILi8EEEEEPbSC_PSA_SD_jNS1_19radix_merge_compareILb1ELb1EbNS0_19identity_decomposerEEEEEvT0_T1_T2_T3_T4_SL_jT5_PKSL_NS1_7vsmem_tE,"axG",@progbits,_ZN7rocprim17ROCPRIM_304000_NS6detail35device_block_merge_mergepath_kernelINS1_37wrapped_merge_sort_block_merge_configINS0_14default_configEbN2at4cuda3cub6detail10OpaqueTypeILi8EEEEEPbSC_PSA_SD_jNS1_19radix_merge_compareILb1ELb1EbNS0_19identity_decomposerEEEEEvT0_T1_T2_T3_T4_SL_jT5_PKSL_NS1_7vsmem_tE,comdat
	.protected	_ZN7rocprim17ROCPRIM_304000_NS6detail35device_block_merge_mergepath_kernelINS1_37wrapped_merge_sort_block_merge_configINS0_14default_configEbN2at4cuda3cub6detail10OpaqueTypeILi8EEEEEPbSC_PSA_SD_jNS1_19radix_merge_compareILb1ELb1EbNS0_19identity_decomposerEEEEEvT0_T1_T2_T3_T4_SL_jT5_PKSL_NS1_7vsmem_tE ; -- Begin function _ZN7rocprim17ROCPRIM_304000_NS6detail35device_block_merge_mergepath_kernelINS1_37wrapped_merge_sort_block_merge_configINS0_14default_configEbN2at4cuda3cub6detail10OpaqueTypeILi8EEEEEPbSC_PSA_SD_jNS1_19radix_merge_compareILb1ELb1EbNS0_19identity_decomposerEEEEEvT0_T1_T2_T3_T4_SL_jT5_PKSL_NS1_7vsmem_tE
	.globl	_ZN7rocprim17ROCPRIM_304000_NS6detail35device_block_merge_mergepath_kernelINS1_37wrapped_merge_sort_block_merge_configINS0_14default_configEbN2at4cuda3cub6detail10OpaqueTypeILi8EEEEEPbSC_PSA_SD_jNS1_19radix_merge_compareILb1ELb1EbNS0_19identity_decomposerEEEEEvT0_T1_T2_T3_T4_SL_jT5_PKSL_NS1_7vsmem_tE
	.p2align	8
	.type	_ZN7rocprim17ROCPRIM_304000_NS6detail35device_block_merge_mergepath_kernelINS1_37wrapped_merge_sort_block_merge_configINS0_14default_configEbN2at4cuda3cub6detail10OpaqueTypeILi8EEEEEPbSC_PSA_SD_jNS1_19radix_merge_compareILb1ELb1EbNS0_19identity_decomposerEEEEEvT0_T1_T2_T3_T4_SL_jT5_PKSL_NS1_7vsmem_tE,@function
_ZN7rocprim17ROCPRIM_304000_NS6detail35device_block_merge_mergepath_kernelINS1_37wrapped_merge_sort_block_merge_configINS0_14default_configEbN2at4cuda3cub6detail10OpaqueTypeILi8EEEEEPbSC_PSA_SD_jNS1_19radix_merge_compareILb1ELb1EbNS0_19identity_decomposerEEEEEvT0_T1_T2_T3_T4_SL_jT5_PKSL_NS1_7vsmem_tE: ; @_ZN7rocprim17ROCPRIM_304000_NS6detail35device_block_merge_mergepath_kernelINS1_37wrapped_merge_sort_block_merge_configINS0_14default_configEbN2at4cuda3cub6detail10OpaqueTypeILi8EEEEEPbSC_PSA_SD_jNS1_19radix_merge_compareILb1ELb1EbNS0_19identity_decomposerEEEEEvT0_T1_T2_T3_T4_SL_jT5_PKSL_NS1_7vsmem_tE
; %bb.0:
	s_clause 0x1
	s_load_b64 s[22:23], s[0:1], 0x40
	s_load_b128 s[16:19], s[0:1], 0x20
	s_add_u32 s20, s0, 64
	s_addc_u32 s21, s1, 0
	s_waitcnt lgkmcnt(0)
	s_mul_i32 s2, s23, s15
	s_delay_alu instid0(SALU_CYCLE_1) | instskip(NEXT) | instid1(SALU_CYCLE_1)
	s_add_i32 s2, s2, s14
	s_mul_i32 s2, s2, s22
	s_delay_alu instid0(SALU_CYCLE_1) | instskip(NEXT) | instid1(SALU_CYCLE_1)
	s_add_i32 s2, s2, s13
	s_cmp_ge_u32 s2, s18
	s_cbranch_scc1 .LBB165_53
; %bb.1:
	v_mov_b32_e32 v1, 0
	s_load_b64 s[4:5], s[0:1], 0x30
	s_lshr_b32 s26, s16, 10
	s_mov_b32 s15, 0
	s_cmp_lg_u32 s2, s26
	global_load_b32 v2, v1, s[20:21] offset:14
	s_mov_b32 s3, s15
	s_cselect_b32 s18, -1, 0
	s_lshl_b64 s[6:7], s[2:3], 2
	s_waitcnt lgkmcnt(0)
	s_add_u32 s4, s4, s6
	s_addc_u32 s5, s5, s7
	s_lshr_b32 s3, s17, 9
	s_load_b64 s[24:25], s[4:5], 0x0
	s_and_b32 s3, s3, 0x7ffffe
	s_load_b256 s[4:11], s[0:1], 0x0
	s_sub_i32 s0, 0, s3
	s_lshl_b32 s3, s2, 10
	s_and_b32 s1, s2, s0
	s_or_b32 s0, s2, s0
	s_lshl_b32 s12, s1, 11
	s_lshl_b32 s1, s1, 10
	s_add_i32 s12, s12, s17
	s_sub_i32 s14, s3, s1
	s_sub_i32 s1, s12, s1
	s_add_i32 s12, s12, s14
	s_min_u32 s14, s16, s1
	s_add_i32 s1, s1, s17
	s_waitcnt lgkmcnt(0)
	s_sub_i32 s17, s12, s24
	s_sub_i32 s23, s12, s25
	s_min_u32 s12, s16, s17
	s_addk_i32 s23, 0x400
	s_cmp_eq_u32 s0, -1
	s_cselect_b32 s0, s1, s23
	s_cselect_b32 s1, s14, s25
	s_min_u32 s0, s0, s16
	s_sub_i32 s17, s1, s24
	s_sub_i32 s23, s0, s12
	s_mov_b32 s14, s24
	s_add_u32 s24, s4, s24
	s_addc_u32 s25, s5, 0
	s_add_u32 s0, s4, s12
	s_addc_u32 s1, s5, 0
	s_cmp_lt_u32 s13, s22
	v_cmp_gt_u32_e32 vcc_lo, s17, v0
	s_cselect_b32 s4, 12, 18
	s_mov_b32 s13, s15
	s_add_u32 s4, s20, s4
	s_addc_u32 s5, s21, 0
	s_cmp_eq_u32 s2, s26
	s_waitcnt vmcnt(0)
	v_lshrrev_b32_e32 v3, 16, v2
	v_and_b32_e32 v2, 0xffff, v2
	global_load_u16 v1, v1, s[4:5]
	s_mov_b32 s5, -1
	v_mul_lo_u32 v2, v2, v3
	s_waitcnt vmcnt(0)
	s_delay_alu instid0(VALU_DEP_1) | instskip(NEXT) | instid1(VALU_DEP_1)
	v_mul_lo_u32 v2, v2, v1
	v_add_nc_u32_e32 v1, v2, v0
	s_cbranch_scc1 .LBB165_4
; %bb.2:
	v_cndmask_b32_e64 v3, s17, 0, vcc_lo
	v_dual_mov_b32 v4, s24 :: v_dual_mov_b32 v5, s25
	s_add_i32 s2, s23, s17
	s_delay_alu instid0(VALU_DEP_2) | instskip(NEXT) | instid1(VALU_DEP_2)
	v_sub_nc_u32_e32 v3, v0, v3
	v_cndmask_b32_e32 v4, s0, v4, vcc_lo
	s_delay_alu instid0(VALU_DEP_3) | instskip(SKIP_1) | instid1(VALU_DEP_2)
	v_dual_cndmask_b32 v5, s1, v5 :: v_dual_add_nc_u32 v2, v2, v0
	s_mov_b32 s4, -1
	v_add_co_u32 v3, vcc_lo, v4, v3
	s_delay_alu instid0(VALU_DEP_2)
	v_add_co_ci_u32_e32 v4, vcc_lo, 0, v5, vcc_lo
	global_load_u8 v5, v[3:4], off
	s_cbranch_execz .LBB165_5
.LBB165_3:
	v_dual_mov_b32 v1, v2 :: v_dual_mov_b32 v8, s2
                                        ; implicit-def: $vgpr7
	s_and_saveexec_b32 s5, s4
	s_cbranch_execnz .LBB165_8
	s_branch .LBB165_9
.LBB165_4:
	s_mov_b32 s4, s15
                                        ; implicit-def: $vgpr2
                                        ; implicit-def: $vgpr5
                                        ; implicit-def: $sgpr2
	s_and_not1_b32 vcc_lo, exec_lo, s5
	s_cbranch_vccnz .LBB165_3
.LBB165_5:
	s_add_i32 s2, s23, s17
	s_mov_b32 s4, exec_lo
                                        ; implicit-def: $vgpr5
	v_cmpx_gt_u32_e64 s2, v0
	s_cbranch_execz .LBB165_7
; %bb.6:
	v_dual_mov_b32 v2, s25 :: v_dual_mov_b32 v3, s24
	v_cmp_gt_u32_e32 vcc_lo, s17, v0
	s_delay_alu instid0(VALU_DEP_2) | instskip(SKIP_1) | instid1(VALU_DEP_4)
	v_cndmask_b32_e32 v4, s1, v2, vcc_lo
	v_cndmask_b32_e64 v2, s17, 0, vcc_lo
	v_cndmask_b32_e32 v3, s0, v3, vcc_lo
	s_delay_alu instid0(VALU_DEP_2) | instskip(NEXT) | instid1(VALU_DEP_1)
	v_sub_nc_u32_e32 v2, v0, v2
	v_add_co_u32 v2, vcc_lo, v3, v2
	v_add_co_ci_u32_e32 v3, vcc_lo, 0, v4, vcc_lo
	global_load_u8 v5, v[2:3], off
.LBB165_7:
	s_or_b32 exec_lo, exec_lo, s4
	v_cmp_gt_u32_e64 s4, s2, v1
	v_mov_b32_e32 v8, s2
                                        ; implicit-def: $vgpr7
	s_delay_alu instid0(VALU_DEP_2)
	s_and_saveexec_b32 s5, s4
	s_cbranch_execz .LBB165_9
.LBB165_8:
	s_delay_alu instid0(VALU_DEP_1) | instskip(SKIP_3) | instid1(VALU_DEP_1)
	v_cmp_gt_u32_e32 vcc_lo, s17, v1
	v_dual_mov_b32 v3, s24 :: v_dual_mov_b32 v4, s25
	v_mov_b32_e32 v8, s2
	v_cndmask_b32_e64 v2, s17, 0, vcc_lo
	v_sub_nc_u32_e32 v1, v1, v2
	s_delay_alu instid0(VALU_DEP_4) | instskip(SKIP_1) | instid1(VALU_DEP_2)
	v_cndmask_b32_e32 v2, s0, v3, vcc_lo
	v_cndmask_b32_e32 v3, s1, v4, vcc_lo
	v_add_co_u32 v1, vcc_lo, v2, v1
	s_delay_alu instid0(VALU_DEP_2)
	v_add_co_ci_u32_e32 v2, vcc_lo, 0, v3, vcc_lo
	global_load_u8 v7, v[1:2], off
.LBB165_9:
	s_or_b32 exec_lo, exec_lo, s5
	v_lshlrev_b32_e32 v6, 1, v0
	v_and_b32_e64 v2, s19, 1
	s_mov_b32 s0, exec_lo
	s_waitcnt vmcnt(0)
	ds_store_b8 v0, v5
	ds_store_b8 v0, v7 offset:512
	s_waitcnt lgkmcnt(0)
	v_min_u32_e32 v3, v8, v6
	s_barrier
	buffer_gl0_inv
	v_sub_nc_u32_e64 v1, v3, s23 clamp
	v_min_u32_e32 v4, s17, v3
	s_delay_alu instid0(VALU_DEP_1)
	v_cmpx_lt_u32_e64 v1, v4
	s_cbranch_execz .LBB165_13
; %bb.10:
	v_add_nc_u32_e32 v9, s17, v3
	s_mov_b32 s1, 0
	.p2align	6
.LBB165_11:                             ; =>This Inner Loop Header: Depth=1
	v_add_nc_u32_e32 v10, v4, v1
	s_delay_alu instid0(VALU_DEP_1) | instskip(NEXT) | instid1(VALU_DEP_1)
	v_lshrrev_b32_e32 v10, 1, v10
	v_xad_u32 v11, v10, -1, v9
	v_add_nc_u32_e32 v13, 1, v10
	ds_load_u8 v12, v10
	ds_load_u8 v11, v11
	s_waitcnt lgkmcnt(1)
	v_and_b32_e32 v12, v12, v2
	s_waitcnt lgkmcnt(0)
	v_and_b32_e32 v11, v11, v2
	s_delay_alu instid0(VALU_DEP_1) | instskip(SKIP_1) | instid1(VALU_DEP_1)
	v_cmp_gt_u16_e32 vcc_lo, v11, v12
	v_dual_cndmask_b32 v1, v13, v1 :: v_dual_cndmask_b32 v4, v4, v10
	v_cmp_ge_u32_e32 vcc_lo, v1, v4
	s_or_b32 s1, vcc_lo, s1
	s_delay_alu instid0(SALU_CYCLE_1)
	s_and_not1_b32 exec_lo, exec_lo, s1
	s_cbranch_execnz .LBB165_11
; %bb.12:
	s_or_b32 exec_lo, exec_lo, s1
.LBB165_13:
	s_delay_alu instid0(SALU_CYCLE_1) | instskip(SKIP_2) | instid1(VALU_DEP_2)
	s_or_b32 exec_lo, exec_lo, s0
	v_sub_nc_u32_e32 v3, v3, v1
	v_cmp_ge_u32_e32 vcc_lo, s17, v1
                                        ; implicit-def: $vgpr10
                                        ; implicit-def: $vgpr11
	v_add_nc_u32_e32 v3, s17, v3
	s_delay_alu instid0(VALU_DEP_1) | instskip(NEXT) | instid1(VALU_DEP_1)
	v_cmp_le_u32_e64 s0, v3, v8
	s_or_b32 s0, vcc_lo, s0
	s_delay_alu instid0(SALU_CYCLE_1)
	s_and_saveexec_b32 s4, s0
	s_cbranch_execz .LBB165_19
; %bb.14:
	v_cmp_gt_u32_e32 vcc_lo, s17, v1
                                        ; implicit-def: $vgpr4
	s_and_saveexec_b32 s0, vcc_lo
	s_cbranch_execz .LBB165_16
; %bb.15:
	ds_load_u8 v4, v1
.LBB165_16:
	s_or_b32 exec_lo, exec_lo, s0
	v_cmp_ge_u32_e64 s0, v3, v8
	s_mov_b32 s2, exec_lo
                                        ; implicit-def: $vgpr5
	v_cmpx_lt_u32_e64 v3, v8
	s_cbranch_execz .LBB165_18
; %bb.17:
	ds_load_u8 v5, v3
.LBB165_18:
	s_or_b32 exec_lo, exec_lo, s2
	s_waitcnt lgkmcnt(0)
	v_and_b32_e32 v7, v5, v2
	v_and_b32_e32 v9, v4, v2
	s_delay_alu instid0(VALU_DEP_2) | instskip(NEXT) | instid1(VALU_DEP_2)
	v_and_b32_e32 v7, 0xff, v7
	v_and_b32_e32 v9, 0xff, v9
	s_delay_alu instid0(VALU_DEP_1) | instskip(NEXT) | instid1(VALU_DEP_1)
	v_cmp_le_u16_e64 s1, v7, v9
	s_and_b32 s1, vcc_lo, s1
	s_delay_alu instid0(SALU_CYCLE_1) | instskip(SKIP_2) | instid1(VALU_DEP_2)
	s_or_b32 vcc_lo, s0, s1
	v_cndmask_b32_e32 v11, v3, v1, vcc_lo
	v_cndmask_b32_e64 v7, v8, s17, vcc_lo
	v_add_nc_u32_e32 v9, 1, v11
	s_delay_alu instid0(VALU_DEP_2) | instskip(NEXT) | instid1(VALU_DEP_2)
	v_add_nc_u32_e32 v7, -1, v7
	v_cndmask_b32_e32 v1, v1, v9, vcc_lo
	s_delay_alu instid0(VALU_DEP_2) | instskip(SKIP_1) | instid1(VALU_DEP_3)
	v_min_u32_e32 v7, v9, v7
	v_cndmask_b32_e32 v3, v9, v3, vcc_lo
	v_cmp_gt_u32_e64 s0, s17, v1
	ds_load_u8 v7, v7
	v_cmp_ge_u32_e64 s2, v3, v8
	s_waitcnt lgkmcnt(0)
	v_dual_cndmask_b32 v12, v7, v5 :: v_dual_cndmask_b32 v5, v5, v4
	s_delay_alu instid0(VALU_DEP_1) | instskip(NEXT) | instid1(VALU_DEP_1)
	v_and_b32_e32 v10, v12, v2
	v_dual_cndmask_b32 v7, v4, v7 :: v_dual_and_b32 v10, 0xff, v10
	s_delay_alu instid0(VALU_DEP_1) | instskip(NEXT) | instid1(VALU_DEP_1)
	v_and_b32_e32 v2, v7, v2
	v_and_b32_e32 v2, 0xff, v2
	s_delay_alu instid0(VALU_DEP_1) | instskip(NEXT) | instid1(VALU_DEP_1)
	v_cmp_le_u16_e64 s1, v10, v2
	s_and_b32 s0, s0, s1
	s_delay_alu instid0(SALU_CYCLE_1)
	s_or_b32 vcc_lo, s2, s0
	v_dual_cndmask_b32 v10, v3, v1 :: v_dual_cndmask_b32 v7, v12, v7
.LBB165_19:
	s_or_b32 exec_lo, exec_lo, s4
	s_lshl_b64 s[0:1], s[14:15], 3
	v_or_b32_e32 v9, 0x200, v0
	s_add_u32 s2, s8, s0
	s_addc_u32 s4, s9, s1
	s_lshl_b64 s[12:13], s[12:13], 3
	v_cmp_gt_u32_e64 s1, s17, v0
	v_cmp_le_u32_e64 s0, s17, v0
	s_add_u32 s8, s8, s12
	s_mov_b32 s5, 0
	s_addc_u32 s9, s9, s13
	s_and_not1_b32 vcc_lo, exec_lo, s18
	s_barrier
	buffer_gl0_inv
	s_cbranch_vccnz .LBB165_21
; %bb.20:
	v_subrev_nc_u32_e32 v1, s17, v0
	v_mov_b32_e32 v2, 0
	v_lshlrev_b32_e32 v14, 3, v0
	s_delay_alu instid0(VALU_DEP_2) | instskip(NEXT) | instid1(VALU_DEP_2)
	v_lshlrev_b64 v[3:4], 3, v[1:2]
	v_add_co_u32 v15, s5, s2, v14
	s_delay_alu instid0(VALU_DEP_1) | instskip(SKIP_1) | instid1(VALU_DEP_3)
	v_add_co_ci_u32_e64 v16, null, s4, 0, s5
	s_mov_b32 s5, -1
	v_add_co_u32 v1, vcc_lo, s8, v3
	s_delay_alu instid0(VALU_DEP_4) | instskip(NEXT) | instid1(VALU_DEP_1)
	v_add_co_ci_u32_e32 v3, vcc_lo, s9, v4, vcc_lo
	v_cndmask_b32_e64 v4, v3, v16, s1
	s_delay_alu instid0(VALU_DEP_3)
	v_cndmask_b32_e64 v3, v1, v15, s1
	v_subrev_nc_u32_e32 v1, s17, v9
	global_load_b64 v[12:13], v[3:4], off
	v_lshlrev_b64 v[1:2], 3, v[1:2]
	v_add_co_u32 v3, vcc_lo, 0x1000, v15
	v_add_co_ci_u32_e32 v4, vcc_lo, 0, v16, vcc_lo
	s_delay_alu instid0(VALU_DEP_3) | instskip(NEXT) | instid1(VALU_DEP_4)
	v_add_co_u32 v1, vcc_lo, s8, v1
	v_add_co_ci_u32_e32 v2, vcc_lo, s9, v2, vcc_lo
	v_cmp_gt_u32_e32 vcc_lo, s17, v9
	s_delay_alu instid0(VALU_DEP_2)
	v_dual_cndmask_b32 v1, v1, v3 :: v_dual_cndmask_b32 v2, v2, v4
	v_or_b32_e32 v4, 0x1000, v14
	s_waitcnt vmcnt(0)
	ds_store_b64 v14, v[12:13]
	s_cbranch_execz .LBB165_22
	s_branch .LBB165_33
.LBB165_21:
                                        ; implicit-def: $vgpr4
                                        ; implicit-def: $vgpr1_vgpr2
.LBB165_22:
	s_mov_b32 s1, 0
                                        ; implicit-def: $vgpr1_vgpr2
	s_and_saveexec_b32 s12, s0
	s_delay_alu instid0(SALU_CYCLE_1)
	s_xor_b32 s0, exec_lo, s12
	s_cbranch_execnz .LBB165_54
; %bb.23:
	s_and_not1_saveexec_b32 s0, s0
	s_cbranch_execnz .LBB165_57
.LBB165_24:
	s_or_b32 exec_lo, exec_lo, s0
	s_and_saveexec_b32 s0, s1
	s_cbranch_execz .LBB165_26
.LBB165_25:
	global_load_b64 v[1:2], v[1:2], off
	v_mad_u32_u24 v3, v0, 7, v0
	s_waitcnt vmcnt(0)
	ds_store_b64 v3, v[1:2]
.LBB165_26:
	s_or_b32 exec_lo, exec_lo, s0
	s_delay_alu instid0(SALU_CYCLE_1)
	s_mov_b32 s0, exec_lo
                                        ; implicit-def: $vgpr4
                                        ; implicit-def: $vgpr1_vgpr2
	v_cmpx_le_u32_e64 s17, v9
	s_xor_b32 s0, exec_lo, s0
	s_cbranch_execz .LBB165_30
; %bb.27:
	v_subrev_nc_u32_e32 v3, s17, v9
	s_mov_b32 s12, s5
	s_mov_b32 s1, exec_lo
                                        ; implicit-def: $vgpr4
                                        ; implicit-def: $vgpr1_vgpr2
	s_delay_alu instid0(VALU_DEP_1)
	v_cmpx_gt_u32_e64 s23, v3
; %bb.28:
	v_mov_b32_e32 v4, 0
	v_mul_u32_u24_e32 v12, 7, v0
	s_or_b32 s12, s5, exec_lo
	s_delay_alu instid0(VALU_DEP_2) | instskip(NEXT) | instid1(VALU_DEP_2)
	v_lshlrev_b64 v[1:2], 3, v[3:4]
	v_add3_u32 v4, v0, v12, 0x1000
	s_delay_alu instid0(VALU_DEP_2) | instskip(NEXT) | instid1(VALU_DEP_3)
	v_add_co_u32 v1, vcc_lo, s8, v1
	v_add_co_ci_u32_e32 v2, vcc_lo, s9, v2, vcc_lo
; %bb.29:
	s_or_b32 exec_lo, exec_lo, s1
	s_delay_alu instid0(SALU_CYCLE_1) | instskip(SKIP_1) | instid1(SALU_CYCLE_1)
	s_and_not1_b32 s1, s5, exec_lo
	s_and_b32 s5, s12, exec_lo
	s_or_b32 s5, s1, s5
.LBB165_30:
	s_and_not1_saveexec_b32 s0, s0
; %bb.31:
	v_lshlrev_b32_e32 v1, 3, v9
	v_mul_u32_u24_e32 v3, 7, v0
	s_or_b32 s5, s5, exec_lo
	s_delay_alu instid0(VALU_DEP_2) | instskip(NEXT) | instid1(VALU_DEP_1)
	v_add_co_u32 v1, s1, s2, v1
	v_add_co_ci_u32_e64 v2, null, s4, 0, s1
	s_delay_alu instid0(VALU_DEP_3)
	v_add3_u32 v4, v0, v3, 0x1000
; %bb.32:
	s_or_b32 exec_lo, exec_lo, s0
.LBB165_33:
	s_and_saveexec_b32 s0, s5
	s_cbranch_execz .LBB165_35
; %bb.34:
	global_load_b64 v[1:2], v[1:2], off
	s_waitcnt vmcnt(0)
	ds_store_b64 v4, v[1:2]
.LBB165_35:
	s_or_b32 exec_lo, exec_lo, s0
	v_add_nc_u32_e32 v1, s3, v6
	s_and_not1_b32 vcc_lo, exec_lo, s18
	s_waitcnt lgkmcnt(0)
	s_barrier
	buffer_gl0_inv
	s_cbranch_vccnz .LBB165_37
; %bb.36:
	v_lshlrev_b32_e32 v2, 3, v11
	s_mov_b32 s0, -1
	ds_load_b64 v[3:4], v2
	v_mov_b32_e32 v2, 0
	s_delay_alu instid0(VALU_DEP_1) | instskip(NEXT) | instid1(VALU_DEP_1)
	v_lshlrev_b64 v[12:13], 3, v[1:2]
	v_add_co_u32 v12, vcc_lo, s10, v12
	s_delay_alu instid0(VALU_DEP_2)
	v_add_co_ci_u32_e32 v13, vcc_lo, s11, v13, vcc_lo
	s_waitcnt lgkmcnt(0)
	global_store_b64 v[12:13], v[3:4], off
	s_cbranch_execz .LBB165_38
	s_branch .LBB165_43
.LBB165_37:
	s_mov_b32 s0, 0
.LBB165_38:
	s_mov_b32 s1, exec_lo
	v_cmpx_lt_u32_e64 v6, v8
	s_cbranch_execz .LBB165_40
; %bb.39:
	v_lshlrev_b32_e32 v2, 3, v11
	ds_load_b64 v[3:4], v2
	v_mov_b32_e32 v2, 0
	s_delay_alu instid0(VALU_DEP_1) | instskip(NEXT) | instid1(VALU_DEP_1)
	v_lshlrev_b64 v[11:12], 3, v[1:2]
	v_add_co_u32 v11, vcc_lo, s10, v11
	s_delay_alu instid0(VALU_DEP_2)
	v_add_co_ci_u32_e32 v12, vcc_lo, s11, v12, vcc_lo
	s_waitcnt lgkmcnt(0)
	global_store_b64 v[11:12], v[3:4], off
.LBB165_40:
	s_or_b32 exec_lo, exec_lo, s1
	v_or_b32_e32 v2, 1, v6
	s_mov_b32 s1, exec_lo
	s_delay_alu instid0(VALU_DEP_1)
	v_cmpx_lt_u32_e64 v2, v8
; %bb.41:
	v_mov_b32_e32 v2, 0
	s_or_b32 s0, s0, exec_lo
; %bb.42:
	s_or_b32 exec_lo, exec_lo, s1
.LBB165_43:
	s_and_saveexec_b32 s1, s0
	s_cbranch_execz .LBB165_45
; %bb.44:
	v_lshlrev_b32_e32 v3, 3, v10
	v_lshlrev_b64 v[1:2], 3, v[1:2]
	ds_load_b64 v[3:4], v3
	v_add_co_u32 v1, vcc_lo, s10, v1
	v_add_co_ci_u32_e32 v2, vcc_lo, s11, v2, vcc_lo
	s_waitcnt lgkmcnt(0)
	global_store_b64 v[1:2], v[3:4], off offset:8
.LBB165_45:
	s_or_b32 exec_lo, exec_lo, s1
	v_lshrrev_b32_e32 v1, 4, v0
	v_and_b32_e32 v2, 0xff, v5
	v_lshlrev_b16 v3, 8, v7
	v_lshrrev_b32_e32 v4, 5, v9
	s_add_u32 s1, s6, s3
	v_and_b32_e32 v1, 28, v1
	s_waitcnt_vscnt null, 0x0
	v_or_b32_e32 v2, v2, v3
	v_lshrrev_b32_e32 v3, 5, v0
	v_and_b32_e32 v4, 28, v4
	v_add_nc_u32_e32 v1, v1, v6
	s_barrier
	buffer_gl0_inv
	s_barrier
	buffer_gl0_inv
	s_addc_u32 s2, s7, 0
	ds_store_b16 v1, v2
	v_add_co_u32 v1, s1, s1, v0
	v_and_b32_e32 v3, 12, v3
	v_add_co_ci_u32_e64 v2, null, s2, 0, s1
	v_add_nc_u32_e32 v5, v0, v4
	s_mov_b32 s0, 0
	s_and_b32 vcc_lo, exec_lo, s18
	s_waitcnt lgkmcnt(0)
	s_cbranch_vccz .LBB165_47
; %bb.46:
	v_add_nc_u32_e32 v4, v0, v3
	s_barrier
	buffer_gl0_inv
	s_mov_b32 s0, -1
	ds_load_u8 v6, v4
	ds_load_u8 v4, v5 offset:512
	s_waitcnt lgkmcnt(1)
	global_store_b8 v[1:2], v6, off
	s_cbranch_execz .LBB165_48
	s_branch .LBB165_51
.LBB165_47:
                                        ; implicit-def: $vgpr4
.LBB165_48:
	s_waitcnt lgkmcnt(0)
	s_waitcnt_vscnt null, 0x0
	s_barrier
	buffer_gl0_inv
	ds_load_u8 v4, v5 offset:512
	s_sub_i32 s0, s16, s3
	s_mov_b32 s1, exec_lo
	v_cmpx_gt_u32_e64 s0, v0
	s_cbranch_execz .LBB165_50
; %bb.49:
	v_add_nc_u32_e32 v0, v0, v3
	ds_load_u8 v0, v0
	s_waitcnt lgkmcnt(0)
	global_store_b8 v[1:2], v0, off
.LBB165_50:
	s_or_b32 exec_lo, exec_lo, s1
	v_cmp_gt_u32_e64 s0, s0, v9
.LBB165_51:
	s_delay_alu instid0(VALU_DEP_1)
	s_and_saveexec_b32 s1, s0
	s_cbranch_execz .LBB165_53
; %bb.52:
	s_waitcnt lgkmcnt(0)
	global_store_b8 v[1:2], v4, off offset:512
.LBB165_53:
	s_nop 0
	s_sendmsg sendmsg(MSG_DEALLOC_VGPRS)
	s_endpgm
.LBB165_54:
	v_subrev_nc_u32_e32 v3, s17, v0
	s_mov_b32 s12, exec_lo
                                        ; implicit-def: $vgpr1_vgpr2
	s_delay_alu instid0(VALU_DEP_1)
	v_cmpx_gt_u32_e64 s23, v3
	s_xor_b32 s12, exec_lo, s12
; %bb.55:
	v_mov_b32_e32 v4, 0
	s_mov_b32 s1, exec_lo
	s_delay_alu instid0(VALU_DEP_1) | instskip(NEXT) | instid1(VALU_DEP_1)
	v_lshlrev_b64 v[1:2], 3, v[3:4]
	v_add_co_u32 v1, vcc_lo, s8, v1
	s_delay_alu instid0(VALU_DEP_2)
	v_add_co_ci_u32_e32 v2, vcc_lo, s9, v2, vcc_lo
; %bb.56:
	s_or_b32 exec_lo, exec_lo, s12
	s_delay_alu instid0(SALU_CYCLE_1)
	s_and_b32 s1, s1, exec_lo
	s_and_not1_saveexec_b32 s0, s0
	s_cbranch_execz .LBB165_24
.LBB165_57:
	v_lshlrev_b32_e32 v1, 3, v0
	s_or_b32 s1, s1, exec_lo
	s_delay_alu instid0(VALU_DEP_1) | instskip(NEXT) | instid1(VALU_DEP_1)
	v_add_co_u32 v1, s12, s2, v1
	v_add_co_ci_u32_e64 v2, null, s4, 0, s12
	s_or_b32 exec_lo, exec_lo, s0
	s_and_saveexec_b32 s0, s1
	s_cbranch_execnz .LBB165_25
	s_branch .LBB165_26
	.section	.rodata,"a",@progbits
	.p2align	6, 0x0
	.amdhsa_kernel _ZN7rocprim17ROCPRIM_304000_NS6detail35device_block_merge_mergepath_kernelINS1_37wrapped_merge_sort_block_merge_configINS0_14default_configEbN2at4cuda3cub6detail10OpaqueTypeILi8EEEEEPbSC_PSA_SD_jNS1_19radix_merge_compareILb1ELb1EbNS0_19identity_decomposerEEEEEvT0_T1_T2_T3_T4_SL_jT5_PKSL_NS1_7vsmem_tE
		.amdhsa_group_segment_fixed_size 8208
		.amdhsa_private_segment_fixed_size 0
		.amdhsa_kernarg_size 320
		.amdhsa_user_sgpr_count 13
		.amdhsa_user_sgpr_dispatch_ptr 0
		.amdhsa_user_sgpr_queue_ptr 0
		.amdhsa_user_sgpr_kernarg_segment_ptr 1
		.amdhsa_user_sgpr_dispatch_id 0
		.amdhsa_user_sgpr_private_segment_size 0
		.amdhsa_wavefront_size32 1
		.amdhsa_uses_dynamic_stack 0
		.amdhsa_enable_private_segment 0
		.amdhsa_system_sgpr_workgroup_id_x 1
		.amdhsa_system_sgpr_workgroup_id_y 1
		.amdhsa_system_sgpr_workgroup_id_z 1
		.amdhsa_system_sgpr_workgroup_info 0
		.amdhsa_system_vgpr_workitem_id 0
		.amdhsa_next_free_vgpr 17
		.amdhsa_next_free_sgpr 27
		.amdhsa_reserve_vcc 1
		.amdhsa_float_round_mode_32 0
		.amdhsa_float_round_mode_16_64 0
		.amdhsa_float_denorm_mode_32 3
		.amdhsa_float_denorm_mode_16_64 3
		.amdhsa_dx10_clamp 1
		.amdhsa_ieee_mode 1
		.amdhsa_fp16_overflow 0
		.amdhsa_workgroup_processor_mode 1
		.amdhsa_memory_ordered 1
		.amdhsa_forward_progress 0
		.amdhsa_shared_vgpr_count 0
		.amdhsa_exception_fp_ieee_invalid_op 0
		.amdhsa_exception_fp_denorm_src 0
		.amdhsa_exception_fp_ieee_div_zero 0
		.amdhsa_exception_fp_ieee_overflow 0
		.amdhsa_exception_fp_ieee_underflow 0
		.amdhsa_exception_fp_ieee_inexact 0
		.amdhsa_exception_int_div_zero 0
	.end_amdhsa_kernel
	.section	.text._ZN7rocprim17ROCPRIM_304000_NS6detail35device_block_merge_mergepath_kernelINS1_37wrapped_merge_sort_block_merge_configINS0_14default_configEbN2at4cuda3cub6detail10OpaqueTypeILi8EEEEEPbSC_PSA_SD_jNS1_19radix_merge_compareILb1ELb1EbNS0_19identity_decomposerEEEEEvT0_T1_T2_T3_T4_SL_jT5_PKSL_NS1_7vsmem_tE,"axG",@progbits,_ZN7rocprim17ROCPRIM_304000_NS6detail35device_block_merge_mergepath_kernelINS1_37wrapped_merge_sort_block_merge_configINS0_14default_configEbN2at4cuda3cub6detail10OpaqueTypeILi8EEEEEPbSC_PSA_SD_jNS1_19radix_merge_compareILb1ELb1EbNS0_19identity_decomposerEEEEEvT0_T1_T2_T3_T4_SL_jT5_PKSL_NS1_7vsmem_tE,comdat
.Lfunc_end165:
	.size	_ZN7rocprim17ROCPRIM_304000_NS6detail35device_block_merge_mergepath_kernelINS1_37wrapped_merge_sort_block_merge_configINS0_14default_configEbN2at4cuda3cub6detail10OpaqueTypeILi8EEEEEPbSC_PSA_SD_jNS1_19radix_merge_compareILb1ELb1EbNS0_19identity_decomposerEEEEEvT0_T1_T2_T3_T4_SL_jT5_PKSL_NS1_7vsmem_tE, .Lfunc_end165-_ZN7rocprim17ROCPRIM_304000_NS6detail35device_block_merge_mergepath_kernelINS1_37wrapped_merge_sort_block_merge_configINS0_14default_configEbN2at4cuda3cub6detail10OpaqueTypeILi8EEEEEPbSC_PSA_SD_jNS1_19radix_merge_compareILb1ELb1EbNS0_19identity_decomposerEEEEEvT0_T1_T2_T3_T4_SL_jT5_PKSL_NS1_7vsmem_tE
                                        ; -- End function
	.section	.AMDGPU.csdata,"",@progbits
; Kernel info:
; codeLenInByte = 2360
; NumSgprs: 29
; NumVgprs: 17
; ScratchSize: 0
; MemoryBound: 1
; FloatMode: 240
; IeeeMode: 1
; LDSByteSize: 8208 bytes/workgroup (compile time only)
; SGPRBlocks: 3
; VGPRBlocks: 2
; NumSGPRsForWavesPerEU: 29
; NumVGPRsForWavesPerEU: 17
; Occupancy: 16
; WaveLimiterHint : 1
; COMPUTE_PGM_RSRC2:SCRATCH_EN: 0
; COMPUTE_PGM_RSRC2:USER_SGPR: 13
; COMPUTE_PGM_RSRC2:TRAP_HANDLER: 0
; COMPUTE_PGM_RSRC2:TGID_X_EN: 1
; COMPUTE_PGM_RSRC2:TGID_Y_EN: 1
; COMPUTE_PGM_RSRC2:TGID_Z_EN: 1
; COMPUTE_PGM_RSRC2:TIDIG_COMP_CNT: 0
	.section	.text._ZN7rocprim17ROCPRIM_304000_NS6detail33device_block_merge_oddeven_kernelINS1_37wrapped_merge_sort_block_merge_configINS0_14default_configEbN2at4cuda3cub6detail10OpaqueTypeILi8EEEEEPbSC_PSA_SD_jNS1_19radix_merge_compareILb1ELb1EbNS0_19identity_decomposerEEEEEvT0_T1_T2_T3_T4_SL_T5_,"axG",@progbits,_ZN7rocprim17ROCPRIM_304000_NS6detail33device_block_merge_oddeven_kernelINS1_37wrapped_merge_sort_block_merge_configINS0_14default_configEbN2at4cuda3cub6detail10OpaqueTypeILi8EEEEEPbSC_PSA_SD_jNS1_19radix_merge_compareILb1ELb1EbNS0_19identity_decomposerEEEEEvT0_T1_T2_T3_T4_SL_T5_,comdat
	.protected	_ZN7rocprim17ROCPRIM_304000_NS6detail33device_block_merge_oddeven_kernelINS1_37wrapped_merge_sort_block_merge_configINS0_14default_configEbN2at4cuda3cub6detail10OpaqueTypeILi8EEEEEPbSC_PSA_SD_jNS1_19radix_merge_compareILb1ELb1EbNS0_19identity_decomposerEEEEEvT0_T1_T2_T3_T4_SL_T5_ ; -- Begin function _ZN7rocprim17ROCPRIM_304000_NS6detail33device_block_merge_oddeven_kernelINS1_37wrapped_merge_sort_block_merge_configINS0_14default_configEbN2at4cuda3cub6detail10OpaqueTypeILi8EEEEEPbSC_PSA_SD_jNS1_19radix_merge_compareILb1ELb1EbNS0_19identity_decomposerEEEEEvT0_T1_T2_T3_T4_SL_T5_
	.globl	_ZN7rocprim17ROCPRIM_304000_NS6detail33device_block_merge_oddeven_kernelINS1_37wrapped_merge_sort_block_merge_configINS0_14default_configEbN2at4cuda3cub6detail10OpaqueTypeILi8EEEEEPbSC_PSA_SD_jNS1_19radix_merge_compareILb1ELb1EbNS0_19identity_decomposerEEEEEvT0_T1_T2_T3_T4_SL_T5_
	.p2align	8
	.type	_ZN7rocprim17ROCPRIM_304000_NS6detail33device_block_merge_oddeven_kernelINS1_37wrapped_merge_sort_block_merge_configINS0_14default_configEbN2at4cuda3cub6detail10OpaqueTypeILi8EEEEEPbSC_PSA_SD_jNS1_19radix_merge_compareILb1ELb1EbNS0_19identity_decomposerEEEEEvT0_T1_T2_T3_T4_SL_T5_,@function
_ZN7rocprim17ROCPRIM_304000_NS6detail33device_block_merge_oddeven_kernelINS1_37wrapped_merge_sort_block_merge_configINS0_14default_configEbN2at4cuda3cub6detail10OpaqueTypeILi8EEEEEPbSC_PSA_SD_jNS1_19radix_merge_compareILb1ELb1EbNS0_19identity_decomposerEEEEEvT0_T1_T2_T3_T4_SL_T5_: ; @_ZN7rocprim17ROCPRIM_304000_NS6detail33device_block_merge_oddeven_kernelINS1_37wrapped_merge_sort_block_merge_configINS0_14default_configEbN2at4cuda3cub6detail10OpaqueTypeILi8EEEEEPbSC_PSA_SD_jNS1_19radix_merge_compareILb1ELb1EbNS0_19identity_decomposerEEEEEvT0_T1_T2_T3_T4_SL_T5_
; %bb.0:
	s_load_b128 s[16:19], s[0:1], 0x20
	s_waitcnt lgkmcnt(0)
	s_lshr_b32 s2, s16, 8
	s_delay_alu instid0(SALU_CYCLE_1) | instskip(SKIP_4) | instid1(SALU_CYCLE_1)
	s_cmp_lg_u32 s15, s2
	s_cselect_b32 s4, -1, 0
	s_cmp_eq_u32 s15, s2
	s_cselect_b32 s3, -1, 0
	s_lshl_b32 s12, s15, 8
	s_sub_i32 s2, s16, s12
	s_delay_alu instid0(SALU_CYCLE_1) | instskip(NEXT) | instid1(VALU_DEP_1)
	v_cmp_gt_u32_e64 s2, s2, v0
	s_or_b32 s4, s4, s2
	s_delay_alu instid0(SALU_CYCLE_1)
	s_and_saveexec_b32 s5, s4
	s_cbranch_execz .LBB166_26
; %bb.1:
	s_load_b256 s[4:11], s[0:1], 0x0
	s_mov_b32 s13, 0
	v_lshlrev_b32_e32 v1, 3, v0
	v_add_nc_u32_e32 v5, s12, v0
	s_waitcnt lgkmcnt(0)
	s_add_u32 s0, s4, s12
	s_addc_u32 s1, s5, 0
	s_lshl_b64 s[20:21], s[12:13], 3
	s_delay_alu instid0(SALU_CYCLE_1) | instskip(SKIP_4) | instid1(SALU_CYCLE_1)
	s_add_u32 s8, s8, s20
	s_addc_u32 s9, s9, s21
	global_load_b64 v[1:2], v1, s[8:9]
	global_load_u8 v7, v0, s[0:1]
	s_lshr_b32 s0, s17, 8
	s_sub_i32 s1, 0, s0
	s_delay_alu instid0(SALU_CYCLE_1) | instskip(NEXT) | instid1(SALU_CYCLE_1)
	s_and_b32 s1, s15, s1
	s_and_b32 s0, s1, s0
	s_lshl_b32 s9, s1, 8
	s_sub_i32 s1, 0, s17
	s_cmp_eq_u32 s0, 0
	s_cselect_b32 s0, -1, 0
	s_delay_alu instid0(SALU_CYCLE_1) | instskip(SKIP_1) | instid1(SALU_CYCLE_1)
	s_and_b32 s8, s0, exec_lo
	s_cselect_b32 s1, s17, s1
	s_add_i32 s1, s1, s9
	s_delay_alu instid0(SALU_CYCLE_1)
	s_cmp_lt_u32 s1, s16
	s_cbranch_scc1 .LBB166_6
; %bb.2:
	s_and_b32 vcc_lo, exec_lo, s3
	s_cbranch_vccz .LBB166_7
; %bb.3:
	s_mov_b32 s8, 0
	s_mov_b32 s12, exec_lo
                                        ; implicit-def: $vgpr3_vgpr4
	v_cmpx_gt_u32_e64 s16, v5
	s_cbranch_execz .LBB166_5
; %bb.4:
	v_mov_b32_e32 v6, 0
	s_mov_b32 s13, exec_lo
	s_waitcnt vmcnt(0)
	global_store_b8 v5, v7, s[6:7]
	v_lshlrev_b64 v[3:4], 3, v[5:6]
	s_delay_alu instid0(VALU_DEP_1) | instskip(NEXT) | instid1(VALU_DEP_2)
	v_add_co_u32 v3, vcc_lo, s10, v3
	v_add_co_ci_u32_e32 v4, vcc_lo, s11, v4, vcc_lo
.LBB166_5:
	s_or_b32 exec_lo, exec_lo, s12
	s_delay_alu instid0(SALU_CYCLE_1)
	s_and_b32 vcc_lo, exec_lo, s8
	s_cbranch_vccnz .LBB166_8
	s_branch .LBB166_9
.LBB166_6:
                                        ; implicit-def: $vgpr3_vgpr4
	s_cbranch_execnz .LBB166_10
	s_branch .LBB166_24
.LBB166_7:
                                        ; implicit-def: $vgpr3_vgpr4
	s_cbranch_execz .LBB166_9
.LBB166_8:
	v_mov_b32_e32 v6, 0
	s_or_b32 s13, s13, exec_lo
	s_waitcnt vmcnt(0)
	global_store_b8 v5, v7, s[6:7]
	v_lshlrev_b64 v[3:4], 3, v[5:6]
	s_delay_alu instid0(VALU_DEP_1) | instskip(NEXT) | instid1(VALU_DEP_2)
	v_add_co_u32 v3, vcc_lo, s10, v3
	v_add_co_ci_u32_e32 v4, vcc_lo, s11, v4, vcc_lo
.LBB166_9:
	s_branch .LBB166_24
.LBB166_10:
	s_min_u32 s8, s1, s16
	s_and_b32 vcc_lo, exec_lo, s3
	s_add_i32 s12, s9, s8
	s_min_u32 s9, s9, s8
	v_subrev_nc_u32_e32 v0, s12, v5
	v_and_b32_e64 v5, s18, 1
	s_add_i32 s12, s8, s17
	s_delay_alu instid0(SALU_CYCLE_1) | instskip(NEXT) | instid1(VALU_DEP_2)
	s_min_u32 s3, s12, s16
	v_add_nc_u32_e32 v0, s9, v0
	s_cbranch_vccz .LBB166_18
; %bb.11:
                                        ; implicit-def: $vgpr3_vgpr4
	s_and_saveexec_b32 s9, s2
	s_cbranch_execz .LBB166_17
; %bb.12:
	v_mov_b32_e32 v3, s8
	s_cmp_ge_u32 s1, s3
	s_cbranch_scc1 .LBB166_16
; %bb.13:
	s_waitcnt vmcnt(0)
	v_dual_mov_b32 v3, s8 :: v_dual_and_b32 v4, v7, v5
	v_mov_b32_e32 v6, s3
	s_mov_b32 s2, 0
	.p2align	6
.LBB166_14:                             ; =>This Inner Loop Header: Depth=1
	s_delay_alu instid0(VALU_DEP_1) | instskip(NEXT) | instid1(VALU_DEP_1)
	v_add_nc_u32_e32 v8, v3, v6
	v_lshrrev_b32_e32 v8, 1, v8
	global_load_u8 v9, v8, s[4:5]
	s_waitcnt vmcnt(0)
	v_and_b32_e32 v9, v9, v5
	s_delay_alu instid0(VALU_DEP_1) | instskip(SKIP_3) | instid1(VALU_DEP_1)
	v_cmp_gt_u16_e32 vcc_lo, v9, v4
	v_cndmask_b32_e64 v10, 0, 1, vcc_lo
	v_cmp_le_u16_e32 vcc_lo, v4, v9
	v_cndmask_b32_e64 v9, 0, 1, vcc_lo
	v_cndmask_b32_e64 v9, v9, v10, s0
	v_add_nc_u32_e32 v10, 1, v8
	s_delay_alu instid0(VALU_DEP_2) | instskip(NEXT) | instid1(VALU_DEP_1)
	v_and_b32_e32 v9, 1, v9
	v_cmp_eq_u32_e32 vcc_lo, 1, v9
	v_cndmask_b32_e32 v6, v8, v6, vcc_lo
	s_delay_alu instid0(VALU_DEP_4) | instskip(NEXT) | instid1(VALU_DEP_1)
	v_cndmask_b32_e32 v3, v3, v10, vcc_lo
	v_cmp_ge_u32_e32 vcc_lo, v3, v6
	s_or_b32 s2, vcc_lo, s2
	s_delay_alu instid0(SALU_CYCLE_1)
	s_and_not1_b32 exec_lo, exec_lo, s2
	s_cbranch_execnz .LBB166_14
; %bb.15:
	s_or_b32 exec_lo, exec_lo, s2
.LBB166_16:
	s_delay_alu instid0(VALU_DEP_1) | instskip(SKIP_4) | instid1(VALU_DEP_1)
	v_dual_mov_b32 v9, 0 :: v_dual_add_nc_u32 v8, v3, v0
	s_or_b32 s13, s13, exec_lo
	s_waitcnt vmcnt(0)
	global_store_b8 v8, v7, s[6:7]
	v_lshlrev_b64 v[3:4], 3, v[8:9]
	v_add_co_u32 v3, vcc_lo, s10, v3
	s_delay_alu instid0(VALU_DEP_2)
	v_add_co_ci_u32_e32 v4, vcc_lo, s11, v4, vcc_lo
.LBB166_17:
	s_or_b32 exec_lo, exec_lo, s9
	s_branch .LBB166_24
.LBB166_18:
                                        ; implicit-def: $vgpr3_vgpr4
	s_cbranch_execz .LBB166_24
; %bb.19:
	v_mov_b32_e32 v3, s8
	s_cmp_ge_u32 s1, s3
	s_cbranch_scc1 .LBB166_23
; %bb.20:
	s_waitcnt vmcnt(0)
	v_dual_mov_b32 v3, s8 :: v_dual_and_b32 v4, v7, v5
	v_mov_b32_e32 v6, s3
	s_mov_b32 s1, 0
	.p2align	6
.LBB166_21:                             ; =>This Inner Loop Header: Depth=1
	s_delay_alu instid0(VALU_DEP_1) | instskip(NEXT) | instid1(VALU_DEP_1)
	v_add_nc_u32_e32 v8, v3, v6
	v_lshrrev_b32_e32 v8, 1, v8
	global_load_u8 v9, v8, s[4:5]
	s_waitcnt vmcnt(0)
	v_and_b32_e32 v9, v9, v5
	s_delay_alu instid0(VALU_DEP_1) | instskip(SKIP_3) | instid1(VALU_DEP_1)
	v_cmp_gt_u16_e32 vcc_lo, v9, v4
	v_cndmask_b32_e64 v10, 0, 1, vcc_lo
	v_cmp_le_u16_e32 vcc_lo, v4, v9
	v_cndmask_b32_e64 v9, 0, 1, vcc_lo
	v_cndmask_b32_e64 v9, v9, v10, s0
	v_add_nc_u32_e32 v10, 1, v8
	s_delay_alu instid0(VALU_DEP_2) | instskip(NEXT) | instid1(VALU_DEP_1)
	v_and_b32_e32 v9, 1, v9
	v_cmp_eq_u32_e32 vcc_lo, 1, v9
	v_cndmask_b32_e32 v6, v8, v6, vcc_lo
	s_delay_alu instid0(VALU_DEP_4) | instskip(NEXT) | instid1(VALU_DEP_1)
	v_cndmask_b32_e32 v3, v3, v10, vcc_lo
	v_cmp_ge_u32_e32 vcc_lo, v3, v6
	s_or_b32 s1, vcc_lo, s1
	s_delay_alu instid0(SALU_CYCLE_1)
	s_and_not1_b32 exec_lo, exec_lo, s1
	s_cbranch_execnz .LBB166_21
; %bb.22:
	s_or_b32 exec_lo, exec_lo, s1
.LBB166_23:
	s_delay_alu instid0(VALU_DEP_1) | instskip(SKIP_4) | instid1(VALU_DEP_1)
	v_dual_mov_b32 v6, 0 :: v_dual_add_nc_u32 v5, v3, v0
	s_mov_b32 s13, -1
	s_waitcnt vmcnt(0)
	global_store_b8 v5, v7, s[6:7]
	v_lshlrev_b64 v[3:4], 3, v[5:6]
	v_add_co_u32 v3, vcc_lo, s10, v3
	s_delay_alu instid0(VALU_DEP_2)
	v_add_co_ci_u32_e32 v4, vcc_lo, s11, v4, vcc_lo
.LBB166_24:
	s_and_b32 exec_lo, exec_lo, s13
	s_cbranch_execz .LBB166_26
; %bb.25:
	s_waitcnt vmcnt(1)
	global_store_b64 v[3:4], v[1:2], off
.LBB166_26:
	s_nop 0
	s_sendmsg sendmsg(MSG_DEALLOC_VGPRS)
	s_endpgm
	.section	.rodata,"a",@progbits
	.p2align	6, 0x0
	.amdhsa_kernel _ZN7rocprim17ROCPRIM_304000_NS6detail33device_block_merge_oddeven_kernelINS1_37wrapped_merge_sort_block_merge_configINS0_14default_configEbN2at4cuda3cub6detail10OpaqueTypeILi8EEEEEPbSC_PSA_SD_jNS1_19radix_merge_compareILb1ELb1EbNS0_19identity_decomposerEEEEEvT0_T1_T2_T3_T4_SL_T5_
		.amdhsa_group_segment_fixed_size 0
		.amdhsa_private_segment_fixed_size 0
		.amdhsa_kernarg_size 44
		.amdhsa_user_sgpr_count 15
		.amdhsa_user_sgpr_dispatch_ptr 0
		.amdhsa_user_sgpr_queue_ptr 0
		.amdhsa_user_sgpr_kernarg_segment_ptr 1
		.amdhsa_user_sgpr_dispatch_id 0
		.amdhsa_user_sgpr_private_segment_size 0
		.amdhsa_wavefront_size32 1
		.amdhsa_uses_dynamic_stack 0
		.amdhsa_enable_private_segment 0
		.amdhsa_system_sgpr_workgroup_id_x 1
		.amdhsa_system_sgpr_workgroup_id_y 0
		.amdhsa_system_sgpr_workgroup_id_z 0
		.amdhsa_system_sgpr_workgroup_info 0
		.amdhsa_system_vgpr_workitem_id 0
		.amdhsa_next_free_vgpr 11
		.amdhsa_next_free_sgpr 22
		.amdhsa_reserve_vcc 1
		.amdhsa_float_round_mode_32 0
		.amdhsa_float_round_mode_16_64 0
		.amdhsa_float_denorm_mode_32 3
		.amdhsa_float_denorm_mode_16_64 3
		.amdhsa_dx10_clamp 1
		.amdhsa_ieee_mode 1
		.amdhsa_fp16_overflow 0
		.amdhsa_workgroup_processor_mode 1
		.amdhsa_memory_ordered 1
		.amdhsa_forward_progress 0
		.amdhsa_shared_vgpr_count 0
		.amdhsa_exception_fp_ieee_invalid_op 0
		.amdhsa_exception_fp_denorm_src 0
		.amdhsa_exception_fp_ieee_div_zero 0
		.amdhsa_exception_fp_ieee_overflow 0
		.amdhsa_exception_fp_ieee_underflow 0
		.amdhsa_exception_fp_ieee_inexact 0
		.amdhsa_exception_int_div_zero 0
	.end_amdhsa_kernel
	.section	.text._ZN7rocprim17ROCPRIM_304000_NS6detail33device_block_merge_oddeven_kernelINS1_37wrapped_merge_sort_block_merge_configINS0_14default_configEbN2at4cuda3cub6detail10OpaqueTypeILi8EEEEEPbSC_PSA_SD_jNS1_19radix_merge_compareILb1ELb1EbNS0_19identity_decomposerEEEEEvT0_T1_T2_T3_T4_SL_T5_,"axG",@progbits,_ZN7rocprim17ROCPRIM_304000_NS6detail33device_block_merge_oddeven_kernelINS1_37wrapped_merge_sort_block_merge_configINS0_14default_configEbN2at4cuda3cub6detail10OpaqueTypeILi8EEEEEPbSC_PSA_SD_jNS1_19radix_merge_compareILb1ELb1EbNS0_19identity_decomposerEEEEEvT0_T1_T2_T3_T4_SL_T5_,comdat
.Lfunc_end166:
	.size	_ZN7rocprim17ROCPRIM_304000_NS6detail33device_block_merge_oddeven_kernelINS1_37wrapped_merge_sort_block_merge_configINS0_14default_configEbN2at4cuda3cub6detail10OpaqueTypeILi8EEEEEPbSC_PSA_SD_jNS1_19radix_merge_compareILb1ELb1EbNS0_19identity_decomposerEEEEEvT0_T1_T2_T3_T4_SL_T5_, .Lfunc_end166-_ZN7rocprim17ROCPRIM_304000_NS6detail33device_block_merge_oddeven_kernelINS1_37wrapped_merge_sort_block_merge_configINS0_14default_configEbN2at4cuda3cub6detail10OpaqueTypeILi8EEEEEPbSC_PSA_SD_jNS1_19radix_merge_compareILb1ELb1EbNS0_19identity_decomposerEEEEEvT0_T1_T2_T3_T4_SL_T5_
                                        ; -- End function
	.section	.AMDGPU.csdata,"",@progbits
; Kernel info:
; codeLenInByte = 852
; NumSgprs: 24
; NumVgprs: 11
; ScratchSize: 0
; MemoryBound: 0
; FloatMode: 240
; IeeeMode: 1
; LDSByteSize: 0 bytes/workgroup (compile time only)
; SGPRBlocks: 2
; VGPRBlocks: 1
; NumSGPRsForWavesPerEU: 24
; NumVGPRsForWavesPerEU: 11
; Occupancy: 16
; WaveLimiterHint : 0
; COMPUTE_PGM_RSRC2:SCRATCH_EN: 0
; COMPUTE_PGM_RSRC2:USER_SGPR: 15
; COMPUTE_PGM_RSRC2:TRAP_HANDLER: 0
; COMPUTE_PGM_RSRC2:TGID_X_EN: 1
; COMPUTE_PGM_RSRC2:TGID_Y_EN: 0
; COMPUTE_PGM_RSRC2:TGID_Z_EN: 0
; COMPUTE_PGM_RSRC2:TIDIG_COMP_CNT: 0
	.section	.text._ZN7rocprim17ROCPRIM_304000_NS6detail26onesweep_histograms_kernelINS1_34wrapped_radix_sort_onesweep_configINS0_14default_configEbN2at4cuda3cub6detail10OpaqueTypeILi8EEEEELb1EPKbmNS0_19identity_decomposerEEEvT1_PT2_SG_SG_T3_jj,"axG",@progbits,_ZN7rocprim17ROCPRIM_304000_NS6detail26onesweep_histograms_kernelINS1_34wrapped_radix_sort_onesweep_configINS0_14default_configEbN2at4cuda3cub6detail10OpaqueTypeILi8EEEEELb1EPKbmNS0_19identity_decomposerEEEvT1_PT2_SG_SG_T3_jj,comdat
	.protected	_ZN7rocprim17ROCPRIM_304000_NS6detail26onesweep_histograms_kernelINS1_34wrapped_radix_sort_onesweep_configINS0_14default_configEbN2at4cuda3cub6detail10OpaqueTypeILi8EEEEELb1EPKbmNS0_19identity_decomposerEEEvT1_PT2_SG_SG_T3_jj ; -- Begin function _ZN7rocprim17ROCPRIM_304000_NS6detail26onesweep_histograms_kernelINS1_34wrapped_radix_sort_onesweep_configINS0_14default_configEbN2at4cuda3cub6detail10OpaqueTypeILi8EEEEELb1EPKbmNS0_19identity_decomposerEEEvT1_PT2_SG_SG_T3_jj
	.globl	_ZN7rocprim17ROCPRIM_304000_NS6detail26onesweep_histograms_kernelINS1_34wrapped_radix_sort_onesweep_configINS0_14default_configEbN2at4cuda3cub6detail10OpaqueTypeILi8EEEEELb1EPKbmNS0_19identity_decomposerEEEvT1_PT2_SG_SG_T3_jj
	.p2align	8
	.type	_ZN7rocprim17ROCPRIM_304000_NS6detail26onesweep_histograms_kernelINS1_34wrapped_radix_sort_onesweep_configINS0_14default_configEbN2at4cuda3cub6detail10OpaqueTypeILi8EEEEELb1EPKbmNS0_19identity_decomposerEEEvT1_PT2_SG_SG_T3_jj,@function
_ZN7rocprim17ROCPRIM_304000_NS6detail26onesweep_histograms_kernelINS1_34wrapped_radix_sort_onesweep_configINS0_14default_configEbN2at4cuda3cub6detail10OpaqueTypeILi8EEEEELb1EPKbmNS0_19identity_decomposerEEEvT1_PT2_SG_SG_T3_jj: ; @_ZN7rocprim17ROCPRIM_304000_NS6detail26onesweep_histograms_kernelINS1_34wrapped_radix_sort_onesweep_configINS0_14default_configEbN2at4cuda3cub6detail10OpaqueTypeILi8EEEEELb1EPKbmNS0_19identity_decomposerEEEvT1_PT2_SG_SG_T3_jj
; %bb.0:
	s_clause 0x1
	s_load_b256 s[20:27], s[0:1], 0x0
	s_load_b64 s[28:29], s[0:1], 0x24
	s_mov_b32 s2, s15
	s_mov_b32 s3, 0
	s_mul_i32 s1, s15, 0x1600
	s_waitcnt lgkmcnt(0)
	v_cmp_ge_u64_e64 s0, s[2:3], s[26:27]
	s_mul_hi_u32 s2, s15, 0x1600
	s_add_u32 s30, s20, s1
	s_addc_u32 s31, s21, s2
	s_delay_alu instid0(VALU_DEP_1)
	s_and_b32 vcc_lo, exec_lo, s0
	s_mov_b32 s0, -1
	s_cbranch_vccz .LBB167_142
; %bb.1:
	s_mul_i32 s21, s26, 0xffffea00
	v_add_co_u32 v1, s0, s30, v0
	s_add_i32 s21, s21, s24
	v_mov_b32_e32 v22, 0
	v_add_co_ci_u32_e64 v2, null, s31, 0, s0
	v_cmp_gt_u32_e64 s20, s21, v0
	v_mov_b32_e32 v24, 0
	s_delay_alu instid0(VALU_DEP_2)
	s_and_saveexec_b32 s0, s20
	s_cbranch_execz .LBB167_3
; %bb.2:
	global_load_u8 v24, v[1:2], off
.LBB167_3:
	s_or_b32 exec_lo, exec_lo, s0
	v_or_b32_e32 v3, 0x100, v0
	s_delay_alu instid0(VALU_DEP_1) | instskip(NEXT) | instid1(VALU_DEP_1)
	v_cmp_gt_u32_e64 s19, s21, v3
	s_and_saveexec_b32 s0, s19
	s_cbranch_execz .LBB167_5
; %bb.4:
	global_load_u8 v22, v[1:2], off offset:256
.LBB167_5:
	s_or_b32 exec_lo, exec_lo, s0
	v_or_b32_e32 v3, 0x200, v0
	v_mov_b32_e32 v21, 0
	v_mov_b32_e32 v23, 0
	s_delay_alu instid0(VALU_DEP_3) | instskip(NEXT) | instid1(VALU_DEP_1)
	v_cmp_gt_u32_e64 s18, s21, v3
	s_and_saveexec_b32 s0, s18
	s_cbranch_execz .LBB167_7
; %bb.6:
	global_load_u8 v23, v[1:2], off offset:512
.LBB167_7:
	s_or_b32 exec_lo, exec_lo, s0
	v_or_b32_e32 v3, 0x300, v0
	s_delay_alu instid0(VALU_DEP_1) | instskip(NEXT) | instid1(VALU_DEP_1)
	v_cmp_gt_u32_e64 s17, s21, v3
	s_and_saveexec_b32 s0, s17
	s_cbranch_execz .LBB167_9
; %bb.8:
	global_load_u8 v21, v[1:2], off offset:768
.LBB167_9:
	s_or_b32 exec_lo, exec_lo, s0
	v_or_b32_e32 v3, 0x400, v0
	v_dual_mov_b32 v19, 0 :: v_dual_mov_b32 v20, 0
	s_delay_alu instid0(VALU_DEP_2) | instskip(NEXT) | instid1(VALU_DEP_1)
	v_cmp_gt_u32_e64 s16, s21, v3
	s_and_saveexec_b32 s0, s16
	s_cbranch_execz .LBB167_11
; %bb.10:
	global_load_u8 v20, v[1:2], off offset:1024
.LBB167_11:
	s_or_b32 exec_lo, exec_lo, s0
	v_or_b32_e32 v3, 0x500, v0
	s_delay_alu instid0(VALU_DEP_1) | instskip(NEXT) | instid1(VALU_DEP_1)
	v_cmp_gt_u32_e64 s15, s21, v3
	s_and_saveexec_b32 s0, s15
	s_cbranch_execz .LBB167_13
; %bb.12:
	global_load_u8 v19, v[1:2], off offset:1280
.LBB167_13:
	s_or_b32 exec_lo, exec_lo, s0
	v_or_b32_e32 v3, 0x600, v0
	v_dual_mov_b32 v17, 0 :: v_dual_mov_b32 v18, 0
	s_delay_alu instid0(VALU_DEP_2) | instskip(NEXT) | instid1(VALU_DEP_1)
	;; [unrolled: 19-line block ×5, first 2 shown]
	v_cmp_gt_u32_e64 s8, s21, v3
	s_and_saveexec_b32 s0, s8
	s_cbranch_execz .LBB167_27
; %bb.26:
	global_load_u8 v12, v[1:2], off offset:3072
.LBB167_27:
	s_or_b32 exec_lo, exec_lo, s0
	v_or_b32_e32 v3, 0xd00, v0
	s_delay_alu instid0(VALU_DEP_1) | instskip(NEXT) | instid1(VALU_DEP_1)
	v_cmp_gt_u32_e64 s7, s21, v3
	s_and_saveexec_b32 s0, s7
	s_cbranch_execz .LBB167_29
; %bb.28:
	global_load_u8 v11, v[1:2], off offset:3328
.LBB167_29:
	s_or_b32 exec_lo, exec_lo, s0
	v_or_b32_e32 v3, 0xe00, v0
	v_mov_b32_e32 v8, 0
	v_mov_b32_e32 v10, 0
	s_delay_alu instid0(VALU_DEP_3) | instskip(NEXT) | instid1(VALU_DEP_1)
	v_cmp_gt_u32_e64 s6, s21, v3
	s_and_saveexec_b32 s0, s6
	s_cbranch_execz .LBB167_31
; %bb.30:
	global_load_u8 v10, v[1:2], off offset:3584
.LBB167_31:
	s_or_b32 exec_lo, exec_lo, s0
	v_or_b32_e32 v3, 0xf00, v0
	s_delay_alu instid0(VALU_DEP_1) | instskip(NEXT) | instid1(VALU_DEP_1)
	v_cmp_gt_u32_e64 s5, s21, v3
	s_and_saveexec_b32 s0, s5
	s_cbranch_execz .LBB167_33
; %bb.32:
	global_load_u8 v8, v[1:2], off offset:3840
.LBB167_33:
	s_or_b32 exec_lo, exec_lo, s0
	v_or_b32_e32 v3, 0x1000, v0
	v_dual_mov_b32 v6, 0 :: v_dual_mov_b32 v9, 0
	s_delay_alu instid0(VALU_DEP_2) | instskip(NEXT) | instid1(VALU_DEP_1)
	v_cmp_gt_u32_e64 s4, s21, v3
	s_and_saveexec_b32 s0, s4
	s_cbranch_execz .LBB167_35
; %bb.34:
	v_add_co_u32 v3, vcc_lo, 0x1000, v1
	v_add_co_ci_u32_e32 v4, vcc_lo, 0, v2, vcc_lo
	global_load_u8 v9, v[3:4], off
.LBB167_35:
	s_or_b32 exec_lo, exec_lo, s0
	v_or_b32_e32 v3, 0x1100, v0
	s_delay_alu instid0(VALU_DEP_1) | instskip(NEXT) | instid1(VALU_DEP_1)
	v_cmp_gt_u32_e64 s3, s21, v3
	s_and_saveexec_b32 s0, s3
	s_cbranch_execz .LBB167_37
; %bb.36:
	v_add_co_u32 v3, vcc_lo, 0x1000, v1
	v_add_co_ci_u32_e32 v4, vcc_lo, 0, v2, vcc_lo
	global_load_u8 v6, v[3:4], off offset:256
.LBB167_37:
	s_or_b32 exec_lo, exec_lo, s0
	v_or_b32_e32 v3, 0x1200, v0
	v_dual_mov_b32 v4, 0 :: v_dual_mov_b32 v7, 0
	s_delay_alu instid0(VALU_DEP_2) | instskip(NEXT) | instid1(VALU_DEP_1)
	v_cmp_gt_u32_e64 s2, s21, v3
	s_and_saveexec_b32 s0, s2
	s_cbranch_execz .LBB167_39
; %bb.38:
	v_add_co_u32 v25, vcc_lo, 0x1000, v1
	v_add_co_ci_u32_e32 v26, vcc_lo, 0, v2, vcc_lo
	global_load_u8 v7, v[25:26], off offset:512
.LBB167_39:
	s_or_b32 exec_lo, exec_lo, s0
	v_or_b32_e32 v3, 0x1300, v0
	s_delay_alu instid0(VALU_DEP_1) | instskip(NEXT) | instid1(VALU_DEP_1)
	v_cmp_gt_u32_e64 s1, s21, v3
	s_and_saveexec_b32 s0, s1
	s_cbranch_execz .LBB167_41
; %bb.40:
	v_add_co_u32 v3, vcc_lo, 0x1000, v1
	v_add_co_ci_u32_e32 v4, vcc_lo, 0, v2, vcc_lo
	global_load_u8 v4, v[3:4], off offset:768
.LBB167_41:
	s_or_b32 exec_lo, exec_lo, s0
	v_or_b32_e32 v5, 0x1400, v0
	v_mov_b32_e32 v3, 0
	s_delay_alu instid0(VALU_DEP_2) | instskip(SKIP_1) | instid1(VALU_DEP_2)
	v_cmp_gt_u32_e64 s0, s21, v5
	v_mov_b32_e32 v5, 0
	s_and_saveexec_b32 s24, s0
	s_cbranch_execz .LBB167_43
; %bb.42:
	v_add_co_u32 v25, vcc_lo, 0x1000, v1
	v_add_co_ci_u32_e32 v26, vcc_lo, 0, v2, vcc_lo
	global_load_u8 v5, v[25:26], off offset:1024
.LBB167_43:
	s_or_b32 exec_lo, exec_lo, s24
	v_or_b32_e32 v25, 0x1500, v0
	s_delay_alu instid0(VALU_DEP_1)
	v_cmp_gt_u32_e32 vcc_lo, s21, v25
	s_and_saveexec_b32 s24, vcc_lo
	s_cbranch_execz .LBB167_45
; %bb.44:
	v_add_co_u32 v1, s21, 0x1000, v1
	s_delay_alu instid0(VALU_DEP_1)
	v_add_co_ci_u32_e64 v2, s21, 0, v2, s21
	global_load_u8 v3, v[1:2], off offset:1280
.LBB167_45:
	s_or_b32 exec_lo, exec_lo, s24
	v_or_b32_e32 v1, 0xffffff00, v0
	v_dual_mov_b32 v25, 0 :: v_dual_lshlrev_b32 v2, 2, v0
	s_mov_b32 s24, 0
.LBB167_46:                             ; =>This Inner Loop Header: Depth=1
	s_delay_alu instid0(VALU_DEP_2) | instskip(SKIP_3) | instid1(VALU_DEP_1)
	v_add_nc_u32_e32 v1, 0x100, v1
	ds_store_b32 v2, v25
	v_add_nc_u32_e32 v2, 0x400, v2
	v_cmp_lt_u32_e64 s21, 0x2ff, v1
	s_or_b32 s24, s21, s24
	s_delay_alu instid0(SALU_CYCLE_1)
	s_and_not1_b32 exec_lo, exec_lo, s24
	s_cbranch_execnz .LBB167_46
; %bb.47:
	s_or_b32 exec_lo, exec_lo, s24
	s_cmp_gt_u32 s29, s28
	s_waitcnt vmcnt(0) lgkmcnt(0)
	s_cselect_b32 s21, -1, 0
	s_cmp_le_u32 s29, s28
	s_barrier
	buffer_gl0_inv
	s_cbranch_scc1 .LBB167_136
; %bb.48:
	v_and_b32_e32 v1, 3, v0
	v_xor_b32_e32 v2, 1, v24
	v_mov_b32_e32 v24, 1
	s_sub_i32 s24, s29, s28
	s_mov_b32 s26, s28
	v_lshlrev_b32_e32 v1, 2, v1
	s_mov_b32 s25, s24
	s_delay_alu instid0(VALU_DEP_1)
	v_mov_b32_e32 v25, v1
	s_branch .LBB167_50
	.p2align	6
.LBB167_49:                             ;   in Loop: Header=BB167_50 Depth=1
	s_or_b32 exec_lo, exec_lo, s27
	v_add_nc_u32_e32 v25, 0x1000, v25
	s_add_i32 s26, s26, 8
	s_add_i32 s25, s25, -8
	s_cmp_ge_u32 s26, s29
	s_cbranch_scc1 .LBB167_52
.LBB167_50:                             ; =>This Inner Loop Header: Depth=1
	s_and_saveexec_b32 s27, s20
	s_cbranch_execz .LBB167_49
; %bb.51:                               ;   in Loop: Header=BB167_50 Depth=1
	v_lshrrev_b32_e32 v26, s26, v2
	s_min_u32 s33, s25, 8
	s_delay_alu instid0(VALU_DEP_1) | instid1(SALU_CYCLE_1)
	v_bfe_u32 v26, v26, 0, s33
	s_delay_alu instid0(VALU_DEP_1)
	v_lshl_add_u32 v26, v26, 4, v25
	ds_add_u32 v26, v24
	s_branch .LBB167_49
.LBB167_52:
	v_xor_b32_e32 v2, 1, v22
	v_mov_b32_e32 v22, 1
	v_mov_b32_e32 v24, v1
	s_mov_b32 s20, s24
	s_mov_b32 s25, s28
	s_branch .LBB167_54
	.p2align	6
.LBB167_53:                             ;   in Loop: Header=BB167_54 Depth=1
	s_or_b32 exec_lo, exec_lo, s26
	v_add_nc_u32_e32 v24, 0x1000, v24
	s_add_i32 s25, s25, 8
	s_add_i32 s20, s20, -8
	s_cmp_lt_u32 s25, s29
	s_cbranch_scc0 .LBB167_56
.LBB167_54:                             ; =>This Inner Loop Header: Depth=1
	s_and_saveexec_b32 s26, s19
	s_cbranch_execz .LBB167_53
; %bb.55:                               ;   in Loop: Header=BB167_54 Depth=1
	v_lshrrev_b32_e32 v25, s25, v2
	s_min_u32 s27, s20, 8
	s_delay_alu instid0(VALU_DEP_1) | instid1(SALU_CYCLE_1)
	v_bfe_u32 v25, v25, 0, s27
	s_delay_alu instid0(VALU_DEP_1)
	v_lshl_add_u32 v25, v25, 4, v24
	ds_add_u32 v25, v22
	s_branch .LBB167_53
.LBB167_56:
	v_xor_b32_e32 v2, 1, v23
	v_dual_mov_b32 v22, 1 :: v_dual_mov_b32 v23, v1
	s_mov_b32 s19, s24
	s_mov_b32 s20, s28
	s_branch .LBB167_58
	.p2align	6
.LBB167_57:                             ;   in Loop: Header=BB167_58 Depth=1
	s_or_b32 exec_lo, exec_lo, s25
	v_add_nc_u32_e32 v23, 0x1000, v23
	s_add_i32 s20, s20, 8
	s_add_i32 s19, s19, -8
	s_cmp_lt_u32 s20, s29
	s_cbranch_scc0 .LBB167_60
.LBB167_58:                             ; =>This Inner Loop Header: Depth=1
	s_and_saveexec_b32 s25, s18
	s_cbranch_execz .LBB167_57
; %bb.59:                               ;   in Loop: Header=BB167_58 Depth=1
	v_lshrrev_b32_e32 v24, s20, v2
	s_min_u32 s26, s19, 8
	s_delay_alu instid0(VALU_DEP_1) | instid1(SALU_CYCLE_1)
	v_bfe_u32 v24, v24, 0, s26
	s_delay_alu instid0(VALU_DEP_1)
	v_lshl_add_u32 v24, v24, 4, v23
	ds_add_u32 v24, v22
	s_branch .LBB167_57
.LBB167_60:
	v_xor_b32_e32 v2, 1, v21
	v_dual_mov_b32 v21, 1 :: v_dual_mov_b32 v22, v1
	s_mov_b32 s18, s24
	s_mov_b32 s19, s28
	s_branch .LBB167_62
	.p2align	6
.LBB167_61:                             ;   in Loop: Header=BB167_62 Depth=1
	s_or_b32 exec_lo, exec_lo, s20
	v_add_nc_u32_e32 v22, 0x1000, v22
	s_add_i32 s19, s19, 8
	s_add_i32 s18, s18, -8
	s_cmp_lt_u32 s19, s29
	s_cbranch_scc0 .LBB167_64
.LBB167_62:                             ; =>This Inner Loop Header: Depth=1
	s_and_saveexec_b32 s20, s17
	s_cbranch_execz .LBB167_61
; %bb.63:                               ;   in Loop: Header=BB167_62 Depth=1
	v_lshrrev_b32_e32 v23, s19, v2
	s_min_u32 s25, s18, 8
	s_delay_alu instid0(VALU_DEP_1) | instid1(SALU_CYCLE_1)
	v_bfe_u32 v23, v23, 0, s25
	s_delay_alu instid0(VALU_DEP_1)
	v_lshl_add_u32 v23, v23, 4, v22
	ds_add_u32 v23, v21
	s_branch .LBB167_61
.LBB167_64:
	v_xor_b32_e32 v2, 1, v20
	v_dual_mov_b32 v20, 1 :: v_dual_mov_b32 v21, v1
	s_mov_b32 s17, s24
	s_mov_b32 s18, s28
	s_branch .LBB167_66
	.p2align	6
.LBB167_65:                             ;   in Loop: Header=BB167_66 Depth=1
	s_or_b32 exec_lo, exec_lo, s19
	v_add_nc_u32_e32 v21, 0x1000, v21
	s_add_i32 s18, s18, 8
	s_add_i32 s17, s17, -8
	s_cmp_lt_u32 s18, s29
	s_cbranch_scc0 .LBB167_68
.LBB167_66:                             ; =>This Inner Loop Header: Depth=1
	s_and_saveexec_b32 s19, s16
	s_cbranch_execz .LBB167_65
; %bb.67:                               ;   in Loop: Header=BB167_66 Depth=1
	v_lshrrev_b32_e32 v22, s18, v2
	s_min_u32 s20, s17, 8
	s_delay_alu instid0(VALU_DEP_1) | instid1(SALU_CYCLE_1)
	v_bfe_u32 v22, v22, 0, s20
	s_delay_alu instid0(VALU_DEP_1)
	v_lshl_add_u32 v22, v22, 4, v21
	ds_add_u32 v22, v20
	s_branch .LBB167_65
.LBB167_68:
	v_xor_b32_e32 v2, 1, v19
	v_dual_mov_b32 v19, 1 :: v_dual_mov_b32 v20, v1
	s_mov_b32 s16, s24
	s_mov_b32 s17, s28
	s_branch .LBB167_70
	.p2align	6
.LBB167_69:                             ;   in Loop: Header=BB167_70 Depth=1
	s_or_b32 exec_lo, exec_lo, s18
	v_add_nc_u32_e32 v20, 0x1000, v20
	s_add_i32 s17, s17, 8
	s_add_i32 s16, s16, -8
	s_cmp_lt_u32 s17, s29
	s_cbranch_scc0 .LBB167_72
.LBB167_70:                             ; =>This Inner Loop Header: Depth=1
	s_and_saveexec_b32 s18, s15
	s_cbranch_execz .LBB167_69
; %bb.71:                               ;   in Loop: Header=BB167_70 Depth=1
	v_lshrrev_b32_e32 v21, s17, v2
	s_min_u32 s19, s16, 8
	s_delay_alu instid0(VALU_DEP_1) | instid1(SALU_CYCLE_1)
	v_bfe_u32 v21, v21, 0, s19
	s_delay_alu instid0(VALU_DEP_1)
	v_lshl_add_u32 v21, v21, 4, v20
	ds_add_u32 v21, v19
	s_branch .LBB167_69
.LBB167_72:
	v_xor_b32_e32 v2, 1, v18
	v_dual_mov_b32 v18, 1 :: v_dual_mov_b32 v19, v1
	s_mov_b32 s15, s24
	s_mov_b32 s16, s28
	s_branch .LBB167_74
	.p2align	6
.LBB167_73:                             ;   in Loop: Header=BB167_74 Depth=1
	s_or_b32 exec_lo, exec_lo, s17
	v_add_nc_u32_e32 v19, 0x1000, v19
	s_add_i32 s16, s16, 8
	s_add_i32 s15, s15, -8
	s_cmp_lt_u32 s16, s29
	s_cbranch_scc0 .LBB167_76
.LBB167_74:                             ; =>This Inner Loop Header: Depth=1
	s_and_saveexec_b32 s17, s14
	s_cbranch_execz .LBB167_73
; %bb.75:                               ;   in Loop: Header=BB167_74 Depth=1
	v_lshrrev_b32_e32 v20, s16, v2
	s_min_u32 s18, s15, 8
	s_delay_alu instid0(VALU_DEP_1) | instid1(SALU_CYCLE_1)
	v_bfe_u32 v20, v20, 0, s18
	s_delay_alu instid0(VALU_DEP_1)
	v_lshl_add_u32 v20, v20, 4, v19
	ds_add_u32 v20, v18
	s_branch .LBB167_73
.LBB167_76:
	v_xor_b32_e32 v2, 1, v17
	v_dual_mov_b32 v17, 1 :: v_dual_mov_b32 v18, v1
	s_mov_b32 s14, s24
	s_mov_b32 s15, s28
	s_branch .LBB167_78
	.p2align	6
.LBB167_77:                             ;   in Loop: Header=BB167_78 Depth=1
	s_or_b32 exec_lo, exec_lo, s16
	v_add_nc_u32_e32 v18, 0x1000, v18
	s_add_i32 s15, s15, 8
	s_add_i32 s14, s14, -8
	s_cmp_lt_u32 s15, s29
	s_cbranch_scc0 .LBB167_80
.LBB167_78:                             ; =>This Inner Loop Header: Depth=1
	s_and_saveexec_b32 s16, s13
	s_cbranch_execz .LBB167_77
; %bb.79:                               ;   in Loop: Header=BB167_78 Depth=1
	v_lshrrev_b32_e32 v19, s15, v2
	s_min_u32 s17, s14, 8
	s_delay_alu instid0(VALU_DEP_1) | instid1(SALU_CYCLE_1)
	v_bfe_u32 v19, v19, 0, s17
	s_delay_alu instid0(VALU_DEP_1)
	v_lshl_add_u32 v19, v19, 4, v18
	ds_add_u32 v19, v17
	s_branch .LBB167_77
.LBB167_80:
	v_xor_b32_e32 v2, 1, v16
	v_dual_mov_b32 v16, 1 :: v_dual_mov_b32 v17, v1
	s_mov_b32 s13, s24
	s_mov_b32 s14, s28
	s_branch .LBB167_82
	.p2align	6
.LBB167_81:                             ;   in Loop: Header=BB167_82 Depth=1
	s_or_b32 exec_lo, exec_lo, s15
	v_add_nc_u32_e32 v17, 0x1000, v17
	s_add_i32 s14, s14, 8
	s_add_i32 s13, s13, -8
	s_cmp_lt_u32 s14, s29
	s_cbranch_scc0 .LBB167_84
.LBB167_82:                             ; =>This Inner Loop Header: Depth=1
	s_and_saveexec_b32 s15, s12
	s_cbranch_execz .LBB167_81
; %bb.83:                               ;   in Loop: Header=BB167_82 Depth=1
	v_lshrrev_b32_e32 v18, s14, v2
	s_min_u32 s16, s13, 8
	s_delay_alu instid0(VALU_DEP_1) | instid1(SALU_CYCLE_1)
	v_bfe_u32 v18, v18, 0, s16
	s_delay_alu instid0(VALU_DEP_1)
	v_lshl_add_u32 v18, v18, 4, v17
	ds_add_u32 v18, v16
	s_branch .LBB167_81
.LBB167_84:
	v_xor_b32_e32 v2, 1, v15
	v_dual_mov_b32 v15, 1 :: v_dual_mov_b32 v16, v1
	s_mov_b32 s12, s24
	s_mov_b32 s13, s28
	s_branch .LBB167_86
	.p2align	6
.LBB167_85:                             ;   in Loop: Header=BB167_86 Depth=1
	s_or_b32 exec_lo, exec_lo, s14
	v_add_nc_u32_e32 v16, 0x1000, v16
	s_add_i32 s13, s13, 8
	s_add_i32 s12, s12, -8
	s_cmp_lt_u32 s13, s29
	s_cbranch_scc0 .LBB167_88
.LBB167_86:                             ; =>This Inner Loop Header: Depth=1
	s_and_saveexec_b32 s14, s11
	s_cbranch_execz .LBB167_85
; %bb.87:                               ;   in Loop: Header=BB167_86 Depth=1
	v_lshrrev_b32_e32 v17, s13, v2
	s_min_u32 s15, s12, 8
	s_delay_alu instid0(VALU_DEP_1) | instid1(SALU_CYCLE_1)
	v_bfe_u32 v17, v17, 0, s15
	s_delay_alu instid0(VALU_DEP_1)
	v_lshl_add_u32 v17, v17, 4, v16
	ds_add_u32 v17, v15
	s_branch .LBB167_85
.LBB167_88:
	v_xor_b32_e32 v2, 1, v14
	v_dual_mov_b32 v14, 1 :: v_dual_mov_b32 v15, v1
	s_mov_b32 s11, s24
	s_mov_b32 s12, s28
	s_branch .LBB167_90
	.p2align	6
.LBB167_89:                             ;   in Loop: Header=BB167_90 Depth=1
	s_or_b32 exec_lo, exec_lo, s13
	v_add_nc_u32_e32 v15, 0x1000, v15
	s_add_i32 s12, s12, 8
	s_add_i32 s11, s11, -8
	s_cmp_lt_u32 s12, s29
	s_cbranch_scc0 .LBB167_92
.LBB167_90:                             ; =>This Inner Loop Header: Depth=1
	s_and_saveexec_b32 s13, s10
	s_cbranch_execz .LBB167_89
; %bb.91:                               ;   in Loop: Header=BB167_90 Depth=1
	v_lshrrev_b32_e32 v16, s12, v2
	s_min_u32 s14, s11, 8
	s_delay_alu instid0(VALU_DEP_1) | instid1(SALU_CYCLE_1)
	v_bfe_u32 v16, v16, 0, s14
	s_delay_alu instid0(VALU_DEP_1)
	v_lshl_add_u32 v16, v16, 4, v15
	ds_add_u32 v16, v14
	s_branch .LBB167_89
.LBB167_92:
	v_xor_b32_e32 v2, 1, v13
	v_dual_mov_b32 v13, 1 :: v_dual_mov_b32 v14, v1
	s_mov_b32 s10, s24
	s_mov_b32 s11, s28
	s_branch .LBB167_94
	.p2align	6
.LBB167_93:                             ;   in Loop: Header=BB167_94 Depth=1
	s_or_b32 exec_lo, exec_lo, s12
	v_add_nc_u32_e32 v14, 0x1000, v14
	s_add_i32 s11, s11, 8
	s_add_i32 s10, s10, -8
	s_cmp_lt_u32 s11, s29
	s_cbranch_scc0 .LBB167_96
.LBB167_94:                             ; =>This Inner Loop Header: Depth=1
	s_and_saveexec_b32 s12, s9
	s_cbranch_execz .LBB167_93
; %bb.95:                               ;   in Loop: Header=BB167_94 Depth=1
	v_lshrrev_b32_e32 v15, s11, v2
	s_min_u32 s13, s10, 8
	s_delay_alu instid0(VALU_DEP_1) | instid1(SALU_CYCLE_1)
	v_bfe_u32 v15, v15, 0, s13
	s_delay_alu instid0(VALU_DEP_1)
	v_lshl_add_u32 v15, v15, 4, v14
	ds_add_u32 v15, v13
	s_branch .LBB167_93
.LBB167_96:
	v_xor_b32_e32 v2, 1, v12
	v_dual_mov_b32 v12, 1 :: v_dual_mov_b32 v13, v1
	s_mov_b32 s9, s24
	s_mov_b32 s10, s28
	s_branch .LBB167_98
	.p2align	6
.LBB167_97:                             ;   in Loop: Header=BB167_98 Depth=1
	s_or_b32 exec_lo, exec_lo, s11
	v_add_nc_u32_e32 v13, 0x1000, v13
	s_add_i32 s10, s10, 8
	s_add_i32 s9, s9, -8
	s_cmp_lt_u32 s10, s29
	s_cbranch_scc0 .LBB167_100
.LBB167_98:                             ; =>This Inner Loop Header: Depth=1
	s_and_saveexec_b32 s11, s8
	s_cbranch_execz .LBB167_97
; %bb.99:                               ;   in Loop: Header=BB167_98 Depth=1
	v_lshrrev_b32_e32 v14, s10, v2
	s_min_u32 s12, s9, 8
	s_delay_alu instid0(VALU_DEP_1) | instid1(SALU_CYCLE_1)
	v_bfe_u32 v14, v14, 0, s12
	s_delay_alu instid0(VALU_DEP_1)
	v_lshl_add_u32 v14, v14, 4, v13
	ds_add_u32 v14, v12
	s_branch .LBB167_97
.LBB167_100:
	v_xor_b32_e32 v2, 1, v11
	v_dual_mov_b32 v11, 1 :: v_dual_mov_b32 v12, v1
	s_mov_b32 s8, s24
	s_mov_b32 s9, s28
	s_branch .LBB167_102
	.p2align	6
.LBB167_101:                            ;   in Loop: Header=BB167_102 Depth=1
	s_or_b32 exec_lo, exec_lo, s10
	v_add_nc_u32_e32 v12, 0x1000, v12
	s_add_i32 s9, s9, 8
	s_add_i32 s8, s8, -8
	s_cmp_lt_u32 s9, s29
	s_cbranch_scc0 .LBB167_104
.LBB167_102:                            ; =>This Inner Loop Header: Depth=1
	s_and_saveexec_b32 s10, s7
	s_cbranch_execz .LBB167_101
; %bb.103:                              ;   in Loop: Header=BB167_102 Depth=1
	v_lshrrev_b32_e32 v13, s9, v2
	s_min_u32 s11, s8, 8
	s_delay_alu instid0(VALU_DEP_1) | instid1(SALU_CYCLE_1)
	v_bfe_u32 v13, v13, 0, s11
	s_delay_alu instid0(VALU_DEP_1)
	v_lshl_add_u32 v13, v13, 4, v12
	ds_add_u32 v13, v11
	s_branch .LBB167_101
.LBB167_104:
	v_xor_b32_e32 v2, 1, v10
	v_dual_mov_b32 v10, 1 :: v_dual_mov_b32 v11, v1
	s_mov_b32 s7, s24
	s_mov_b32 s8, s28
	s_branch .LBB167_106
	.p2align	6
.LBB167_105:                            ;   in Loop: Header=BB167_106 Depth=1
	s_or_b32 exec_lo, exec_lo, s9
	v_add_nc_u32_e32 v11, 0x1000, v11
	s_add_i32 s8, s8, 8
	s_add_i32 s7, s7, -8
	s_cmp_lt_u32 s8, s29
	s_cbranch_scc0 .LBB167_108
.LBB167_106:                            ; =>This Inner Loop Header: Depth=1
	s_and_saveexec_b32 s9, s6
	s_cbranch_execz .LBB167_105
; %bb.107:                              ;   in Loop: Header=BB167_106 Depth=1
	v_lshrrev_b32_e32 v12, s8, v2
	s_min_u32 s10, s7, 8
	s_delay_alu instid0(VALU_DEP_1) | instid1(SALU_CYCLE_1)
	v_bfe_u32 v12, v12, 0, s10
	s_delay_alu instid0(VALU_DEP_1)
	v_lshl_add_u32 v12, v12, 4, v11
	ds_add_u32 v12, v10
	s_branch .LBB167_105
.LBB167_108:
	v_xor_b32_e32 v2, 1, v8
	v_mov_b32_e32 v8, 1
	v_mov_b32_e32 v10, v1
	s_mov_b32 s6, s24
	s_mov_b32 s7, s28
	s_branch .LBB167_110
	.p2align	6
.LBB167_109:                            ;   in Loop: Header=BB167_110 Depth=1
	s_or_b32 exec_lo, exec_lo, s8
	v_add_nc_u32_e32 v10, 0x1000, v10
	s_add_i32 s7, s7, 8
	s_add_i32 s6, s6, -8
	s_cmp_lt_u32 s7, s29
	s_cbranch_scc0 .LBB167_112
.LBB167_110:                            ; =>This Inner Loop Header: Depth=1
	s_and_saveexec_b32 s8, s5
	s_cbranch_execz .LBB167_109
; %bb.111:                              ;   in Loop: Header=BB167_110 Depth=1
	v_lshrrev_b32_e32 v11, s7, v2
	s_min_u32 s9, s6, 8
	s_delay_alu instid0(VALU_DEP_1) | instid1(SALU_CYCLE_1)
	v_bfe_u32 v11, v11, 0, s9
	s_delay_alu instid0(VALU_DEP_1)
	v_lshl_add_u32 v11, v11, 4, v10
	ds_add_u32 v11, v8
	s_branch .LBB167_109
.LBB167_112:
	v_xor_b32_e32 v2, 1, v9
	v_dual_mov_b32 v8, 1 :: v_dual_mov_b32 v9, v1
	s_mov_b32 s5, s24
	s_mov_b32 s6, s28
	s_branch .LBB167_114
	.p2align	6
.LBB167_113:                            ;   in Loop: Header=BB167_114 Depth=1
	s_or_b32 exec_lo, exec_lo, s7
	v_add_nc_u32_e32 v9, 0x1000, v9
	s_add_i32 s6, s6, 8
	s_add_i32 s5, s5, -8
	s_cmp_lt_u32 s6, s29
	s_cbranch_scc0 .LBB167_116
.LBB167_114:                            ; =>This Inner Loop Header: Depth=1
	s_and_saveexec_b32 s7, s4
	s_cbranch_execz .LBB167_113
; %bb.115:                              ;   in Loop: Header=BB167_114 Depth=1
	v_lshrrev_b32_e32 v10, s6, v2
	s_min_u32 s8, s5, 8
	s_delay_alu instid0(VALU_DEP_1) | instid1(SALU_CYCLE_1)
	v_bfe_u32 v10, v10, 0, s8
	s_delay_alu instid0(VALU_DEP_1)
	v_lshl_add_u32 v10, v10, 4, v9
	ds_add_u32 v10, v8
	s_branch .LBB167_113
.LBB167_116:
	v_xor_b32_e32 v2, 1, v6
	v_mov_b32_e32 v6, 1
	v_mov_b32_e32 v8, v1
	s_mov_b32 s4, s24
	s_mov_b32 s5, s28
	s_branch .LBB167_118
	.p2align	6
.LBB167_117:                            ;   in Loop: Header=BB167_118 Depth=1
	s_or_b32 exec_lo, exec_lo, s6
	v_add_nc_u32_e32 v8, 0x1000, v8
	s_add_i32 s5, s5, 8
	s_add_i32 s4, s4, -8
	s_cmp_lt_u32 s5, s29
	s_cbranch_scc0 .LBB167_120
.LBB167_118:                            ; =>This Inner Loop Header: Depth=1
	s_and_saveexec_b32 s6, s3
	s_cbranch_execz .LBB167_117
; %bb.119:                              ;   in Loop: Header=BB167_118 Depth=1
	v_lshrrev_b32_e32 v9, s5, v2
	s_min_u32 s7, s4, 8
	s_delay_alu instid0(VALU_DEP_1) | instid1(SALU_CYCLE_1)
	v_bfe_u32 v9, v9, 0, s7
	s_delay_alu instid0(VALU_DEP_1)
	v_lshl_add_u32 v9, v9, 4, v8
	ds_add_u32 v9, v6
	s_branch .LBB167_117
.LBB167_120:
	v_xor_b32_e32 v2, 1, v7
	v_dual_mov_b32 v6, 1 :: v_dual_mov_b32 v7, v1
	s_mov_b32 s3, s24
	s_mov_b32 s4, s28
	s_branch .LBB167_122
	.p2align	6
.LBB167_121:                            ;   in Loop: Header=BB167_122 Depth=1
	s_or_b32 exec_lo, exec_lo, s5
	v_add_nc_u32_e32 v7, 0x1000, v7
	s_add_i32 s4, s4, 8
	s_add_i32 s3, s3, -8
	s_cmp_lt_u32 s4, s29
	s_cbranch_scc0 .LBB167_124
.LBB167_122:                            ; =>This Inner Loop Header: Depth=1
	s_and_saveexec_b32 s5, s2
	s_cbranch_execz .LBB167_121
; %bb.123:                              ;   in Loop: Header=BB167_122 Depth=1
	v_lshrrev_b32_e32 v8, s4, v2
	s_min_u32 s6, s3, 8
	s_delay_alu instid0(VALU_DEP_1) | instid1(SALU_CYCLE_1)
	v_bfe_u32 v8, v8, 0, s6
	s_delay_alu instid0(VALU_DEP_1)
	v_lshl_add_u32 v8, v8, 4, v7
	ds_add_u32 v8, v6
	s_branch .LBB167_121
.LBB167_124:
	v_xor_b32_e32 v2, 1, v4
	v_mov_b32_e32 v4, 1
	v_mov_b32_e32 v6, v1
	s_mov_b32 s2, s24
	s_mov_b32 s3, s28
	s_branch .LBB167_126
	.p2align	6
.LBB167_125:                            ;   in Loop: Header=BB167_126 Depth=1
	s_or_b32 exec_lo, exec_lo, s4
	v_add_nc_u32_e32 v6, 0x1000, v6
	s_add_i32 s3, s3, 8
	s_add_i32 s2, s2, -8
	s_cmp_lt_u32 s3, s29
	s_cbranch_scc0 .LBB167_128
.LBB167_126:                            ; =>This Inner Loop Header: Depth=1
	s_and_saveexec_b32 s4, s1
	s_cbranch_execz .LBB167_125
; %bb.127:                              ;   in Loop: Header=BB167_126 Depth=1
	v_lshrrev_b32_e32 v7, s3, v2
	s_min_u32 s5, s2, 8
	s_delay_alu instid0(VALU_DEP_1) | instid1(SALU_CYCLE_1)
	v_bfe_u32 v7, v7, 0, s5
	s_delay_alu instid0(VALU_DEP_1)
	v_lshl_add_u32 v7, v7, 4, v6
	ds_add_u32 v7, v4
	s_branch .LBB167_125
.LBB167_128:
	v_xor_b32_e32 v2, 1, v5
	v_dual_mov_b32 v4, 1 :: v_dual_mov_b32 v5, v1
	s_mov_b32 s1, s24
	s_mov_b32 s2, s28
	s_branch .LBB167_130
	.p2align	6
.LBB167_129:                            ;   in Loop: Header=BB167_130 Depth=1
	s_or_b32 exec_lo, exec_lo, s3
	v_add_nc_u32_e32 v5, 0x1000, v5
	s_add_i32 s2, s2, 8
	s_add_i32 s1, s1, -8
	s_cmp_lt_u32 s2, s29
	s_cbranch_scc0 .LBB167_132
.LBB167_130:                            ; =>This Inner Loop Header: Depth=1
	s_and_saveexec_b32 s3, s0
	s_cbranch_execz .LBB167_129
; %bb.131:                              ;   in Loop: Header=BB167_130 Depth=1
	v_lshrrev_b32_e32 v6, s2, v2
	s_min_u32 s4, s1, 8
	s_delay_alu instid0(VALU_DEP_1) | instid1(SALU_CYCLE_1)
	v_bfe_u32 v6, v6, 0, s4
	s_delay_alu instid0(VALU_DEP_1)
	v_lshl_add_u32 v6, v6, 4, v5
	ds_add_u32 v6, v4
	s_branch .LBB167_129
.LBB167_132:
	v_xor_b32_e32 v2, 1, v3
	v_mov_b32_e32 v3, 1
	s_mov_b32 s0, s28
	s_branch .LBB167_134
	.p2align	6
.LBB167_133:                            ;   in Loop: Header=BB167_134 Depth=1
	s_or_b32 exec_lo, exec_lo, s1
	v_add_nc_u32_e32 v1, 0x1000, v1
	s_add_i32 s0, s0, 8
	s_add_i32 s24, s24, -8
	s_cmp_lt_u32 s0, s29
	s_cbranch_scc0 .LBB167_136
.LBB167_134:                            ; =>This Inner Loop Header: Depth=1
	s_and_saveexec_b32 s1, vcc_lo
	s_cbranch_execz .LBB167_133
; %bb.135:                              ;   in Loop: Header=BB167_134 Depth=1
	v_lshrrev_b32_e32 v4, s0, v2
	s_min_u32 s2, s24, 8
	s_delay_alu instid0(VALU_DEP_1) | instid1(SALU_CYCLE_1)
	v_bfe_u32 v4, v4, 0, s2
	s_delay_alu instid0(VALU_DEP_1)
	v_lshl_add_u32 v4, v4, 4, v1
	ds_add_u32 v4, v3
	s_branch .LBB167_133
.LBB167_136:
	s_and_b32 vcc_lo, exec_lo, s21
	s_waitcnt lgkmcnt(0)
	s_barrier
	buffer_gl0_inv
	s_cbranch_vccz .LBB167_141
; %bb.137:
	v_cmp_gt_u32_e32 vcc_lo, 0x100, v0
	v_dual_mov_b32 v2, 0 :: v_dual_lshlrev_b32 v3, 4, v0
	v_mov_b32_e32 v1, v0
	s_mov_b32 s1, s28
	s_set_inst_prefetch_distance 0x1
	s_branch .LBB167_139
	.p2align	6
.LBB167_138:                            ;   in Loop: Header=BB167_139 Depth=1
	s_or_b32 exec_lo, exec_lo, s2
	v_add_nc_u32_e32 v1, 0x100, v1
	v_add_nc_u32_e32 v3, 0x1000, v3
	s_add_i32 s1, s1, 8
	s_delay_alu instid0(SALU_CYCLE_1)
	s_cmp_lt_u32 s1, s29
	s_cbranch_scc0 .LBB167_141
.LBB167_139:                            ; =>This Inner Loop Header: Depth=1
	s_and_saveexec_b32 s2, vcc_lo
	s_cbranch_execz .LBB167_138
; %bb.140:                              ;   in Loop: Header=BB167_139 Depth=1
	ds_load_2addr_b32 v[4:5], v3 offset1:1
	ds_load_2addr_b32 v[6:7], v3 offset0:2 offset1:3
	v_lshlrev_b64 v[8:9], 3, v[1:2]
	s_waitcnt lgkmcnt(1)
	v_add_nc_u32_e32 v10, v5, v4
	s_delay_alu instid0(VALU_DEP_2) | instskip(NEXT) | instid1(VALU_DEP_1)
	v_add_co_u32 v4, s0, s22, v8
	v_add_co_ci_u32_e64 v5, s0, s23, v9, s0
	s_waitcnt lgkmcnt(0)
	s_delay_alu instid0(VALU_DEP_3)
	v_add3_u32 v6, v10, v6, v7
	v_mov_b32_e32 v7, v2
	global_atomic_add_u64 v[4:5], v[6:7], off
	s_branch .LBB167_138
.LBB167_141:
	s_set_inst_prefetch_distance 0x2
	s_mov_b32 s0, 0
.LBB167_142:
	s_delay_alu instid0(SALU_CYCLE_1)
	s_and_b32 vcc_lo, exec_lo, s0
	s_cbranch_vccz .LBB167_202
; %bb.143:
	v_add_co_u32 v1, s0, s30, v0
	s_delay_alu instid0(VALU_DEP_1)
	v_add_co_ci_u32_e64 v2, null, s31, 0, s0
	s_clause 0x8
	global_load_u8 v24, v0, s[30:31] offset:256
	global_load_u8 v22, v0, s[30:31] offset:512
	;; [unrolled: 1-line block ×9, first 2 shown]
	v_add_co_u32 v1, vcc_lo, 0x1000, v1
	v_add_co_ci_u32_e32 v2, vcc_lo, 0, v2, vcc_lo
	s_clause 0xc
	global_load_u8 v23, v0, s[30:31] offset:2560
	global_load_u8 v21, v0, s[30:31] offset:2816
	;; [unrolled: 1-line block ×6, first 2 shown]
	global_load_u8 v11, v[1:2], off
	global_load_u8 v9, v[1:2], off offset:256
	global_load_u8 v10, v[1:2], off offset:512
	;; [unrolled: 1-line block ×4, first 2 shown]
	global_load_u8 v25, v0, s[30:31]
	global_load_u8 v6, v[1:2], off offset:1280
	s_cmp_eq_u32 s28, 0
	v_mov_b32_e32 v1, 0
	s_cselect_b32 s1, -1, 0
	s_cmp_eq_u32 s29, 8
	v_or_b32_e32 v26, 0xffffff00, v0
	s_cselect_b32 s2, -1, 0
	v_lshlrev_b32_e32 v3, 2, v0
	s_and_b32 s1, s1, s2
	s_mov_b32 s0, 0
	s_and_b32 vcc_lo, exec_lo, s1
	s_mov_b32 s1, -1
	s_cbranch_vccnz .LBB167_197
; %bb.144:
	v_or_b32_e32 v2, 0xffffff00, v0
	v_lshlrev_b32_e32 v27, 2, v0
.LBB167_145:                            ; =>This Inner Loop Header: Depth=1
	s_delay_alu instid0(VALU_DEP_2) | instskip(SKIP_4) | instid1(SALU_CYCLE_1)
	v_add_nc_u32_e32 v2, 0x100, v2
	ds_store_b32 v27, v1
	v_add_nc_u32_e32 v27, 0x400, v27
	v_cmp_lt_u32_e32 vcc_lo, 0x2ff, v2
	s_or_b32 s0, vcc_lo, s0
	s_and_not1_b32 exec_lo, exec_lo, s0
	s_cbranch_execnz .LBB167_145
; %bb.146:
	s_or_b32 exec_lo, exec_lo, s0
	s_cmp_gt_u32 s29, s28
	s_waitcnt vmcnt(0) lgkmcnt(0)
	s_waitcnt_vscnt null, 0x0
	s_cselect_b32 s0, -1, 0
	s_cmp_le_u32 s29, s28
	s_barrier
	buffer_gl0_inv
	s_cbranch_scc1 .LBB167_191
; %bb.147:
	v_and_b32_e32 v1, 3, v0
	v_xor_b32_e32 v2, 1, v25
	s_sub_i32 s1, s29, s28
	s_mov_b32 s3, s28
	s_mov_b32 s2, s1
	v_lshlrev_b32_e32 v1, 2, v1
	v_dual_mov_b32 v27, 1 :: v_dual_and_b32 v2, 0xff, v2
	s_delay_alu instid0(VALU_DEP_2)
	v_mov_b32_e32 v28, v1
.LBB167_148:                            ; =>This Inner Loop Header: Depth=1
	s_delay_alu instid0(VALU_DEP_2)
	v_lshrrev_b32_e32 v29, s3, v2
	s_min_u32 s4, s2, 8
	s_add_i32 s3, s3, 8
	s_add_i32 s2, s2, -8
	s_cmp_lt_u32 s3, s29
	v_bfe_u32 v29, v29, 0, s4
	s_delay_alu instid0(VALU_DEP_1)
	v_lshl_add_u32 v29, v29, 4, v28
	v_add_nc_u32_e32 v28, 0x1000, v28
	ds_add_u32 v29, v27
	s_cbranch_scc1 .LBB167_148
; %bb.149:
	v_xor_b32_e32 v27, 1, v24
	v_mov_b32_e32 v2, 1
	v_mov_b32_e32 v28, v1
	s_mov_b32 s2, s1
	s_mov_b32 s3, s28
	v_and_b32_e32 v27, 0xff, v27
.LBB167_150:                            ; =>This Inner Loop Header: Depth=1
	s_delay_alu instid0(VALU_DEP_1)
	v_lshrrev_b32_e32 v29, s3, v27
	s_min_u32 s4, s2, 8
	s_add_i32 s3, s3, 8
	s_add_i32 s2, s2, -8
	s_cmp_lt_u32 s3, s29
	v_bfe_u32 v29, v29, 0, s4
	s_delay_alu instid0(VALU_DEP_1)
	v_lshl_add_u32 v29, v29, 4, v28
	v_add_nc_u32_e32 v28, 0x1000, v28
	ds_add_u32 v29, v2
	s_cbranch_scc1 .LBB167_150
; %bb.151:
	v_xor_b32_e32 v27, 1, v22
	v_mov_b32_e32 v2, 1
	v_mov_b32_e32 v28, v1
	s_mov_b32 s2, s1
	s_mov_b32 s3, s28
	v_and_b32_e32 v27, 0xff, v27
.LBB167_152:                            ; =>This Inner Loop Header: Depth=1
	s_delay_alu instid0(VALU_DEP_1)
	v_lshrrev_b32_e32 v29, s3, v27
	s_min_u32 s4, s2, 8
	s_add_i32 s3, s3, 8
	s_add_i32 s2, s2, -8
	s_cmp_lt_u32 s3, s29
	v_bfe_u32 v29, v29, 0, s4
	s_delay_alu instid0(VALU_DEP_1)
	v_lshl_add_u32 v29, v29, 4, v28
	v_add_nc_u32_e32 v28, 0x1000, v28
	ds_add_u32 v29, v2
	s_cbranch_scc1 .LBB167_152
; %bb.153:
	v_xor_b32_e32 v27, 1, v20
	v_mov_b32_e32 v2, 1
	v_mov_b32_e32 v28, v1
	s_mov_b32 s2, s1
	s_mov_b32 s3, s28
	v_and_b32_e32 v27, 0xff, v27
.LBB167_154:                            ; =>This Inner Loop Header: Depth=1
	s_delay_alu instid0(VALU_DEP_1)
	v_lshrrev_b32_e32 v29, s3, v27
	s_min_u32 s4, s2, 8
	s_add_i32 s3, s3, 8
	s_add_i32 s2, s2, -8
	s_cmp_lt_u32 s3, s29
	v_bfe_u32 v29, v29, 0, s4
	s_delay_alu instid0(VALU_DEP_1)
	v_lshl_add_u32 v29, v29, 4, v28
	v_add_nc_u32_e32 v28, 0x1000, v28
	ds_add_u32 v29, v2
	s_cbranch_scc1 .LBB167_154
; %bb.155:
	v_xor_b32_e32 v27, 1, v18
	v_mov_b32_e32 v2, 1
	v_mov_b32_e32 v28, v1
	s_mov_b32 s2, s1
	s_mov_b32 s3, s28
	v_and_b32_e32 v27, 0xff, v27
.LBB167_156:                            ; =>This Inner Loop Header: Depth=1
	s_delay_alu instid0(VALU_DEP_1)
	v_lshrrev_b32_e32 v29, s3, v27
	s_min_u32 s4, s2, 8
	s_add_i32 s3, s3, 8
	s_add_i32 s2, s2, -8
	s_cmp_lt_u32 s3, s29
	v_bfe_u32 v29, v29, 0, s4
	s_delay_alu instid0(VALU_DEP_1)
	v_lshl_add_u32 v29, v29, 4, v28
	v_add_nc_u32_e32 v28, 0x1000, v28
	ds_add_u32 v29, v2
	s_cbranch_scc1 .LBB167_156
; %bb.157:
	v_xor_b32_e32 v27, 1, v16
	v_mov_b32_e32 v2, 1
	v_mov_b32_e32 v28, v1
	s_mov_b32 s2, s1
	s_mov_b32 s3, s28
	v_and_b32_e32 v27, 0xff, v27
.LBB167_158:                            ; =>This Inner Loop Header: Depth=1
	s_delay_alu instid0(VALU_DEP_1)
	v_lshrrev_b32_e32 v29, s3, v27
	s_min_u32 s4, s2, 8
	s_add_i32 s3, s3, 8
	s_add_i32 s2, s2, -8
	s_cmp_lt_u32 s3, s29
	v_bfe_u32 v29, v29, 0, s4
	s_delay_alu instid0(VALU_DEP_1)
	v_lshl_add_u32 v29, v29, 4, v28
	v_add_nc_u32_e32 v28, 0x1000, v28
	ds_add_u32 v29, v2
	s_cbranch_scc1 .LBB167_158
; %bb.159:
	v_xor_b32_e32 v27, 1, v15
	v_mov_b32_e32 v2, 1
	v_mov_b32_e32 v28, v1
	s_mov_b32 s2, s1
	s_mov_b32 s3, s28
	v_and_b32_e32 v27, 0xff, v27
.LBB167_160:                            ; =>This Inner Loop Header: Depth=1
	s_delay_alu instid0(VALU_DEP_1)
	v_lshrrev_b32_e32 v29, s3, v27
	s_min_u32 s4, s2, 8
	s_add_i32 s3, s3, 8
	s_add_i32 s2, s2, -8
	s_cmp_lt_u32 s3, s29
	v_bfe_u32 v29, v29, 0, s4
	s_delay_alu instid0(VALU_DEP_1)
	v_lshl_add_u32 v29, v29, 4, v28
	v_add_nc_u32_e32 v28, 0x1000, v28
	ds_add_u32 v29, v2
	s_cbranch_scc1 .LBB167_160
; %bb.161:
	v_xor_b32_e32 v27, 1, v14
	v_mov_b32_e32 v2, 1
	v_mov_b32_e32 v28, v1
	s_mov_b32 s2, s1
	s_mov_b32 s3, s28
	v_and_b32_e32 v27, 0xff, v27
.LBB167_162:                            ; =>This Inner Loop Header: Depth=1
	s_delay_alu instid0(VALU_DEP_1)
	v_lshrrev_b32_e32 v29, s3, v27
	s_min_u32 s4, s2, 8
	s_add_i32 s3, s3, 8
	s_add_i32 s2, s2, -8
	s_cmp_lt_u32 s3, s29
	v_bfe_u32 v29, v29, 0, s4
	s_delay_alu instid0(VALU_DEP_1)
	v_lshl_add_u32 v29, v29, 4, v28
	v_add_nc_u32_e32 v28, 0x1000, v28
	ds_add_u32 v29, v2
	s_cbranch_scc1 .LBB167_162
; %bb.163:
	v_xor_b32_e32 v27, 1, v13
	v_mov_b32_e32 v2, 1
	v_mov_b32_e32 v28, v1
	s_mov_b32 s2, s1
	s_mov_b32 s3, s28
	v_and_b32_e32 v27, 0xff, v27
.LBB167_164:                            ; =>This Inner Loop Header: Depth=1
	s_delay_alu instid0(VALU_DEP_1)
	v_lshrrev_b32_e32 v29, s3, v27
	s_min_u32 s4, s2, 8
	s_add_i32 s3, s3, 8
	s_add_i32 s2, s2, -8
	s_cmp_lt_u32 s3, s29
	v_bfe_u32 v29, v29, 0, s4
	s_delay_alu instid0(VALU_DEP_1)
	v_lshl_add_u32 v29, v29, 4, v28
	v_add_nc_u32_e32 v28, 0x1000, v28
	ds_add_u32 v29, v2
	s_cbranch_scc1 .LBB167_164
; %bb.165:
	v_xor_b32_e32 v27, 1, v12
	v_mov_b32_e32 v2, 1
	v_mov_b32_e32 v28, v1
	s_mov_b32 s2, s1
	s_mov_b32 s3, s28
	v_and_b32_e32 v27, 0xff, v27
.LBB167_166:                            ; =>This Inner Loop Header: Depth=1
	s_delay_alu instid0(VALU_DEP_1)
	v_lshrrev_b32_e32 v29, s3, v27
	s_min_u32 s4, s2, 8
	s_add_i32 s3, s3, 8
	s_add_i32 s2, s2, -8
	s_cmp_lt_u32 s3, s29
	v_bfe_u32 v29, v29, 0, s4
	s_delay_alu instid0(VALU_DEP_1)
	v_lshl_add_u32 v29, v29, 4, v28
	v_add_nc_u32_e32 v28, 0x1000, v28
	ds_add_u32 v29, v2
	s_cbranch_scc1 .LBB167_166
; %bb.167:
	v_xor_b32_e32 v27, 1, v23
	v_mov_b32_e32 v2, 1
	v_mov_b32_e32 v28, v1
	s_mov_b32 s2, s1
	s_mov_b32 s3, s28
	v_and_b32_e32 v27, 0xff, v27
.LBB167_168:                            ; =>This Inner Loop Header: Depth=1
	s_delay_alu instid0(VALU_DEP_1)
	v_lshrrev_b32_e32 v29, s3, v27
	s_min_u32 s4, s2, 8
	s_add_i32 s3, s3, 8
	s_add_i32 s2, s2, -8
	s_cmp_lt_u32 s3, s29
	v_bfe_u32 v29, v29, 0, s4
	s_delay_alu instid0(VALU_DEP_1)
	v_lshl_add_u32 v29, v29, 4, v28
	v_add_nc_u32_e32 v28, 0x1000, v28
	ds_add_u32 v29, v2
	s_cbranch_scc1 .LBB167_168
; %bb.169:
	v_xor_b32_e32 v27, 1, v21
	v_mov_b32_e32 v2, 1
	v_mov_b32_e32 v28, v1
	s_mov_b32 s2, s1
	s_mov_b32 s3, s28
	v_and_b32_e32 v27, 0xff, v27
.LBB167_170:                            ; =>This Inner Loop Header: Depth=1
	s_delay_alu instid0(VALU_DEP_1)
	v_lshrrev_b32_e32 v29, s3, v27
	s_min_u32 s4, s2, 8
	s_add_i32 s3, s3, 8
	s_add_i32 s2, s2, -8
	s_cmp_lt_u32 s3, s29
	v_bfe_u32 v29, v29, 0, s4
	s_delay_alu instid0(VALU_DEP_1)
	v_lshl_add_u32 v29, v29, 4, v28
	v_add_nc_u32_e32 v28, 0x1000, v28
	ds_add_u32 v29, v2
	s_cbranch_scc1 .LBB167_170
; %bb.171:
	v_xor_b32_e32 v27, 1, v19
	v_mov_b32_e32 v2, 1
	v_mov_b32_e32 v28, v1
	s_mov_b32 s2, s1
	s_mov_b32 s3, s28
	v_and_b32_e32 v27, 0xff, v27
.LBB167_172:                            ; =>This Inner Loop Header: Depth=1
	s_delay_alu instid0(VALU_DEP_1)
	v_lshrrev_b32_e32 v29, s3, v27
	s_min_u32 s4, s2, 8
	s_add_i32 s3, s3, 8
	s_add_i32 s2, s2, -8
	s_cmp_lt_u32 s3, s29
	v_bfe_u32 v29, v29, 0, s4
	s_delay_alu instid0(VALU_DEP_1)
	v_lshl_add_u32 v29, v29, 4, v28
	v_add_nc_u32_e32 v28, 0x1000, v28
	ds_add_u32 v29, v2
	s_cbranch_scc1 .LBB167_172
; %bb.173:
	v_xor_b32_e32 v27, 1, v17
	v_mov_b32_e32 v2, 1
	v_mov_b32_e32 v28, v1
	s_mov_b32 s2, s1
	s_mov_b32 s3, s28
	v_and_b32_e32 v27, 0xff, v27
.LBB167_174:                            ; =>This Inner Loop Header: Depth=1
	s_delay_alu instid0(VALU_DEP_1)
	v_lshrrev_b32_e32 v29, s3, v27
	s_min_u32 s4, s2, 8
	s_add_i32 s3, s3, 8
	s_add_i32 s2, s2, -8
	s_cmp_lt_u32 s3, s29
	v_bfe_u32 v29, v29, 0, s4
	s_delay_alu instid0(VALU_DEP_1)
	v_lshl_add_u32 v29, v29, 4, v28
	v_add_nc_u32_e32 v28, 0x1000, v28
	ds_add_u32 v29, v2
	s_cbranch_scc1 .LBB167_174
; %bb.175:
	v_xor_b32_e32 v27, 1, v7
	v_mov_b32_e32 v2, 1
	v_mov_b32_e32 v28, v1
	s_mov_b32 s2, s1
	s_mov_b32 s3, s28
	v_and_b32_e32 v27, 0xff, v27
.LBB167_176:                            ; =>This Inner Loop Header: Depth=1
	s_delay_alu instid0(VALU_DEP_1)
	v_lshrrev_b32_e32 v29, s3, v27
	s_min_u32 s4, s2, 8
	s_add_i32 s3, s3, 8
	s_add_i32 s2, s2, -8
	s_cmp_lt_u32 s3, s29
	v_bfe_u32 v29, v29, 0, s4
	s_delay_alu instid0(VALU_DEP_1)
	v_lshl_add_u32 v29, v29, 4, v28
	v_add_nc_u32_e32 v28, 0x1000, v28
	ds_add_u32 v29, v2
	s_cbranch_scc1 .LBB167_176
; %bb.177:
	v_xor_b32_e32 v27, 1, v8
	v_mov_b32_e32 v2, 1
	v_mov_b32_e32 v28, v1
	s_mov_b32 s2, s1
	s_mov_b32 s3, s28
	v_and_b32_e32 v27, 0xff, v27
.LBB167_178:                            ; =>This Inner Loop Header: Depth=1
	s_delay_alu instid0(VALU_DEP_1)
	v_lshrrev_b32_e32 v29, s3, v27
	s_min_u32 s4, s2, 8
	s_add_i32 s3, s3, 8
	s_add_i32 s2, s2, -8
	s_cmp_lt_u32 s3, s29
	v_bfe_u32 v29, v29, 0, s4
	s_delay_alu instid0(VALU_DEP_1)
	v_lshl_add_u32 v29, v29, 4, v28
	v_add_nc_u32_e32 v28, 0x1000, v28
	ds_add_u32 v29, v2
	s_cbranch_scc1 .LBB167_178
; %bb.179:
	v_xor_b32_e32 v27, 1, v11
	v_mov_b32_e32 v2, 1
	v_mov_b32_e32 v28, v1
	s_mov_b32 s2, s1
	s_mov_b32 s3, s28
	v_and_b32_e32 v27, 0xff, v27
.LBB167_180:                            ; =>This Inner Loop Header: Depth=1
	s_delay_alu instid0(VALU_DEP_1)
	v_lshrrev_b32_e32 v29, s3, v27
	s_min_u32 s4, s2, 8
	s_add_i32 s3, s3, 8
	s_add_i32 s2, s2, -8
	s_cmp_lt_u32 s3, s29
	v_bfe_u32 v29, v29, 0, s4
	s_delay_alu instid0(VALU_DEP_1)
	v_lshl_add_u32 v29, v29, 4, v28
	v_add_nc_u32_e32 v28, 0x1000, v28
	ds_add_u32 v29, v2
	s_cbranch_scc1 .LBB167_180
; %bb.181:
	v_xor_b32_e32 v27, 1, v9
	v_mov_b32_e32 v2, 1
	v_mov_b32_e32 v28, v1
	s_mov_b32 s2, s1
	s_mov_b32 s3, s28
	v_and_b32_e32 v27, 0xff, v27
.LBB167_182:                            ; =>This Inner Loop Header: Depth=1
	s_delay_alu instid0(VALU_DEP_1)
	v_lshrrev_b32_e32 v29, s3, v27
	s_min_u32 s4, s2, 8
	s_add_i32 s3, s3, 8
	s_add_i32 s2, s2, -8
	s_cmp_lt_u32 s3, s29
	v_bfe_u32 v29, v29, 0, s4
	s_delay_alu instid0(VALU_DEP_1)
	v_lshl_add_u32 v29, v29, 4, v28
	v_add_nc_u32_e32 v28, 0x1000, v28
	ds_add_u32 v29, v2
	s_cbranch_scc1 .LBB167_182
; %bb.183:
	v_xor_b32_e32 v27, 1, v10
	v_mov_b32_e32 v2, 1
	v_mov_b32_e32 v28, v1
	s_mov_b32 s2, s1
	s_mov_b32 s3, s28
	v_and_b32_e32 v27, 0xff, v27
.LBB167_184:                            ; =>This Inner Loop Header: Depth=1
	s_delay_alu instid0(VALU_DEP_1)
	v_lshrrev_b32_e32 v29, s3, v27
	s_min_u32 s4, s2, 8
	s_add_i32 s3, s3, 8
	s_add_i32 s2, s2, -8
	s_cmp_lt_u32 s3, s29
	v_bfe_u32 v29, v29, 0, s4
	s_delay_alu instid0(VALU_DEP_1)
	v_lshl_add_u32 v29, v29, 4, v28
	v_add_nc_u32_e32 v28, 0x1000, v28
	ds_add_u32 v29, v2
	s_cbranch_scc1 .LBB167_184
; %bb.185:
	v_xor_b32_e32 v27, 1, v4
	v_mov_b32_e32 v2, 1
	v_mov_b32_e32 v28, v1
	s_mov_b32 s2, s1
	s_mov_b32 s3, s28
	v_and_b32_e32 v27, 0xff, v27
.LBB167_186:                            ; =>This Inner Loop Header: Depth=1
	s_delay_alu instid0(VALU_DEP_1)
	v_lshrrev_b32_e32 v29, s3, v27
	s_min_u32 s4, s2, 8
	s_add_i32 s3, s3, 8
	s_add_i32 s2, s2, -8
	s_cmp_lt_u32 s3, s29
	v_bfe_u32 v29, v29, 0, s4
	s_delay_alu instid0(VALU_DEP_1)
	v_lshl_add_u32 v29, v29, 4, v28
	v_add_nc_u32_e32 v28, 0x1000, v28
	ds_add_u32 v29, v2
	s_cbranch_scc1 .LBB167_186
; %bb.187:
	v_xor_b32_e32 v27, 1, v5
	v_mov_b32_e32 v2, 1
	v_mov_b32_e32 v28, v1
	s_mov_b32 s2, s1
	s_mov_b32 s3, s28
	v_and_b32_e32 v27, 0xff, v27
.LBB167_188:                            ; =>This Inner Loop Header: Depth=1
	s_delay_alu instid0(VALU_DEP_1)
	v_lshrrev_b32_e32 v29, s3, v27
	s_min_u32 s4, s2, 8
	s_add_i32 s3, s3, 8
	s_add_i32 s2, s2, -8
	s_cmp_lt_u32 s3, s29
	v_bfe_u32 v29, v29, 0, s4
	s_delay_alu instid0(VALU_DEP_1)
	v_lshl_add_u32 v29, v29, 4, v28
	v_add_nc_u32_e32 v28, 0x1000, v28
	ds_add_u32 v29, v2
	s_cbranch_scc1 .LBB167_188
; %bb.189:
	v_xor_b32_e32 v2, 1, v6
	s_mov_b32 s2, s28
	s_delay_alu instid0(VALU_DEP_1)
	v_dual_mov_b32 v27, 1 :: v_dual_and_b32 v2, 0xff, v2
.LBB167_190:                            ; =>This Inner Loop Header: Depth=1
	s_delay_alu instid0(VALU_DEP_1)
	v_lshrrev_b32_e32 v28, s2, v2
	s_min_u32 s3, s1, 8
	s_add_i32 s2, s2, 8
	s_add_i32 s1, s1, -8
	s_cmp_lt_u32 s2, s29
	v_bfe_u32 v28, v28, 0, s3
	s_delay_alu instid0(VALU_DEP_1)
	v_lshl_add_u32 v28, v28, 4, v1
	v_add_nc_u32_e32 v1, 0x1000, v1
	ds_add_u32 v28, v27
	s_cbranch_scc1 .LBB167_190
.LBB167_191:
	s_and_b32 vcc_lo, exec_lo, s0
	s_waitcnt lgkmcnt(0)
	s_barrier
	buffer_gl0_inv
	s_cbranch_vccz .LBB167_196
; %bb.192:
	v_cmp_gt_u32_e32 vcc_lo, 0x100, v0
	v_dual_mov_b32 v2, 0 :: v_dual_lshlrev_b32 v27, 4, v0
	v_mov_b32_e32 v1, v0
	s_set_inst_prefetch_distance 0x1
	s_branch .LBB167_194
	.p2align	6
.LBB167_193:                            ;   in Loop: Header=BB167_194 Depth=1
	s_or_b32 exec_lo, exec_lo, s1
	v_add_nc_u32_e32 v1, 0x100, v1
	v_add_nc_u32_e32 v27, 0x1000, v27
	s_add_i32 s28, s28, 8
	s_delay_alu instid0(SALU_CYCLE_1)
	s_cmp_ge_u32 s28, s29
	s_cbranch_scc1 .LBB167_196
.LBB167_194:                            ; =>This Inner Loop Header: Depth=1
	s_and_saveexec_b32 s1, vcc_lo
	s_cbranch_execz .LBB167_193
; %bb.195:                              ;   in Loop: Header=BB167_194 Depth=1
	ds_load_2addr_b32 v[28:29], v27 offset1:1
	ds_load_2addr_b32 v[30:31], v27 offset0:2 offset1:3
	v_lshlrev_b64 v[32:33], 3, v[1:2]
	s_waitcnt lgkmcnt(1)
	v_add_nc_u32_e32 v34, v29, v28
	s_delay_alu instid0(VALU_DEP_2) | instskip(NEXT) | instid1(VALU_DEP_1)
	v_add_co_u32 v28, s0, s22, v32
	v_add_co_ci_u32_e64 v29, s0, s23, v33, s0
	s_waitcnt lgkmcnt(0)
	s_delay_alu instid0(VALU_DEP_3)
	v_add3_u32 v30, v34, v30, v31
	v_mov_b32_e32 v31, v2
	global_atomic_add_u64 v[28:29], v[30:31], off
	s_branch .LBB167_193
.LBB167_196:
	s_set_inst_prefetch_distance 0x2
	s_mov_b32 s1, 0
.LBB167_197:
	s_delay_alu instid0(SALU_CYCLE_1)
	s_and_b32 vcc_lo, exec_lo, s1
	s_cbranch_vccz .LBB167_202
; %bb.198:
	v_dual_mov_b32 v1, 0 :: v_dual_mov_b32 v2, v3
	s_mov_b32 s0, 0
.LBB167_199:                            ; =>This Inner Loop Header: Depth=1
	v_add_nc_u32_e32 v26, 0x100, v26
	ds_store_b32 v2, v1
	v_add_nc_u32_e32 v2, 0x400, v2
	v_cmp_lt_u32_e32 vcc_lo, 0x2ff, v26
	s_or_b32 s0, vcc_lo, s0
	s_delay_alu instid0(SALU_CYCLE_1)
	s_and_not1_b32 exec_lo, exec_lo, s0
	s_cbranch_execnz .LBB167_199
; %bb.200:
	s_or_b32 exec_lo, exec_lo, s0
	s_waitcnt vmcnt(1)
	v_and_b32_e32 v1, 1, v25
	v_dual_mov_b32 v25, 1 :: v_dual_and_b32 v2, 1, v24
	v_and_b32_e32 v24, 3, v0
	v_and_b32_e32 v22, 1, v22
	s_delay_alu instid0(VALU_DEP_4)
	v_cmp_eq_u32_e32 vcc_lo, 1, v1
	v_and_b32_e32 v20, 1, v20
	s_waitcnt vmcnt(0) lgkmcnt(0)
	s_waitcnt_vscnt null, 0x0
	s_barrier
	buffer_gl0_inv
	v_cndmask_b32_e64 v1, 4, 0, vcc_lo
	v_cmp_eq_u32_e32 vcc_lo, 1, v2
	v_and_b32_e32 v18, 1, v18
	v_and_b32_e32 v16, 1, v16
	v_and_b32_e32 v15, 1, v15
	v_or_b32_e32 v1, v1, v24
	v_cndmask_b32_e64 v2, 4, 0, vcc_lo
	v_cmp_eq_u32_e32 vcc_lo, 1, v22
	v_and_b32_e32 v14, 1, v14
	v_and_b32_e32 v13, 1, v13
	v_lshlrev_b32_e32 v1, 2, v1
	v_or_b32_e32 v2, v2, v24
	v_and_b32_e32 v12, 1, v12
	v_and_b32_e32 v23, 1, v23
	;; [unrolled: 1-line block ×4, first 2 shown]
	v_lshlrev_b32_e32 v2, 2, v2
	v_and_b32_e32 v17, 1, v17
	v_and_b32_e32 v7, 1, v7
	ds_add_u32 v1, v25
	ds_add_u32 v2, v25
	v_cndmask_b32_e64 v1, 4, 0, vcc_lo
	v_cmp_eq_u32_e32 vcc_lo, 1, v20
	v_and_b32_e32 v8, 1, v8
	v_and_b32_e32 v11, 1, v11
	;; [unrolled: 1-line block ×3, first 2 shown]
	v_or_b32_e32 v1, v1, v24
	v_cndmask_b32_e64 v2, 4, 0, vcc_lo
	v_cmp_eq_u32_e32 vcc_lo, 1, v18
	v_and_b32_e32 v10, 1, v10
	v_and_b32_e32 v4, 1, v4
	v_lshlrev_b32_e32 v1, 2, v1
	v_or_b32_e32 v2, v2, v24
	v_cndmask_b32_e64 v18, 4, 0, vcc_lo
	v_cmp_eq_u32_e32 vcc_lo, 1, v16
	v_and_b32_e32 v5, 1, v5
	v_and_b32_e32 v6, 1, v6
	v_lshlrev_b32_e32 v2, 2, v2
	v_or_b32_e32 v18, v18, v24
	v_cndmask_b32_e64 v16, 4, 0, vcc_lo
	v_cmp_eq_u32_e32 vcc_lo, 1, v15
	s_mov_b32 s0, exec_lo
	s_delay_alu instid0(VALU_DEP_3) | instskip(NEXT) | instid1(VALU_DEP_3)
	v_lshlrev_b32_e32 v18, 2, v18
	v_or_b32_e32 v16, v16, v24
	v_cndmask_b32_e64 v15, 4, 0, vcc_lo
	v_cmp_eq_u32_e32 vcc_lo, 1, v14
	s_delay_alu instid0(VALU_DEP_3) | instskip(NEXT) | instid1(VALU_DEP_3)
	v_lshlrev_b32_e32 v16, 2, v16
	v_or_b32_e32 v15, v15, v24
	s_delay_alu instid0(VALU_DEP_1)
	v_lshlrev_b32_e32 v15, 2, v15
	ds_add_u32 v1, v25
	ds_add_u32 v2, v25
	;; [unrolled: 1-line block ×5, first 2 shown]
	v_cndmask_b32_e64 v1, 4, 0, vcc_lo
	v_cmp_eq_u32_e32 vcc_lo, 1, v13
	s_delay_alu instid0(VALU_DEP_2) | instskip(SKIP_2) | instid1(VALU_DEP_3)
	v_or_b32_e32 v1, v1, v24
	v_cndmask_b32_e64 v2, 4, 0, vcc_lo
	v_cmp_eq_u32_e32 vcc_lo, 1, v12
	v_lshlrev_b32_e32 v1, 2, v1
	s_delay_alu instid0(VALU_DEP_3) | instskip(SKIP_2) | instid1(VALU_DEP_3)
	v_or_b32_e32 v2, v2, v24
	v_cndmask_b32_e64 v12, 4, 0, vcc_lo
	v_cmp_eq_u32_e32 vcc_lo, 1, v23
	v_lshlrev_b32_e32 v2, 2, v2
	s_delay_alu instid0(VALU_DEP_3) | instskip(SKIP_2) | instid1(VALU_DEP_3)
	;; [unrolled: 5-line block ×3, first 2 shown]
	v_or_b32_e32 v13, v13, v24
	v_cndmask_b32_e64 v14, 4, 0, vcc_lo
	v_cmp_eq_u32_e32 vcc_lo, 1, v19
	v_lshlrev_b32_e32 v13, 2, v13
	s_delay_alu instid0(VALU_DEP_3) | instskip(NEXT) | instid1(VALU_DEP_1)
	v_or_b32_e32 v14, v14, v24
	v_lshlrev_b32_e32 v14, 2, v14
	ds_add_u32 v1, v25
	ds_add_u32 v2, v25
	;; [unrolled: 1-line block ×5, first 2 shown]
	v_cndmask_b32_e64 v1, 4, 0, vcc_lo
	v_cmp_eq_u32_e32 vcc_lo, 1, v17
	s_delay_alu instid0(VALU_DEP_2) | instskip(SKIP_2) | instid1(VALU_DEP_3)
	v_or_b32_e32 v1, v1, v24
	v_cndmask_b32_e64 v2, 4, 0, vcc_lo
	v_cmp_eq_u32_e32 vcc_lo, 1, v7
	v_lshlrev_b32_e32 v1, 2, v1
	s_delay_alu instid0(VALU_DEP_3) | instskip(SKIP_2) | instid1(VALU_DEP_3)
	v_or_b32_e32 v2, v2, v24
	v_cndmask_b32_e64 v7, 4, 0, vcc_lo
	v_cmp_eq_u32_e32 vcc_lo, 1, v8
	v_lshlrev_b32_e32 v2, 2, v2
	s_delay_alu instid0(VALU_DEP_3) | instskip(SKIP_2) | instid1(VALU_DEP_3)
	v_or_b32_e32 v7, v7, v24
	v_cndmask_b32_e64 v8, 4, 0, vcc_lo
	v_cmp_eq_u32_e32 vcc_lo, 1, v11
	v_lshlrev_b32_e32 v7, 2, v7
	s_delay_alu instid0(VALU_DEP_3) | instskip(SKIP_2) | instid1(VALU_DEP_3)
	v_or_b32_e32 v8, v8, v24
	v_cndmask_b32_e64 v11, 4, 0, vcc_lo
	v_cmp_eq_u32_e32 vcc_lo, 1, v9
	v_lshlrev_b32_e32 v8, 2, v8
	s_delay_alu instid0(VALU_DEP_3) | instskip(NEXT) | instid1(VALU_DEP_1)
	v_or_b32_e32 v11, v11, v24
	v_lshlrev_b32_e32 v11, 2, v11
	ds_add_u32 v1, v25
	ds_add_u32 v2, v25
	ds_add_u32 v7, v25
	ds_add_u32 v8, v25
	ds_add_u32 v11, v25
	v_cndmask_b32_e64 v1, 4, 0, vcc_lo
	v_cmp_eq_u32_e32 vcc_lo, 1, v10
	s_delay_alu instid0(VALU_DEP_2) | instskip(SKIP_2) | instid1(VALU_DEP_3)
	v_or_b32_e32 v1, v1, v24
	v_cndmask_b32_e64 v2, 4, 0, vcc_lo
	v_cmp_eq_u32_e32 vcc_lo, 1, v4
	v_lshlrev_b32_e32 v1, 2, v1
	s_delay_alu instid0(VALU_DEP_3) | instskip(SKIP_2) | instid1(VALU_DEP_3)
	v_or_b32_e32 v2, v2, v24
	v_cndmask_b32_e64 v4, 4, 0, vcc_lo
	v_cmp_eq_u32_e32 vcc_lo, 1, v5
	v_lshlrev_b32_e32 v2, 2, v2
	s_delay_alu instid0(VALU_DEP_3) | instskip(SKIP_2) | instid1(VALU_DEP_3)
	v_or_b32_e32 v4, v4, v24
	v_cndmask_b32_e64 v5, 4, 0, vcc_lo
	v_cmp_eq_u32_e32 vcc_lo, 1, v6
	v_lshlrev_b32_e32 v4, 2, v4
	s_delay_alu instid0(VALU_DEP_3) | instskip(SKIP_1) | instid1(VALU_DEP_2)
	v_or_b32_e32 v5, v5, v24
	v_cndmask_b32_e64 v6, 4, 0, vcc_lo
	v_lshlrev_b32_e32 v5, 2, v5
	s_delay_alu instid0(VALU_DEP_2) | instskip(NEXT) | instid1(VALU_DEP_1)
	v_or_b32_e32 v6, v6, v24
	v_lshlrev_b32_e32 v6, 2, v6
	ds_add_u32 v1, v25
	ds_add_u32 v2, v25
	;; [unrolled: 1-line block ×5, first 2 shown]
	s_waitcnt lgkmcnt(0)
	s_barrier
	buffer_gl0_inv
	v_cmpx_gt_u32_e32 0x100, v0
	s_cbranch_execz .LBB167_202
; %bb.201:
	v_lshlrev_b32_e32 v3, 2, v3
	ds_load_2addr_b32 v[1:2], v3 offset1:1
	ds_load_2addr_b32 v[3:4], v3 offset0:2 offset1:3
	s_waitcnt lgkmcnt(1)
	v_add_nc_u32_e32 v1, v2, v1
	v_lshlrev_b32_e32 v2, 3, v0
	s_waitcnt lgkmcnt(0)
	s_delay_alu instid0(VALU_DEP_2)
	v_add3_u32 v0, v1, v3, v4
	v_mov_b32_e32 v1, 0
	global_atomic_add_u64 v2, v[0:1], s[22:23]
.LBB167_202:
	s_nop 0
	s_sendmsg sendmsg(MSG_DEALLOC_VGPRS)
	s_endpgm
	.section	.rodata,"a",@progbits
	.p2align	6, 0x0
	.amdhsa_kernel _ZN7rocprim17ROCPRIM_304000_NS6detail26onesweep_histograms_kernelINS1_34wrapped_radix_sort_onesweep_configINS0_14default_configEbN2at4cuda3cub6detail10OpaqueTypeILi8EEEEELb1EPKbmNS0_19identity_decomposerEEEvT1_PT2_SG_SG_T3_jj
		.amdhsa_group_segment_fixed_size 4096
		.amdhsa_private_segment_fixed_size 0
		.amdhsa_kernarg_size 44
		.amdhsa_user_sgpr_count 15
		.amdhsa_user_sgpr_dispatch_ptr 0
		.amdhsa_user_sgpr_queue_ptr 0
		.amdhsa_user_sgpr_kernarg_segment_ptr 1
		.amdhsa_user_sgpr_dispatch_id 0
		.amdhsa_user_sgpr_private_segment_size 0
		.amdhsa_wavefront_size32 1
		.amdhsa_uses_dynamic_stack 0
		.amdhsa_enable_private_segment 0
		.amdhsa_system_sgpr_workgroup_id_x 1
		.amdhsa_system_sgpr_workgroup_id_y 0
		.amdhsa_system_sgpr_workgroup_id_z 0
		.amdhsa_system_sgpr_workgroup_info 0
		.amdhsa_system_vgpr_workitem_id 0
		.amdhsa_next_free_vgpr 35
		.amdhsa_next_free_sgpr 34
		.amdhsa_reserve_vcc 1
		.amdhsa_float_round_mode_32 0
		.amdhsa_float_round_mode_16_64 0
		.amdhsa_float_denorm_mode_32 3
		.amdhsa_float_denorm_mode_16_64 3
		.amdhsa_dx10_clamp 1
		.amdhsa_ieee_mode 1
		.amdhsa_fp16_overflow 0
		.amdhsa_workgroup_processor_mode 1
		.amdhsa_memory_ordered 1
		.amdhsa_forward_progress 0
		.amdhsa_shared_vgpr_count 0
		.amdhsa_exception_fp_ieee_invalid_op 0
		.amdhsa_exception_fp_denorm_src 0
		.amdhsa_exception_fp_ieee_div_zero 0
		.amdhsa_exception_fp_ieee_overflow 0
		.amdhsa_exception_fp_ieee_underflow 0
		.amdhsa_exception_fp_ieee_inexact 0
		.amdhsa_exception_int_div_zero 0
	.end_amdhsa_kernel
	.section	.text._ZN7rocprim17ROCPRIM_304000_NS6detail26onesweep_histograms_kernelINS1_34wrapped_radix_sort_onesweep_configINS0_14default_configEbN2at4cuda3cub6detail10OpaqueTypeILi8EEEEELb1EPKbmNS0_19identity_decomposerEEEvT1_PT2_SG_SG_T3_jj,"axG",@progbits,_ZN7rocprim17ROCPRIM_304000_NS6detail26onesweep_histograms_kernelINS1_34wrapped_radix_sort_onesweep_configINS0_14default_configEbN2at4cuda3cub6detail10OpaqueTypeILi8EEEEELb1EPKbmNS0_19identity_decomposerEEEvT1_PT2_SG_SG_T3_jj,comdat
.Lfunc_end167:
	.size	_ZN7rocprim17ROCPRIM_304000_NS6detail26onesweep_histograms_kernelINS1_34wrapped_radix_sort_onesweep_configINS0_14default_configEbN2at4cuda3cub6detail10OpaqueTypeILi8EEEEELb1EPKbmNS0_19identity_decomposerEEEvT1_PT2_SG_SG_T3_jj, .Lfunc_end167-_ZN7rocprim17ROCPRIM_304000_NS6detail26onesweep_histograms_kernelINS1_34wrapped_radix_sort_onesweep_configINS0_14default_configEbN2at4cuda3cub6detail10OpaqueTypeILi8EEEEELb1EPKbmNS0_19identity_decomposerEEEvT1_PT2_SG_SG_T3_jj
                                        ; -- End function
	.section	.AMDGPU.csdata,"",@progbits
; Kernel info:
; codeLenInByte = 7368
; NumSgprs: 36
; NumVgprs: 35
; ScratchSize: 0
; MemoryBound: 0
; FloatMode: 240
; IeeeMode: 1
; LDSByteSize: 4096 bytes/workgroup (compile time only)
; SGPRBlocks: 4
; VGPRBlocks: 4
; NumSGPRsForWavesPerEU: 36
; NumVGPRsForWavesPerEU: 35
; Occupancy: 16
; WaveLimiterHint : 1
; COMPUTE_PGM_RSRC2:SCRATCH_EN: 0
; COMPUTE_PGM_RSRC2:USER_SGPR: 15
; COMPUTE_PGM_RSRC2:TRAP_HANDLER: 0
; COMPUTE_PGM_RSRC2:TGID_X_EN: 1
; COMPUTE_PGM_RSRC2:TGID_Y_EN: 0
; COMPUTE_PGM_RSRC2:TGID_Z_EN: 0
; COMPUTE_PGM_RSRC2:TIDIG_COMP_CNT: 0
	.section	.text._ZN7rocprim17ROCPRIM_304000_NS6detail31onesweep_scan_histograms_kernelINS1_34wrapped_radix_sort_onesweep_configINS0_14default_configEbN2at4cuda3cub6detail10OpaqueTypeILi8EEEEEmEEvPT0_,"axG",@progbits,_ZN7rocprim17ROCPRIM_304000_NS6detail31onesweep_scan_histograms_kernelINS1_34wrapped_radix_sort_onesweep_configINS0_14default_configEbN2at4cuda3cub6detail10OpaqueTypeILi8EEEEEmEEvPT0_,comdat
	.protected	_ZN7rocprim17ROCPRIM_304000_NS6detail31onesweep_scan_histograms_kernelINS1_34wrapped_radix_sort_onesweep_configINS0_14default_configEbN2at4cuda3cub6detail10OpaqueTypeILi8EEEEEmEEvPT0_ ; -- Begin function _ZN7rocprim17ROCPRIM_304000_NS6detail31onesweep_scan_histograms_kernelINS1_34wrapped_radix_sort_onesweep_configINS0_14default_configEbN2at4cuda3cub6detail10OpaqueTypeILi8EEEEEmEEvPT0_
	.globl	_ZN7rocprim17ROCPRIM_304000_NS6detail31onesweep_scan_histograms_kernelINS1_34wrapped_radix_sort_onesweep_configINS0_14default_configEbN2at4cuda3cub6detail10OpaqueTypeILi8EEEEEmEEvPT0_
	.p2align	8
	.type	_ZN7rocprim17ROCPRIM_304000_NS6detail31onesweep_scan_histograms_kernelINS1_34wrapped_radix_sort_onesweep_configINS0_14default_configEbN2at4cuda3cub6detail10OpaqueTypeILi8EEEEEmEEvPT0_,@function
_ZN7rocprim17ROCPRIM_304000_NS6detail31onesweep_scan_histograms_kernelINS1_34wrapped_radix_sort_onesweep_configINS0_14default_configEbN2at4cuda3cub6detail10OpaqueTypeILi8EEEEEmEEvPT0_: ; @_ZN7rocprim17ROCPRIM_304000_NS6detail31onesweep_scan_histograms_kernelINS1_34wrapped_radix_sort_onesweep_configINS0_14default_configEbN2at4cuda3cub6detail10OpaqueTypeILi8EEEEEmEEvPT0_
; %bb.0:
	s_load_b64 s[0:1], s[0:1], 0x0
	s_lshl_b32 s2, s15, 8
	s_mov_b32 s3, 0
	v_cmp_gt_u32_e32 vcc_lo, 0x100, v0
	s_lshl_b64 s[2:3], s[2:3], 3
	v_lshlrev_b32_e32 v5, 3, v0
                                        ; implicit-def: $vgpr1_vgpr2
	s_waitcnt lgkmcnt(0)
	s_add_u32 s2, s0, s2
	s_addc_u32 s3, s1, s3
	s_and_saveexec_b32 s0, vcc_lo
	s_cbranch_execz .LBB168_2
; %bb.1:
	global_load_b64 v[1:2], v5, s[2:3]
.LBB168_2:
	s_or_b32 exec_lo, exec_lo, s0
	v_mbcnt_lo_u32_b32 v6, -1, 0
	s_waitcnt vmcnt(0)
	v_mov_b32_dpp v8, v1 row_shr:1 row_mask:0xf bank_mask:0xf
	v_mov_b32_dpp v7, v2 row_shr:1 row_mask:0xf bank_mask:0xf
	s_mov_b32 s1, exec_lo
	v_dual_mov_b32 v3, v1 :: v_dual_and_b32 v4, 15, v6
	s_delay_alu instid0(VALU_DEP_1)
	v_cmpx_ne_u32_e32 0, v4
; %bb.3:
	v_add_co_u32 v3, s0, v1, v8
	s_delay_alu instid0(VALU_DEP_1) | instskip(NEXT) | instid1(VALU_DEP_2)
	v_add_co_ci_u32_e64 v2, s0, 0, v2, s0
	v_add_co_u32 v1, s0, 0, v3
	s_delay_alu instid0(VALU_DEP_1)
	v_add_co_ci_u32_e64 v2, s0, v7, v2, s0
; %bb.4:
	s_or_b32 exec_lo, exec_lo, s1
	v_mov_b32_dpp v8, v3 row_shr:2 row_mask:0xf bank_mask:0xf
	s_delay_alu instid0(VALU_DEP_2)
	v_mov_b32_dpp v7, v2 row_shr:2 row_mask:0xf bank_mask:0xf
	s_mov_b32 s1, exec_lo
	v_cmpx_lt_u32_e32 1, v4
; %bb.5:
	s_delay_alu instid0(VALU_DEP_3) | instskip(NEXT) | instid1(VALU_DEP_1)
	v_add_co_u32 v3, s0, v1, v8
	v_add_co_ci_u32_e64 v2, s0, 0, v2, s0
	s_delay_alu instid0(VALU_DEP_2) | instskip(NEXT) | instid1(VALU_DEP_1)
	v_add_co_u32 v1, s0, 0, v3
	v_add_co_ci_u32_e64 v2, s0, v7, v2, s0
; %bb.6:
	s_or_b32 exec_lo, exec_lo, s1
	v_mov_b32_dpp v8, v3 row_shr:4 row_mask:0xf bank_mask:0xf
	s_delay_alu instid0(VALU_DEP_2)
	v_mov_b32_dpp v7, v2 row_shr:4 row_mask:0xf bank_mask:0xf
	s_mov_b32 s1, exec_lo
	v_cmpx_lt_u32_e32 3, v4
; %bb.7:
	s_delay_alu instid0(VALU_DEP_3) | instskip(NEXT) | instid1(VALU_DEP_1)
	v_add_co_u32 v3, s0, v1, v8
	v_add_co_ci_u32_e64 v2, s0, 0, v2, s0
	s_delay_alu instid0(VALU_DEP_2) | instskip(NEXT) | instid1(VALU_DEP_1)
	v_add_co_u32 v1, s0, 0, v3
	;; [unrolled: 14-line block ×3, first 2 shown]
	v_add_co_ci_u32_e64 v2, s0, v7, v2, s0
; %bb.10:
	s_or_b32 exec_lo, exec_lo, s1
	ds_swizzle_b32 v4, v3 offset:swizzle(BROADCAST,32,15)
	ds_swizzle_b32 v3, v2 offset:swizzle(BROADCAST,32,15)
	v_and_b32_e32 v7, 16, v6
	s_mov_b32 s1, exec_lo
	s_delay_alu instid0(VALU_DEP_1)
	v_cmpx_ne_u32_e32 0, v7
	s_cbranch_execz .LBB168_12
; %bb.11:
	s_waitcnt lgkmcnt(1)
	v_add_co_u32 v1, s0, v1, v4
	s_delay_alu instid0(VALU_DEP_1) | instskip(NEXT) | instid1(VALU_DEP_2)
	v_add_co_ci_u32_e64 v2, s0, 0, v2, s0
	v_add_co_u32 v1, s0, v1, 0
	s_waitcnt lgkmcnt(0)
	s_delay_alu instid0(VALU_DEP_2)
	v_add_co_ci_u32_e64 v2, s0, v2, v3, s0
.LBB168_12:
	s_or_b32 exec_lo, exec_lo, s1
	s_waitcnt lgkmcnt(0)
	v_or_b32_e32 v3, 31, v0
	v_lshrrev_b32_e32 v7, 5, v0
	s_mov_b32 s1, exec_lo
	s_delay_alu instid0(VALU_DEP_2)
	v_cmpx_eq_u32_e64 v3, v0
	s_cbranch_execz .LBB168_14
; %bb.13:
	s_delay_alu instid0(VALU_DEP_2)
	v_lshlrev_b32_e32 v3, 3, v7
	ds_store_b64 v3, v[1:2]
.LBB168_14:
	s_or_b32 exec_lo, exec_lo, s1
	s_delay_alu instid0(SALU_CYCLE_1)
	s_mov_b32 s1, exec_lo
	s_waitcnt lgkmcnt(0)
	s_barrier
	buffer_gl0_inv
	v_cmpx_gt_u32_e32 8, v0
	s_cbranch_execz .LBB168_22
; %bb.15:
	ds_load_b64 v[3:4], v5
	v_and_b32_e32 v8, 7, v6
	s_mov_b32 s4, exec_lo
	s_waitcnt lgkmcnt(0)
	v_mov_b32_e32 v9, v3
	v_mov_b32_dpp v11, v3 row_shr:1 row_mask:0xf bank_mask:0xf
	v_mov_b32_dpp v10, v4 row_shr:1 row_mask:0xf bank_mask:0xf
	v_cmpx_ne_u32_e32 0, v8
; %bb.16:
	s_delay_alu instid0(VALU_DEP_3) | instskip(NEXT) | instid1(VALU_DEP_1)
	v_add_co_u32 v9, s0, v3, v11
	v_add_co_ci_u32_e64 v4, s0, 0, v4, s0
	s_delay_alu instid0(VALU_DEP_2) | instskip(NEXT) | instid1(VALU_DEP_1)
	v_add_co_u32 v3, s0, 0, v9
	v_add_co_ci_u32_e64 v4, s0, v10, v4, s0
; %bb.17:
	s_or_b32 exec_lo, exec_lo, s4
	v_mov_b32_dpp v11, v9 row_shr:2 row_mask:0xf bank_mask:0xf
	s_delay_alu instid0(VALU_DEP_2)
	v_mov_b32_dpp v10, v4 row_shr:2 row_mask:0xf bank_mask:0xf
	s_mov_b32 s4, exec_lo
	v_cmpx_lt_u32_e32 1, v8
; %bb.18:
	s_delay_alu instid0(VALU_DEP_3) | instskip(NEXT) | instid1(VALU_DEP_1)
	v_add_co_u32 v9, s0, v3, v11
	v_add_co_ci_u32_e64 v4, s0, 0, v4, s0
	s_delay_alu instid0(VALU_DEP_2) | instskip(NEXT) | instid1(VALU_DEP_1)
	v_add_co_u32 v3, s0, 0, v9
	v_add_co_ci_u32_e64 v4, s0, v10, v4, s0
; %bb.19:
	s_or_b32 exec_lo, exec_lo, s4
	v_mov_b32_dpp v10, v9 row_shr:4 row_mask:0xf bank_mask:0xf
	s_delay_alu instid0(VALU_DEP_2)
	v_mov_b32_dpp v9, v4 row_shr:4 row_mask:0xf bank_mask:0xf
	s_mov_b32 s4, exec_lo
	v_cmpx_lt_u32_e32 3, v8
; %bb.20:
	s_delay_alu instid0(VALU_DEP_3) | instskip(NEXT) | instid1(VALU_DEP_1)
	v_add_co_u32 v3, s0, v3, v10
	v_add_co_ci_u32_e64 v4, s0, 0, v4, s0
	s_delay_alu instid0(VALU_DEP_2) | instskip(NEXT) | instid1(VALU_DEP_1)
	v_add_co_u32 v3, s0, v3, 0
	v_add_co_ci_u32_e64 v4, s0, v4, v9, s0
; %bb.21:
	s_or_b32 exec_lo, exec_lo, s4
	ds_store_b64 v5, v[3:4]
.LBB168_22:
	s_or_b32 exec_lo, exec_lo, s1
	v_mov_b32_e32 v3, 0
	v_mov_b32_e32 v4, 0
	s_mov_b32 s1, exec_lo
	s_waitcnt lgkmcnt(0)
	s_barrier
	buffer_gl0_inv
	v_cmpx_lt_u32_e32 31, v0
	s_cbranch_execz .LBB168_24
; %bb.23:
	v_lshl_add_u32 v0, v7, 3, -8
	ds_load_b64 v[3:4], v0
.LBB168_24:
	s_or_b32 exec_lo, exec_lo, s1
	v_add_nc_u32_e32 v0, -1, v6
	s_delay_alu instid0(VALU_DEP_1) | instskip(NEXT) | instid1(VALU_DEP_1)
	v_cmp_gt_i32_e64 s0, 0, v0
	v_cndmask_b32_e64 v0, v0, v6, s0
	s_delay_alu instid0(VALU_DEP_1) | instskip(SKIP_2) | instid1(VALU_DEP_1)
	v_lshlrev_b32_e32 v7, 2, v0
	s_waitcnt lgkmcnt(0)
	v_add_co_u32 v0, s0, v3, v1
	v_add_co_ci_u32_e64 v1, s0, v4, v2, s0
	ds_bpermute_b32 v0, v7, v0
	ds_bpermute_b32 v1, v7, v1
	s_and_saveexec_b32 s0, vcc_lo
	s_cbranch_execz .LBB168_26
; %bb.25:
	v_cmp_eq_u32_e32 vcc_lo, 0, v6
	s_waitcnt lgkmcnt(0)
	v_dual_cndmask_b32 v1, v1, v4 :: v_dual_cndmask_b32 v0, v0, v3
	global_store_b64 v5, v[0:1], s[2:3]
.LBB168_26:
	s_nop 0
	s_sendmsg sendmsg(MSG_DEALLOC_VGPRS)
	s_endpgm
	.section	.rodata,"a",@progbits
	.p2align	6, 0x0
	.amdhsa_kernel _ZN7rocprim17ROCPRIM_304000_NS6detail31onesweep_scan_histograms_kernelINS1_34wrapped_radix_sort_onesweep_configINS0_14default_configEbN2at4cuda3cub6detail10OpaqueTypeILi8EEEEEmEEvPT0_
		.amdhsa_group_segment_fixed_size 64
		.amdhsa_private_segment_fixed_size 0
		.amdhsa_kernarg_size 8
		.amdhsa_user_sgpr_count 15
		.amdhsa_user_sgpr_dispatch_ptr 0
		.amdhsa_user_sgpr_queue_ptr 0
		.amdhsa_user_sgpr_kernarg_segment_ptr 1
		.amdhsa_user_sgpr_dispatch_id 0
		.amdhsa_user_sgpr_private_segment_size 0
		.amdhsa_wavefront_size32 1
		.amdhsa_uses_dynamic_stack 0
		.amdhsa_enable_private_segment 0
		.amdhsa_system_sgpr_workgroup_id_x 1
		.amdhsa_system_sgpr_workgroup_id_y 0
		.amdhsa_system_sgpr_workgroup_id_z 0
		.amdhsa_system_sgpr_workgroup_info 0
		.amdhsa_system_vgpr_workitem_id 0
		.amdhsa_next_free_vgpr 12
		.amdhsa_next_free_sgpr 16
		.amdhsa_reserve_vcc 1
		.amdhsa_float_round_mode_32 0
		.amdhsa_float_round_mode_16_64 0
		.amdhsa_float_denorm_mode_32 3
		.amdhsa_float_denorm_mode_16_64 3
		.amdhsa_dx10_clamp 1
		.amdhsa_ieee_mode 1
		.amdhsa_fp16_overflow 0
		.amdhsa_workgroup_processor_mode 1
		.amdhsa_memory_ordered 1
		.amdhsa_forward_progress 0
		.amdhsa_shared_vgpr_count 0
		.amdhsa_exception_fp_ieee_invalid_op 0
		.amdhsa_exception_fp_denorm_src 0
		.amdhsa_exception_fp_ieee_div_zero 0
		.amdhsa_exception_fp_ieee_overflow 0
		.amdhsa_exception_fp_ieee_underflow 0
		.amdhsa_exception_fp_ieee_inexact 0
		.amdhsa_exception_int_div_zero 0
	.end_amdhsa_kernel
	.section	.text._ZN7rocprim17ROCPRIM_304000_NS6detail31onesweep_scan_histograms_kernelINS1_34wrapped_radix_sort_onesweep_configINS0_14default_configEbN2at4cuda3cub6detail10OpaqueTypeILi8EEEEEmEEvPT0_,"axG",@progbits,_ZN7rocprim17ROCPRIM_304000_NS6detail31onesweep_scan_histograms_kernelINS1_34wrapped_radix_sort_onesweep_configINS0_14default_configEbN2at4cuda3cub6detail10OpaqueTypeILi8EEEEEmEEvPT0_,comdat
.Lfunc_end168:
	.size	_ZN7rocprim17ROCPRIM_304000_NS6detail31onesweep_scan_histograms_kernelINS1_34wrapped_radix_sort_onesweep_configINS0_14default_configEbN2at4cuda3cub6detail10OpaqueTypeILi8EEEEEmEEvPT0_, .Lfunc_end168-_ZN7rocprim17ROCPRIM_304000_NS6detail31onesweep_scan_histograms_kernelINS1_34wrapped_radix_sort_onesweep_configINS0_14default_configEbN2at4cuda3cub6detail10OpaqueTypeILi8EEEEEmEEvPT0_
                                        ; -- End function
	.section	.AMDGPU.csdata,"",@progbits
; Kernel info:
; codeLenInByte = 956
; NumSgprs: 18
; NumVgprs: 12
; ScratchSize: 0
; MemoryBound: 0
; FloatMode: 240
; IeeeMode: 1
; LDSByteSize: 64 bytes/workgroup (compile time only)
; SGPRBlocks: 2
; VGPRBlocks: 1
; NumSGPRsForWavesPerEU: 18
; NumVGPRsForWavesPerEU: 12
; Occupancy: 16
; WaveLimiterHint : 0
; COMPUTE_PGM_RSRC2:SCRATCH_EN: 0
; COMPUTE_PGM_RSRC2:USER_SGPR: 15
; COMPUTE_PGM_RSRC2:TRAP_HANDLER: 0
; COMPUTE_PGM_RSRC2:TGID_X_EN: 1
; COMPUTE_PGM_RSRC2:TGID_Y_EN: 0
; COMPUTE_PGM_RSRC2:TGID_Z_EN: 0
; COMPUTE_PGM_RSRC2:TIDIG_COMP_CNT: 0
	.section	.text._ZN7rocprim17ROCPRIM_304000_NS6detail16transform_kernelINS1_24wrapped_transform_configINS0_14default_configEbEEbPKbPbNS0_8identityIbEEEEvT1_mT2_T3_,"axG",@progbits,_ZN7rocprim17ROCPRIM_304000_NS6detail16transform_kernelINS1_24wrapped_transform_configINS0_14default_configEbEEbPKbPbNS0_8identityIbEEEEvT1_mT2_T3_,comdat
	.protected	_ZN7rocprim17ROCPRIM_304000_NS6detail16transform_kernelINS1_24wrapped_transform_configINS0_14default_configEbEEbPKbPbNS0_8identityIbEEEEvT1_mT2_T3_ ; -- Begin function _ZN7rocprim17ROCPRIM_304000_NS6detail16transform_kernelINS1_24wrapped_transform_configINS0_14default_configEbEEbPKbPbNS0_8identityIbEEEEvT1_mT2_T3_
	.globl	_ZN7rocprim17ROCPRIM_304000_NS6detail16transform_kernelINS1_24wrapped_transform_configINS0_14default_configEbEEbPKbPbNS0_8identityIbEEEEvT1_mT2_T3_
	.p2align	8
	.type	_ZN7rocprim17ROCPRIM_304000_NS6detail16transform_kernelINS1_24wrapped_transform_configINS0_14default_configEbEEbPKbPbNS0_8identityIbEEEEvT1_mT2_T3_,@function
_ZN7rocprim17ROCPRIM_304000_NS6detail16transform_kernelINS1_24wrapped_transform_configINS0_14default_configEbEEbPKbPbNS0_8identityIbEEEEvT1_mT2_T3_: ; @_ZN7rocprim17ROCPRIM_304000_NS6detail16transform_kernelINS1_24wrapped_transform_configINS0_14default_configEbEEbPKbPbNS0_8identityIbEEEEvT1_mT2_T3_
; %bb.0:
	s_clause 0x2
	s_load_b32 s2, s[0:1], 0x20
	s_load_b128 s[4:7], s[0:1], 0x0
	s_load_b64 s[8:9], s[0:1], 0x10
	s_lshl_b32 s3, s15, 12
	s_waitcnt lgkmcnt(0)
	s_add_i32 s2, s2, -1
	s_add_u32 s0, s4, s3
	s_addc_u32 s1, s5, 0
	v_add_co_u32 v1, s0, s0, v0
	s_delay_alu instid0(VALU_DEP_1)
	v_add_co_ci_u32_e64 v2, null, s1, 0, s0
	s_mov_b32 s4, 0
	s_cmp_lg_u32 s15, s2
	s_mov_b32 s0, -1
	s_cbranch_scc0 .LBB169_2
; %bb.1:
	s_clause 0x3
	global_load_u8 v6, v[1:2], off
	global_load_u8 v7, v[1:2], off offset:1024
	global_load_u8 v8, v[1:2], off offset:2048
	;; [unrolled: 1-line block ×3, first 2 shown]
	s_add_u32 s0, s8, s3
	s_addc_u32 s1, s9, 0
	v_add_co_u32 v4, s0, s0, v0
	s_delay_alu instid0(VALU_DEP_1)
	v_add_co_ci_u32_e64 v5, null, s1, 0, s0
	s_mov_b32 s4, -1
	s_waitcnt vmcnt(3)
	global_store_b8 v[4:5], v6, off
	s_waitcnt vmcnt(2)
	global_store_b8 v[4:5], v7, off offset:1024
	s_waitcnt vmcnt(1)
	global_store_b8 v[4:5], v8, off offset:2048
	s_cbranch_execz .LBB169_3
	s_branch .LBB169_17
.LBB169_2:
                                        ; implicit-def: $vgpr3
	s_and_not1_b32 vcc_lo, exec_lo, s0
	s_cbranch_vccnz .LBB169_17
.LBB169_3:
	s_sub_i32 s2, s6, s3
                                        ; implicit-def: $vgpr3
	s_delay_alu instid0(SALU_CYCLE_1)
	v_cmp_gt_u32_e32 vcc_lo, s2, v0
	s_and_saveexec_b32 s0, vcc_lo
	s_cbranch_execz .LBB169_5
; %bb.4:
	global_load_u8 v3, v[1:2], off
.LBB169_5:
	s_or_b32 exec_lo, exec_lo, s0
	v_or_b32_e32 v4, 0x400, v0
	s_delay_alu instid0(VALU_DEP_1) | instskip(NEXT) | instid1(VALU_DEP_1)
	v_cmp_gt_u32_e64 s0, s2, v4
                                        ; implicit-def: $vgpr4
	s_and_saveexec_b32 s1, s0
	s_cbranch_execz .LBB169_7
; %bb.6:
	global_load_u8 v4, v[1:2], off offset:1024
.LBB169_7:
	s_or_b32 exec_lo, exec_lo, s1
	v_or_b32_e32 v5, 0x800, v0
	s_delay_alu instid0(VALU_DEP_1) | instskip(NEXT) | instid1(VALU_DEP_1)
	v_cmp_gt_u32_e64 s1, s2, v5
                                        ; implicit-def: $vgpr5
	s_and_saveexec_b32 s5, s1
	s_cbranch_execz .LBB169_9
; %bb.8:
	global_load_u8 v5, v[1:2], off offset:2048
.LBB169_9:
	s_or_b32 exec_lo, exec_lo, s5
	v_or_b32_e32 v6, 0xc00, v0
	s_delay_alu instid0(VALU_DEP_1) | instskip(NEXT) | instid1(VALU_DEP_1)
	v_cmp_gt_u32_e64 s2, s2, v6
                                        ; implicit-def: $vgpr6
	s_and_saveexec_b32 s5, s2
	s_cbranch_execz .LBB169_11
; %bb.10:
	global_load_u8 v6, v[1:2], off offset:3072
.LBB169_11:
	s_or_b32 exec_lo, exec_lo, s5
	s_waitcnt vmcnt(0)
	v_and_b32_e32 v1, 1, v4
	v_and_b32_e32 v2, 1, v3
	v_and_b32_e32 v3, 1, v5
	s_add_u32 s5, s8, s3
	s_addc_u32 s6, s9, 0
	v_lshlrev_b16 v1, 8, v1
	s_delay_alu instid0(VALU_DEP_2) | instskip(NEXT) | instid1(VALU_DEP_2)
	v_lshlrev_b32_e32 v3, 16, v3
	v_or_b32_e32 v1, v2, v1
	v_and_b32_e32 v2, 0xffff, v2
	s_delay_alu instid0(VALU_DEP_2) | instskip(NEXT) | instid1(VALU_DEP_1)
	v_and_b32_e32 v1, 0xffff, v1
	v_cndmask_b32_e64 v1, v2, v1, s0
	s_delay_alu instid0(VALU_DEP_1) | instskip(NEXT) | instid1(VALU_DEP_1)
	v_or_b32_e32 v2, v1, v3
	v_cndmask_b32_e64 v1, v1, v2, s1
	v_and_b32_e32 v2, 1, v6
	s_delay_alu instid0(VALU_DEP_2) | instskip(NEXT) | instid1(VALU_DEP_2)
	v_lshrrev_b32_e32 v3, 16, v1
	v_lshlrev_b16 v2, 8, v2
	s_delay_alu instid0(VALU_DEP_2) | instskip(NEXT) | instid1(VALU_DEP_1)
	v_and_b32_e32 v3, 0xff, v3
	v_or_b32_e32 v2, v3, v2
	s_delay_alu instid0(VALU_DEP_1) | instskip(NEXT) | instid1(VALU_DEP_1)
	v_lshlrev_b32_e32 v2, 16, v2
	v_and_or_b32 v2, 0xff01, v1, v2
	s_delay_alu instid0(VALU_DEP_1) | instskip(SKIP_1) | instid1(VALU_DEP_1)
	v_cndmask_b32_e64 v4, v1, v2, s2
	v_add_co_u32 v1, s5, s5, v0
	v_add_co_ci_u32_e64 v2, null, s6, 0, s5
	s_and_saveexec_b32 s5, vcc_lo
	s_cbranch_execnz .LBB169_20
; %bb.12:
	s_or_b32 exec_lo, exec_lo, s5
	s_and_saveexec_b32 s5, s0
	s_cbranch_execnz .LBB169_21
.LBB169_13:
	s_or_b32 exec_lo, exec_lo, s5
	s_and_saveexec_b32 s0, s1
	s_cbranch_execnz .LBB169_22
.LBB169_14:
	s_or_b32 exec_lo, exec_lo, s0
                                        ; implicit-def: $vgpr3
	s_and_saveexec_b32 s0, s2
.LBB169_15:
	v_lshrrev_b32_e32 v3, 24, v4
	s_or_b32 s4, s4, exec_lo
.LBB169_16:
	s_or_b32 exec_lo, exec_lo, s0
.LBB169_17:
	s_and_saveexec_b32 s0, s4
	s_cbranch_execnz .LBB169_19
; %bb.18:
	s_nop 0
	s_sendmsg sendmsg(MSG_DEALLOC_VGPRS)
	s_endpgm
.LBB169_19:
	s_add_u32 s0, s8, s3
	s_addc_u32 s1, s9, 0
	v_add_co_u32 v0, s0, s0, v0
	s_delay_alu instid0(VALU_DEP_1)
	v_add_co_ci_u32_e64 v1, null, s1, 0, s0
	s_waitcnt vmcnt(0)
	global_store_b8 v[0:1], v3, off offset:3072
	s_nop 0
	s_sendmsg sendmsg(MSG_DEALLOC_VGPRS)
	s_endpgm
.LBB169_20:
	global_store_b8 v[1:2], v4, off
	s_or_b32 exec_lo, exec_lo, s5
	s_and_saveexec_b32 s5, s0
	s_cbranch_execz .LBB169_13
.LBB169_21:
	v_lshrrev_b32_e32 v3, 8, v4
	global_store_b8 v[1:2], v3, off offset:1024
	s_or_b32 exec_lo, exec_lo, s5
	s_and_saveexec_b32 s0, s1
	s_cbranch_execz .LBB169_14
.LBB169_22:
	global_store_d16_hi_b8 v[1:2], v4, off offset:2048
	s_or_b32 exec_lo, exec_lo, s0
                                        ; implicit-def: $vgpr3
	s_and_saveexec_b32 s0, s2
	s_cbranch_execnz .LBB169_15
	s_branch .LBB169_16
	.section	.rodata,"a",@progbits
	.p2align	6, 0x0
	.amdhsa_kernel _ZN7rocprim17ROCPRIM_304000_NS6detail16transform_kernelINS1_24wrapped_transform_configINS0_14default_configEbEEbPKbPbNS0_8identityIbEEEEvT1_mT2_T3_
		.amdhsa_group_segment_fixed_size 0
		.amdhsa_private_segment_fixed_size 0
		.amdhsa_kernarg_size 288
		.amdhsa_user_sgpr_count 15
		.amdhsa_user_sgpr_dispatch_ptr 0
		.amdhsa_user_sgpr_queue_ptr 0
		.amdhsa_user_sgpr_kernarg_segment_ptr 1
		.amdhsa_user_sgpr_dispatch_id 0
		.amdhsa_user_sgpr_private_segment_size 0
		.amdhsa_wavefront_size32 1
		.amdhsa_uses_dynamic_stack 0
		.amdhsa_enable_private_segment 0
		.amdhsa_system_sgpr_workgroup_id_x 1
		.amdhsa_system_sgpr_workgroup_id_y 0
		.amdhsa_system_sgpr_workgroup_id_z 0
		.amdhsa_system_sgpr_workgroup_info 0
		.amdhsa_system_vgpr_workitem_id 0
		.amdhsa_next_free_vgpr 9
		.amdhsa_next_free_sgpr 16
		.amdhsa_reserve_vcc 1
		.amdhsa_float_round_mode_32 0
		.amdhsa_float_round_mode_16_64 0
		.amdhsa_float_denorm_mode_32 3
		.amdhsa_float_denorm_mode_16_64 3
		.amdhsa_dx10_clamp 1
		.amdhsa_ieee_mode 1
		.amdhsa_fp16_overflow 0
		.amdhsa_workgroup_processor_mode 1
		.amdhsa_memory_ordered 1
		.amdhsa_forward_progress 0
		.amdhsa_shared_vgpr_count 0
		.amdhsa_exception_fp_ieee_invalid_op 0
		.amdhsa_exception_fp_denorm_src 0
		.amdhsa_exception_fp_ieee_div_zero 0
		.amdhsa_exception_fp_ieee_overflow 0
		.amdhsa_exception_fp_ieee_underflow 0
		.amdhsa_exception_fp_ieee_inexact 0
		.amdhsa_exception_int_div_zero 0
	.end_amdhsa_kernel
	.section	.text._ZN7rocprim17ROCPRIM_304000_NS6detail16transform_kernelINS1_24wrapped_transform_configINS0_14default_configEbEEbPKbPbNS0_8identityIbEEEEvT1_mT2_T3_,"axG",@progbits,_ZN7rocprim17ROCPRIM_304000_NS6detail16transform_kernelINS1_24wrapped_transform_configINS0_14default_configEbEEbPKbPbNS0_8identityIbEEEEvT1_mT2_T3_,comdat
.Lfunc_end169:
	.size	_ZN7rocprim17ROCPRIM_304000_NS6detail16transform_kernelINS1_24wrapped_transform_configINS0_14default_configEbEEbPKbPbNS0_8identityIbEEEEvT1_mT2_T3_, .Lfunc_end169-_ZN7rocprim17ROCPRIM_304000_NS6detail16transform_kernelINS1_24wrapped_transform_configINS0_14default_configEbEEbPKbPbNS0_8identityIbEEEEvT1_mT2_T3_
                                        ; -- End function
	.section	.AMDGPU.csdata,"",@progbits
; Kernel info:
; codeLenInByte = 720
; NumSgprs: 18
; NumVgprs: 9
; ScratchSize: 0
; MemoryBound: 0
; FloatMode: 240
; IeeeMode: 1
; LDSByteSize: 0 bytes/workgroup (compile time only)
; SGPRBlocks: 2
; VGPRBlocks: 1
; NumSGPRsForWavesPerEU: 18
; NumVGPRsForWavesPerEU: 9
; Occupancy: 16
; WaveLimiterHint : 1
; COMPUTE_PGM_RSRC2:SCRATCH_EN: 0
; COMPUTE_PGM_RSRC2:USER_SGPR: 15
; COMPUTE_PGM_RSRC2:TRAP_HANDLER: 0
; COMPUTE_PGM_RSRC2:TGID_X_EN: 1
; COMPUTE_PGM_RSRC2:TGID_Y_EN: 0
; COMPUTE_PGM_RSRC2:TGID_Z_EN: 0
; COMPUTE_PGM_RSRC2:TIDIG_COMP_CNT: 0
	.section	.text._ZN7rocprim17ROCPRIM_304000_NS6detail25onesweep_iteration_kernelINS1_34wrapped_radix_sort_onesweep_configINS0_14default_configEbN2at4cuda3cub6detail10OpaqueTypeILi8EEEEELb1EPKbPbPKSA_PSA_mNS0_19identity_decomposerEEEvT1_T2_T3_T4_jPT5_SO_PNS1_23onesweep_lookback_stateET6_jjj,"axG",@progbits,_ZN7rocprim17ROCPRIM_304000_NS6detail25onesweep_iteration_kernelINS1_34wrapped_radix_sort_onesweep_configINS0_14default_configEbN2at4cuda3cub6detail10OpaqueTypeILi8EEEEELb1EPKbPbPKSA_PSA_mNS0_19identity_decomposerEEEvT1_T2_T3_T4_jPT5_SO_PNS1_23onesweep_lookback_stateET6_jjj,comdat
	.protected	_ZN7rocprim17ROCPRIM_304000_NS6detail25onesweep_iteration_kernelINS1_34wrapped_radix_sort_onesweep_configINS0_14default_configEbN2at4cuda3cub6detail10OpaqueTypeILi8EEEEELb1EPKbPbPKSA_PSA_mNS0_19identity_decomposerEEEvT1_T2_T3_T4_jPT5_SO_PNS1_23onesweep_lookback_stateET6_jjj ; -- Begin function _ZN7rocprim17ROCPRIM_304000_NS6detail25onesweep_iteration_kernelINS1_34wrapped_radix_sort_onesweep_configINS0_14default_configEbN2at4cuda3cub6detail10OpaqueTypeILi8EEEEELb1EPKbPbPKSA_PSA_mNS0_19identity_decomposerEEEvT1_T2_T3_T4_jPT5_SO_PNS1_23onesweep_lookback_stateET6_jjj
	.globl	_ZN7rocprim17ROCPRIM_304000_NS6detail25onesweep_iteration_kernelINS1_34wrapped_radix_sort_onesweep_configINS0_14default_configEbN2at4cuda3cub6detail10OpaqueTypeILi8EEEEELb1EPKbPbPKSA_PSA_mNS0_19identity_decomposerEEEvT1_T2_T3_T4_jPT5_SO_PNS1_23onesweep_lookback_stateET6_jjj
	.p2align	8
	.type	_ZN7rocprim17ROCPRIM_304000_NS6detail25onesweep_iteration_kernelINS1_34wrapped_radix_sort_onesweep_configINS0_14default_configEbN2at4cuda3cub6detail10OpaqueTypeILi8EEEEELb1EPKbPbPKSA_PSA_mNS0_19identity_decomposerEEEvT1_T2_T3_T4_jPT5_SO_PNS1_23onesweep_lookback_stateET6_jjj,@function
_ZN7rocprim17ROCPRIM_304000_NS6detail25onesweep_iteration_kernelINS1_34wrapped_radix_sort_onesweep_configINS0_14default_configEbN2at4cuda3cub6detail10OpaqueTypeILi8EEEEELb1EPKbPbPKSA_PSA_mNS0_19identity_decomposerEEEvT1_T2_T3_T4_jPT5_SO_PNS1_23onesweep_lookback_stateET6_jjj: ; @_ZN7rocprim17ROCPRIM_304000_NS6detail25onesweep_iteration_kernelINS1_34wrapped_radix_sort_onesweep_configINS0_14default_configEbN2at4cuda3cub6detail10OpaqueTypeILi8EEEEELb1EPKbPbPKSA_PSA_mNS0_19identity_decomposerEEEvT1_T2_T3_T4_jPT5_SO_PNS1_23onesweep_lookback_stateET6_jjj
; %bb.0:
	s_clause 0x3
	s_load_b128 s[60:63], s[0:1], 0x44
	s_load_b256 s[48:55], s[0:1], 0x0
	s_load_b128 s[56:59], s[0:1], 0x28
	s_load_b64 s[66:67], s[0:1], 0x38
	v_and_b32_e32 v1, 0x3ff, v0
	v_mbcnt_lo_u32_b32 v51, -1, 0
	s_waitcnt lgkmcnt(0)
	s_mov_b32 s63, s15
	s_mul_i32 s64, s15, 0x1600
	s_cmp_ge_u32 s15, s62
	s_cbranch_scc0 .LBB170_218
; %bb.1:
	s_load_b32 s2, s[0:1], 0x20
	v_and_b32_e32 v11, 0xe0, v1
	s_mul_i32 s47, s62, 0xffffea00
	s_mov_b32 s46, 0
	s_mov_b32 s25, 0
	;; [unrolled: 1-line block ×3, first 2 shown]
	v_mul_u32_u24_e32 v10, 22, v11
	s_delay_alu instid0(VALU_DEP_1)
	v_or_b32_e32 v4, v51, v10
	s_waitcnt lgkmcnt(0)
	s_add_i32 s47, s47, s2
	s_add_u32 s2, s48, s64
	s_addc_u32 s3, s49, 0
	v_add_co_u32 v2, s2, s2, v51
	s_delay_alu instid0(VALU_DEP_1) | instskip(NEXT) | instid1(VALU_DEP_2)
	v_add_co_ci_u32_e64 v3, null, s3, 0, s2
	v_add_co_u32 v2, vcc_lo, v2, v10
	s_delay_alu instid0(VALU_DEP_2)
	v_add_co_ci_u32_e32 v3, vcc_lo, 0, v3, vcc_lo
	v_cmp_gt_u32_e32 vcc_lo, s47, v4
	s_and_saveexec_b32 s3, vcc_lo
	s_cbranch_execz .LBB170_3
; %bb.2:
	global_load_u8 v5, v[2:3], off
	s_waitcnt vmcnt(0)
	v_and_b32_e32 v5, 1, v5
	s_delay_alu instid0(VALU_DEP_1) | instskip(NEXT) | instid1(VALU_DEP_1)
	v_cmp_eq_u32_e64 s2, 1, v5
	s_and_b32 s25, s2, exec_lo
.LBB170_3:
	s_or_b32 exec_lo, exec_lo, s3
	v_add_nc_u32_e32 v5, 32, v4
	s_delay_alu instid0(VALU_DEP_1) | instskip(NEXT) | instid1(VALU_DEP_1)
	v_cmp_gt_u32_e64 s2, s47, v5
	s_and_saveexec_b32 s4, s2
	s_cbranch_execz .LBB170_5
; %bb.4:
	global_load_u8 v5, v[2:3], off offset:32
	s_waitcnt vmcnt(0)
	v_and_b32_e32 v5, 1, v5
	s_delay_alu instid0(VALU_DEP_1) | instskip(NEXT) | instid1(VALU_DEP_1)
	v_cmp_eq_u32_e64 s3, 1, v5
	s_and_b32 s46, s3, exec_lo
.LBB170_5:
	s_or_b32 exec_lo, exec_lo, s4
	v_add_nc_u32_e32 v5, 64, v4
	s_mov_b32 s45, 0
	s_mov_b32 s69, 0
	s_delay_alu instid0(VALU_DEP_1) | instskip(NEXT) | instid1(VALU_DEP_1)
	v_cmp_gt_u32_e64 s3, s47, v5
	s_and_saveexec_b32 s5, s3
	s_cbranch_execz .LBB170_7
; %bb.6:
	global_load_u8 v5, v[2:3], off offset:64
	s_waitcnt vmcnt(0)
	v_and_b32_e32 v5, 1, v5
	s_delay_alu instid0(VALU_DEP_1) | instskip(NEXT) | instid1(VALU_DEP_1)
	v_cmp_eq_u32_e64 s4, 1, v5
	s_and_b32 s69, s4, exec_lo
.LBB170_7:
	s_or_b32 exec_lo, exec_lo, s5
	v_add_nc_u32_e32 v5, 0x60, v4
	s_delay_alu instid0(VALU_DEP_1) | instskip(NEXT) | instid1(VALU_DEP_1)
	v_cmp_gt_u32_e64 s4, s47, v5
	s_and_saveexec_b32 s6, s4
	s_cbranch_execz .LBB170_9
; %bb.8:
	global_load_u8 v5, v[2:3], off offset:96
	s_waitcnt vmcnt(0)
	v_and_b32_e32 v5, 1, v5
	s_delay_alu instid0(VALU_DEP_1) | instskip(NEXT) | instid1(VALU_DEP_1)
	v_cmp_eq_u32_e64 s5, 1, v5
	s_and_b32 s45, s5, exec_lo
.LBB170_9:
	s_or_b32 exec_lo, exec_lo, s6
	v_add_nc_u32_e32 v5, 0x80, v4
	s_mov_b32 s43, 0
	s_mov_b32 s44, 0
	s_delay_alu instid0(VALU_DEP_1) | instskip(NEXT) | instid1(VALU_DEP_1)
	v_cmp_gt_u32_e64 s5, s47, v5
	s_and_saveexec_b32 s7, s5
	s_cbranch_execz .LBB170_11
; %bb.10:
	global_load_u8 v5, v[2:3], off offset:128
	s_waitcnt vmcnt(0)
	v_and_b32_e32 v5, 1, v5
	s_delay_alu instid0(VALU_DEP_1) | instskip(NEXT) | instid1(VALU_DEP_1)
	v_cmp_eq_u32_e64 s6, 1, v5
	s_and_b32 s44, s6, exec_lo
.LBB170_11:
	;; [unrolled: 30-line block ×10, first 2 shown]
	s_or_b32 exec_lo, exec_lo, s24
	v_add_nc_u32_e32 v4, 0x2a0, v4
	s_delay_alu instid0(VALU_DEP_1) | instskip(NEXT) | instid1(VALU_DEP_1)
	v_cmp_gt_u32_e64 s23, s47, v4
	s_and_saveexec_b32 s62, s23
	s_cbranch_execz .LBB170_45
; %bb.44:
	global_load_u8 v2, v[2:3], off offset:672
	s_waitcnt vmcnt(0)
	v_and_b32_e32 v2, 1, v2
	s_delay_alu instid0(VALU_DEP_1) | instskip(NEXT) | instid1(VALU_DEP_1)
	v_cmp_eq_u32_e64 s24, 1, v2
	s_and_b32 s26, s24, exec_lo
.LBB170_45:
	s_or_b32 exec_lo, exec_lo, s62
	s_clause 0x1
	s_load_b32 s24, s[0:1], 0x5c
	s_load_b32 s62, s[0:1], 0x50
	s_xor_b32 s68, s25, -1
	s_add_u32 s25, s0, 0x50
	s_addc_u32 s70, s1, 0
	v_mov_b32_e32 v4, 0
	v_cndmask_b32_e64 v12, 0, 1, s68
	v_bfe_u32 v7, v0, 10, 10
	v_bfe_u32 v8, v0, 20, 10
	s_delay_alu instid0(VALU_DEP_3)
	v_lshrrev_b32_e32 v2, s60, v12
	s_waitcnt lgkmcnt(0)
	s_lshr_b32 s71, s24, 16
	s_cmp_lt_u32 s15, s62
	v_mad_u32_u24 v7, v8, s71, v7
	s_cselect_b32 s24, 12, 18
	s_delay_alu instid0(SALU_CYCLE_1) | instskip(SKIP_3) | instid1(SALU_CYCLE_1)
	s_add_u32 s24, s25, s24
	s_addc_u32 s25, s70, 0
	global_load_u16 v5, v4, s[24:25]
	s_lshl_b32 s24, -1, s61
	s_not_b32 s68, s24
	s_delay_alu instid0(SALU_CYCLE_1) | instskip(NEXT) | instid1(VALU_DEP_1)
	v_and_b32_e32 v6, s68, v2
	v_add_co_u32 v2, s24, v6, -1
	s_delay_alu instid0(VALU_DEP_1) | instskip(NEXT) | instid1(VALU_DEP_1)
	v_cndmask_b32_e64 v3, 0, 1, s24
	v_cmp_ne_u32_e64 s24, 0, v3
	v_mul_u32_u24_e32 v3, 9, v1
	s_delay_alu instid0(VALU_DEP_2) | instskip(NEXT) | instid1(VALU_DEP_2)
	v_xor_b32_e32 v8, s24, v2
	v_lshlrev_b32_e32 v15, 2, v3
	ds_store_2addr_b32 v15, v4, v4 offset0:8 offset1:9
	ds_store_2addr_b32 v15, v4, v4 offset0:10 offset1:11
	ds_store_2addr_b32 v15, v4, v4 offset0:12 offset1:13
	ds_store_2addr_b32 v15, v4, v4 offset0:14 offset1:15
	ds_store_b32 v15, v4 offset:64
	v_mul_u32_u24_e32 v4, 9, v6
	s_waitcnt vmcnt(0) lgkmcnt(0)
	s_barrier
	buffer_gl0_inv
	; wave barrier
	v_mad_u64_u32 v[2:3], null, v7, v5, v[1:2]
	v_and_b32_e32 v3, exec_lo, v8
	s_delay_alu instid0(VALU_DEP_1) | instskip(NEXT) | instid1(VALU_DEP_3)
	v_mbcnt_lo_u32_b32 v13, v3, 0
	v_lshrrev_b32_e32 v2, 5, v2
	v_cmp_ne_u32_e64 s25, 0, v3
	s_delay_alu instid0(VALU_DEP_3) | instskip(NEXT) | instid1(VALU_DEP_3)
	v_cmp_eq_u32_e64 s24, 0, v13
	v_add_lshl_u32 v16, v2, v4, 2
	s_delay_alu instid0(VALU_DEP_2) | instskip(NEXT) | instid1(SALU_CYCLE_1)
	s_and_b32 s25, s25, s24
	s_and_saveexec_b32 s24, s25
	s_cbranch_execz .LBB170_47
; %bb.46:
	v_bcnt_u32_b32 v3, v3, 0
	ds_store_b32 v16, v3 offset:32
.LBB170_47:
	s_or_b32 exec_lo, exec_lo, s24
	s_xor_b32 s24, s46, -1
	s_delay_alu instid0(SALU_CYCLE_1) | instskip(NEXT) | instid1(VALU_DEP_1)
	v_cndmask_b32_e64 v14, 0, 1, s24
	; wave barrier
	v_lshrrev_b32_e32 v3, s60, v14
	s_delay_alu instid0(VALU_DEP_1) | instskip(NEXT) | instid1(VALU_DEP_1)
	v_and_b32_e32 v3, s68, v3
	v_add_co_u32 v4, s24, v3, -1
	s_delay_alu instid0(VALU_DEP_1) | instskip(SKIP_1) | instid1(VALU_DEP_2)
	v_cndmask_b32_e64 v5, 0, 1, s24
	v_mul_u32_u24_e32 v3, 9, v3
	v_cmp_ne_u32_e64 s24, 0, v5
	s_delay_alu instid0(VALU_DEP_2) | instskip(NEXT) | instid1(VALU_DEP_2)
	v_add_lshl_u32 v20, v2, v3, 2
	v_xor_b32_e32 v3, s24, v4
	ds_load_b32 v17, v20 offset:32
	; wave barrier
	v_and_b32_e32 v3, exec_lo, v3
	s_delay_alu instid0(VALU_DEP_1) | instskip(SKIP_1) | instid1(VALU_DEP_2)
	v_mbcnt_lo_u32_b32 v19, v3, 0
	v_cmp_ne_u32_e64 s25, 0, v3
	v_cmp_eq_u32_e64 s24, 0, v19
	s_delay_alu instid0(VALU_DEP_1) | instskip(NEXT) | instid1(SALU_CYCLE_1)
	s_and_b32 s25, s25, s24
	s_and_saveexec_b32 s24, s25
	s_cbranch_execz .LBB170_49
; %bb.48:
	s_waitcnt lgkmcnt(0)
	v_bcnt_u32_b32 v3, v3, v17
	ds_store_b32 v20, v3 offset:32
.LBB170_49:
	s_or_b32 exec_lo, exec_lo, s24
	s_xor_b32 s24, s69, -1
	s_delay_alu instid0(SALU_CYCLE_1) | instskip(NEXT) | instid1(VALU_DEP_1)
	v_cndmask_b32_e64 v18, 0, 1, s24
	; wave barrier
	v_lshrrev_b32_e32 v3, s60, v18
	s_delay_alu instid0(VALU_DEP_1) | instskip(NEXT) | instid1(VALU_DEP_1)
	v_and_b32_e32 v3, s68, v3
	v_add_co_u32 v4, s24, v3, -1
	s_delay_alu instid0(VALU_DEP_1) | instskip(SKIP_1) | instid1(VALU_DEP_2)
	v_cndmask_b32_e64 v5, 0, 1, s24
	v_mul_u32_u24_e32 v3, 9, v3
	v_cmp_ne_u32_e64 s24, 0, v5
	s_delay_alu instid0(VALU_DEP_2) | instskip(NEXT) | instid1(VALU_DEP_2)
	v_add_lshl_u32 v24, v2, v3, 2
	v_xor_b32_e32 v3, s24, v4
	ds_load_b32 v21, v24 offset:32
	; wave barrier
	v_and_b32_e32 v3, exec_lo, v3
	s_delay_alu instid0(VALU_DEP_1) | instskip(SKIP_1) | instid1(VALU_DEP_2)
	v_mbcnt_lo_u32_b32 v23, v3, 0
	v_cmp_ne_u32_e64 s25, 0, v3
	v_cmp_eq_u32_e64 s24, 0, v23
	s_delay_alu instid0(VALU_DEP_1) | instskip(NEXT) | instid1(SALU_CYCLE_1)
	s_and_b32 s25, s25, s24
	s_and_saveexec_b32 s24, s25
	s_cbranch_execz .LBB170_51
; %bb.50:
	s_waitcnt lgkmcnt(0)
	v_bcnt_u32_b32 v3, v3, v21
	ds_store_b32 v24, v3 offset:32
.LBB170_51:
	;; [unrolled: 32-line block ×20, first 2 shown]
	s_or_b32 exec_lo, exec_lo, s24
	s_xor_b32 s24, s26, -1
	s_delay_alu instid0(SALU_CYCLE_1) | instskip(SKIP_1) | instid1(VALU_DEP_2)
	v_cndmask_b32_e64 v100, 0, 1, s24
	; wave barrier
	v_add_nc_u32_e32 v72, 32, v15
	v_lshrrev_b32_e32 v3, s60, v100
	s_delay_alu instid0(VALU_DEP_1) | instskip(NEXT) | instid1(VALU_DEP_1)
	v_and_b32_e32 v3, s68, v3
	v_add_co_u32 v4, s24, v3, -1
	s_delay_alu instid0(VALU_DEP_1) | instskip(SKIP_1) | instid1(VALU_DEP_2)
	v_cndmask_b32_e64 v5, 0, 1, s24
	v_mul_u32_u24_e32 v3, 9, v3
	v_cmp_ne_u32_e64 s24, 0, v5
	s_delay_alu instid0(VALU_DEP_2) | instskip(NEXT) | instid1(VALU_DEP_2)
	v_add_lshl_u32 v71, v2, v3, 2
	v_xor_b32_e32 v2, s24, v4
	ds_load_b32 v103, v71 offset:32
	; wave barrier
	v_and_b32_e32 v2, exec_lo, v2
	s_delay_alu instid0(VALU_DEP_1) | instskip(SKIP_1) | instid1(VALU_DEP_2)
	v_mbcnt_lo_u32_b32 v104, v2, 0
	v_cmp_ne_u32_e64 s25, 0, v2
	v_cmp_eq_u32_e64 s24, 0, v104
	s_delay_alu instid0(VALU_DEP_1) | instskip(NEXT) | instid1(SALU_CYCLE_1)
	s_and_b32 s25, s25, s24
	s_and_saveexec_b32 s24, s25
	s_cbranch_execz .LBB170_89
; %bb.88:
	s_waitcnt lgkmcnt(0)
	v_bcnt_u32_b32 v2, v2, v103
	ds_store_b32 v71, v2 offset:32
.LBB170_89:
	s_or_b32 exec_lo, exec_lo, s24
	; wave barrier
	s_waitcnt lgkmcnt(0)
	s_barrier
	buffer_gl0_inv
	ds_load_2addr_b32 v[8:9], v15 offset0:8 offset1:9
	ds_load_2addr_b32 v[6:7], v72 offset0:2 offset1:3
	;; [unrolled: 1-line block ×4, first 2 shown]
	ds_load_b32 v73, v72 offset:32
	v_min_u32_e32 v11, 0xe0, v11
	s_mov_b32 s25, exec_lo
	s_delay_alu instid0(VALU_DEP_1) | instskip(SKIP_3) | instid1(VALU_DEP_1)
	v_or_b32_e32 v105, 31, v11
	s_waitcnt lgkmcnt(3)
	v_add3_u32 v74, v9, v8, v6
	s_waitcnt lgkmcnt(2)
	v_add3_u32 v74, v74, v7, v4
	s_waitcnt lgkmcnt(1)
	s_delay_alu instid0(VALU_DEP_1) | instskip(SKIP_1) | instid1(VALU_DEP_1)
	v_add3_u32 v74, v74, v5, v2
	s_waitcnt lgkmcnt(0)
	v_add3_u32 v73, v74, v3, v73
	v_and_b32_e32 v74, 15, v51
	s_delay_alu instid0(VALU_DEP_2) | instskip(NEXT) | instid1(VALU_DEP_2)
	v_mov_b32_dpp v75, v73 row_shr:1 row_mask:0xf bank_mask:0xf
	v_cmp_ne_u32_e64 s24, 0, v74
	s_delay_alu instid0(VALU_DEP_1) | instskip(SKIP_1) | instid1(VALU_DEP_2)
	v_cndmask_b32_e64 v75, 0, v75, s24
	v_cmp_lt_u32_e64 s24, 1, v74
	v_add_nc_u32_e32 v73, v75, v73
	s_delay_alu instid0(VALU_DEP_1) | instskip(NEXT) | instid1(VALU_DEP_1)
	v_mov_b32_dpp v75, v73 row_shr:2 row_mask:0xf bank_mask:0xf
	v_cndmask_b32_e64 v75, 0, v75, s24
	v_cmp_lt_u32_e64 s24, 3, v74
	s_delay_alu instid0(VALU_DEP_2) | instskip(NEXT) | instid1(VALU_DEP_1)
	v_add_nc_u32_e32 v73, v73, v75
	v_mov_b32_dpp v75, v73 row_shr:4 row_mask:0xf bank_mask:0xf
	s_delay_alu instid0(VALU_DEP_1) | instskip(SKIP_1) | instid1(VALU_DEP_2)
	v_cndmask_b32_e64 v75, 0, v75, s24
	v_cmp_lt_u32_e64 s24, 7, v74
	v_add_nc_u32_e32 v73, v73, v75
	s_delay_alu instid0(VALU_DEP_1) | instskip(NEXT) | instid1(VALU_DEP_1)
	v_mov_b32_dpp v75, v73 row_shr:8 row_mask:0xf bank_mask:0xf
	v_cndmask_b32_e64 v74, 0, v75, s24
	v_bfe_i32 v75, v51, 4, 1
	s_delay_alu instid0(VALU_DEP_2) | instskip(SKIP_4) | instid1(VALU_DEP_2)
	v_add_nc_u32_e32 v74, v73, v74
	ds_swizzle_b32 v73, v74 offset:swizzle(BROADCAST,32,15)
	s_waitcnt lgkmcnt(0)
	v_and_b32_e32 v75, v75, v73
	v_lshrrev_b32_e32 v73, 5, v1
	v_add_nc_u32_e32 v11, v74, v75
	v_cmpx_eq_u32_e64 v105, v1
	s_cbranch_execz .LBB170_91
; %bb.90:
	s_delay_alu instid0(VALU_DEP_3)
	v_lshlrev_b32_e32 v74, 2, v73
	ds_store_b32 v74, v11
.LBB170_91:
	s_or_b32 exec_lo, exec_lo, s25
	s_delay_alu instid0(SALU_CYCLE_1)
	s_mov_b32 s25, exec_lo
	s_waitcnt lgkmcnt(0)
	s_barrier
	buffer_gl0_inv
	v_cmpx_gt_u32_e32 8, v1
	s_cbranch_execz .LBB170_93
; %bb.92:
	v_lshlrev_b32_e32 v74, 2, v1
	v_and_b32_e32 v105, 7, v51
	ds_load_b32 v75, v74
	v_cmp_ne_u32_e64 s24, 0, v105
	s_waitcnt lgkmcnt(0)
	v_mov_b32_dpp v106, v75 row_shr:1 row_mask:0xf bank_mask:0xf
	s_delay_alu instid0(VALU_DEP_1) | instskip(SKIP_1) | instid1(VALU_DEP_2)
	v_cndmask_b32_e64 v106, 0, v106, s24
	v_cmp_lt_u32_e64 s24, 1, v105
	v_add_nc_u32_e32 v75, v106, v75
	s_delay_alu instid0(VALU_DEP_1) | instskip(NEXT) | instid1(VALU_DEP_1)
	v_mov_b32_dpp v106, v75 row_shr:2 row_mask:0xf bank_mask:0xf
	v_cndmask_b32_e64 v106, 0, v106, s24
	v_cmp_lt_u32_e64 s24, 3, v105
	s_delay_alu instid0(VALU_DEP_2) | instskip(NEXT) | instid1(VALU_DEP_1)
	v_add_nc_u32_e32 v75, v75, v106
	v_mov_b32_dpp v106, v75 row_shr:4 row_mask:0xf bank_mask:0xf
	s_delay_alu instid0(VALU_DEP_1) | instskip(NEXT) | instid1(VALU_DEP_1)
	v_cndmask_b32_e64 v105, 0, v106, s24
	v_add_nc_u32_e32 v75, v75, v105
	ds_store_b32 v74, v75
.LBB170_93:
	s_or_b32 exec_lo, exec_lo, s25
	v_mov_b32_e32 v74, 0
	s_mov_b32 s25, exec_lo
	s_waitcnt lgkmcnt(0)
	s_barrier
	buffer_gl0_inv
	v_cmpx_lt_u32_e32 31, v1
	s_cbranch_execz .LBB170_95
; %bb.94:
	v_lshl_add_u32 v73, v73, 2, -4
	ds_load_b32 v74, v73
.LBB170_95:
	s_or_b32 exec_lo, exec_lo, s25
	v_add_nc_u32_e32 v73, -1, v51
	s_waitcnt lgkmcnt(0)
	v_add_nc_u32_e32 v11, v74, v11
	s_mov_b32 s25, 0
	s_mov_b32 s26, exec_lo
	v_cmp_gt_i32_e64 s24, 0, v73
	s_delay_alu instid0(VALU_DEP_1) | instskip(SKIP_1) | instid1(VALU_DEP_2)
	v_cndmask_b32_e64 v73, v73, v51, s24
	v_cmp_eq_u32_e64 s24, 0, v51
	v_lshlrev_b32_e32 v73, 2, v73
	ds_bpermute_b32 v11, v73, v11
	s_waitcnt lgkmcnt(0)
	v_cndmask_b32_e64 v11, v11, v74, s24
	v_cmp_ne_u32_e64 s24, 0, v1
	s_delay_alu instid0(VALU_DEP_1) | instskip(NEXT) | instid1(VALU_DEP_1)
	v_cndmask_b32_e64 v11, 0, v11, s24
	v_add_nc_u32_e32 v8, v11, v8
	s_delay_alu instid0(VALU_DEP_1) | instskip(NEXT) | instid1(VALU_DEP_1)
	v_add_nc_u32_e32 v9, v8, v9
	v_add_nc_u32_e32 v6, v9, v6
	s_delay_alu instid0(VALU_DEP_1) | instskip(NEXT) | instid1(VALU_DEP_1)
	v_add_nc_u32_e32 v7, v6, v7
	;; [unrolled: 3-line block ×3, first 2 shown]
	v_add_nc_u32_e32 v2, v5, v2
	s_delay_alu instid0(VALU_DEP_1)
	v_add_nc_u32_e32 v3, v2, v3
	ds_store_2addr_b32 v15, v11, v8 offset0:8 offset1:9
	ds_store_2addr_b32 v72, v9, v6 offset0:2 offset1:3
	;; [unrolled: 1-line block ×4, first 2 shown]
	ds_store_b32 v72, v3 offset:32
	v_mov_b32_e32 v2, 0x1600
	s_waitcnt lgkmcnt(0)
	s_barrier
	buffer_gl0_inv
	ds_load_b32 v4, v20 offset:32
	ds_load_b32 v5, v24 offset:32
	;; [unrolled: 1-line block ×23, first 2 shown]
	v_add_nc_u32_e32 v15, 1, v1
	s_delay_alu instid0(VALU_DEP_1)
	v_cmpx_ne_u32_e32 0x100, v15
	s_cbranch_execz .LBB170_97
; %bb.96:
	v_mul_u32_u24_e32 v2, 9, v15
	s_delay_alu instid0(VALU_DEP_1)
	v_lshlrev_b32_e32 v2, 2, v2
	ds_load_b32 v2, v2 offset:32
.LBB170_97:
	s_or_b32 exec_lo, exec_lo, s26
	s_waitcnt lgkmcnt(22)
	v_add3_u32 v74, v19, v17, v4
	s_waitcnt lgkmcnt(21)
	v_add3_u32 v73, v23, v21, v5
	v_lshl_add_u32 v4, s15, 8, v1
	v_mov_b32_e32 v5, 0
	s_waitcnt lgkmcnt(20)
	v_add3_u32 v72, v27, v25, v6
	s_waitcnt lgkmcnt(19)
	v_add3_u32 v71, v31, v29, v7
	;; [unrolled: 2-line block ×3, first 2 shown]
	s_waitcnt lgkmcnt(0)
	v_sub_nc_u32_e32 v52, v2, v3
	v_lshlrev_b64 v[6:7], 2, v[4:5]
	v_dual_mov_b32 v2, 0 :: v_dual_add_nc_u32 v75, v16, v13
	v_add3_u32 v70, v35, v33, v8
	v_add3_u32 v69, v39, v37, v9
	;; [unrolled: 1-line block ×3, first 2 shown]
	v_add_co_u32 v6, s24, s66, v6
	v_add3_u32 v67, v47, v45, v20
	v_add3_u32 v65, v55, v54, v28
	;; [unrolled: 1-line block ×13, first 2 shown]
	v_add_co_ci_u32_e64 v7, s24, s67, v7, s24
	v_or_b32_e32 v4, 2.0, v52
	s_mov_b32 s26, s63
	s_barrier
	buffer_gl0_inv
	ds_store_b8 v75, v12 offset:2048
	ds_store_b8 v74, v14 offset:2048
	;; [unrolled: 1-line block ×22, first 2 shown]
	s_waitcnt lgkmcnt(0)
	s_barrier
	buffer_gl0_inv
	global_store_b32 v[6:7], v4, off
                                        ; implicit-def: $sgpr24
	s_branch .LBB170_99
	.p2align	6
.LBB170_98:                             ;   in Loop: Header=BB170_99 Depth=1
	s_or_b32 exec_lo, exec_lo, s27
	v_and_b32_e32 v8, 0x3fffffff, v11
	v_cmp_eq_u32_e64 s24, 0x80000000, v4
	s_delay_alu instid0(VALU_DEP_2) | instskip(NEXT) | instid1(VALU_DEP_2)
	v_add_nc_u32_e32 v2, v8, v2
	s_and_b32 s27, exec_lo, s24
	s_delay_alu instid0(SALU_CYCLE_1) | instskip(NEXT) | instid1(SALU_CYCLE_1)
	s_or_b32 s25, s27, s25
	s_and_not1_b32 exec_lo, exec_lo, s25
	s_cbranch_execz .LBB170_105
.LBB170_99:                             ; =>This Loop Header: Depth=1
                                        ;     Child Loop BB170_102 Depth 2
	s_or_b32 s24, s24, exec_lo
	s_cmp_eq_u32 s26, 0
	s_cbranch_scc1 .LBB170_104
; %bb.100:                              ;   in Loop: Header=BB170_99 Depth=1
	s_add_i32 s26, s26, -1
	s_mov_b32 s27, exec_lo
	v_lshl_add_u32 v4, s26, 8, v1
	s_delay_alu instid0(VALU_DEP_1) | instskip(NEXT) | instid1(VALU_DEP_1)
	v_lshlrev_b64 v[8:9], 2, v[4:5]
	v_add_co_u32 v8, s24, s66, v8
	s_delay_alu instid0(VALU_DEP_1) | instskip(SKIP_3) | instid1(VALU_DEP_1)
	v_add_co_ci_u32_e64 v9, s24, s67, v9, s24
	global_load_b32 v11, v[8:9], off glc
	s_waitcnt vmcnt(0)
	v_and_b32_e32 v4, -2.0, v11
	v_cmpx_eq_u32_e32 0, v4
	s_cbranch_execz .LBB170_98
; %bb.101:                              ;   in Loop: Header=BB170_99 Depth=1
	s_mov_b32 s28, 0
.LBB170_102:                            ;   Parent Loop BB170_99 Depth=1
                                        ; =>  This Inner Loop Header: Depth=2
	global_load_b32 v11, v[8:9], off glc
	s_waitcnt vmcnt(0)
	v_and_b32_e32 v4, -2.0, v11
	s_delay_alu instid0(VALU_DEP_1) | instskip(NEXT) | instid1(VALU_DEP_1)
	v_cmp_ne_u32_e64 s24, 0, v4
	s_or_b32 s28, s24, s28
	s_delay_alu instid0(SALU_CYCLE_1)
	s_and_not1_b32 exec_lo, exec_lo, s28
	s_cbranch_execnz .LBB170_102
; %bb.103:                              ;   in Loop: Header=BB170_99 Depth=1
	s_or_b32 exec_lo, exec_lo, s28
	s_branch .LBB170_98
.LBB170_104:                            ;   in Loop: Header=BB170_99 Depth=1
                                        ; implicit-def: $sgpr26
	s_and_b32 s27, exec_lo, s24
	s_delay_alu instid0(SALU_CYCLE_1) | instskip(NEXT) | instid1(SALU_CYCLE_1)
	s_or_b32 s25, s27, s25
	s_and_not1_b32 exec_lo, exec_lo, s25
	s_cbranch_execnz .LBB170_99
.LBB170_105:
	s_or_b32 exec_lo, exec_lo, s25
	v_add_nc_u32_e32 v4, v2, v52
	v_lshlrev_b32_e32 v53, 3, v1
	s_delay_alu instid0(VALU_DEP_2)
	v_or_b32_e32 v4, 0x80000000, v4
	global_store_b32 v[6:7], v4, off
	v_sub_co_u32 v6, s24, v2, v3
	v_mov_b32_e32 v2, 0
	global_load_b64 v[4:5], v53, s[56:57]
	v_sub_co_ci_u32_e64 v7, null, 0, 0, s24
	s_waitcnt vmcnt(0)
	v_add_co_u32 v6, s24, v6, v4
	s_delay_alu instid0(VALU_DEP_1)
	v_add_co_ci_u32_e64 v7, s24, v7, v5, s24
	v_cmp_gt_u32_e64 s24, s47, v1
	v_mov_b32_e32 v4, v2
	ds_store_b64 v53, v[6:7]
	s_waitcnt lgkmcnt(0)
	s_waitcnt_vscnt null, 0x0
	s_barrier
	buffer_gl0_inv
	s_and_saveexec_b32 s26, s24
	s_cbranch_execz .LBB170_107
; %bb.106:
	ds_load_u8 v7, v1 offset:2048
	s_waitcnt lgkmcnt(0)
	v_and_b32_e32 v5, 1, v7
	v_xor_b32_e32 v7, 1, v7
	s_delay_alu instid0(VALU_DEP_2) | instskip(NEXT) | instid1(VALU_DEP_1)
	v_lshrrev_b32_e32 v5, s60, v5
	v_and_b32_e32 v5, s68, v5
	s_delay_alu instid0(VALU_DEP_1) | instskip(SKIP_3) | instid1(VALU_DEP_1)
	v_lshlrev_b32_e32 v5, 3, v5
	ds_load_b64 v[5:6], v5
	s_waitcnt lgkmcnt(0)
	v_add_co_u32 v5, s25, s50, v5
	v_add_co_ci_u32_e64 v6, s25, s51, v6, s25
	s_delay_alu instid0(VALU_DEP_2) | instskip(NEXT) | instid1(VALU_DEP_1)
	v_add_co_u32 v5, s25, v5, v1
	v_add_co_ci_u32_e64 v6, s25, 0, v6, s25
	global_store_b8 v[5:6], v7, off
.LBB170_107:
	s_or_b32 exec_lo, exec_lo, s26
	v_add_nc_u32_e32 v5, 0x100, v1
	s_delay_alu instid0(VALU_DEP_1) | instskip(NEXT) | instid1(VALU_DEP_1)
	v_cmp_gt_u32_e64 s25, s47, v5
	s_and_saveexec_b32 s27, s25
	s_cbranch_execz .LBB170_109
; %bb.108:
	ds_load_u8 v7, v1 offset:2304
	s_waitcnt lgkmcnt(0)
	v_and_b32_e32 v5, 1, v7
	v_xor_b32_e32 v7, 1, v7
	s_delay_alu instid0(VALU_DEP_2) | instskip(NEXT) | instid1(VALU_DEP_1)
	v_lshrrev_b32_e32 v5, s60, v5
	v_and_b32_e32 v5, s68, v5
	s_delay_alu instid0(VALU_DEP_1) | instskip(SKIP_3) | instid1(VALU_DEP_1)
	v_lshlrev_b32_e32 v5, 3, v5
	ds_load_b64 v[5:6], v5
	s_waitcnt lgkmcnt(0)
	v_add_co_u32 v5, s26, s50, v5
	v_add_co_ci_u32_e64 v6, s26, s51, v6, s26
	s_delay_alu instid0(VALU_DEP_2) | instskip(NEXT) | instid1(VALU_DEP_1)
	v_add_co_u32 v5, s26, v5, v1
	v_add_co_ci_u32_e64 v6, s26, 0, v6, s26
	global_store_b8 v[5:6], v7, off offset:256
.LBB170_109:
	s_or_b32 exec_lo, exec_lo, s27
	v_add_nc_u32_e32 v76, 0x200, v1
	s_delay_alu instid0(VALU_DEP_1) | instskip(NEXT) | instid1(VALU_DEP_1)
	v_cmp_gt_u32_e64 s26, s47, v76
	s_and_saveexec_b32 s28, s26
	s_cbranch_execz .LBB170_111
; %bb.110:
	ds_load_u8 v7, v1 offset:2560
	s_waitcnt lgkmcnt(0)
	v_and_b32_e32 v5, 1, v7
	v_xor_b32_e32 v7, 1, v7
	s_delay_alu instid0(VALU_DEP_2) | instskip(NEXT) | instid1(VALU_DEP_1)
	v_lshrrev_b32_e32 v5, s60, v5
	v_and_b32_e32 v5, s68, v5
	s_delay_alu instid0(VALU_DEP_1) | instskip(SKIP_3) | instid1(VALU_DEP_1)
	v_lshlrev_b32_e32 v5, 3, v5
	ds_load_b64 v[5:6], v5
	s_waitcnt lgkmcnt(0)
	v_add_co_u32 v5, s27, s50, v5
	v_add_co_ci_u32_e64 v6, s27, s51, v6, s27
	s_delay_alu instid0(VALU_DEP_2) | instskip(NEXT) | instid1(VALU_DEP_1)
	v_add_co_u32 v5, s27, v5, v1
	v_add_co_ci_u32_e64 v6, s27, 0, v6, s27
	global_store_b8 v[5:6], v7, off offset:512
.LBB170_111:
	;; [unrolled: 25-line block ×3, first 2 shown]
	s_or_b32 exec_lo, exec_lo, s29
	v_or_b32_e32 v78, 0x400, v1
	s_delay_alu instid0(VALU_DEP_1) | instskip(NEXT) | instid1(VALU_DEP_1)
	v_cmp_gt_u32_e64 s28, s47, v78
	s_and_saveexec_b32 s30, s28
	s_cbranch_execz .LBB170_115
; %bb.114:
	ds_load_u8 v7, v1 offset:3072
	s_waitcnt lgkmcnt(0)
	v_and_b32_e32 v5, 1, v7
	v_xor_b32_e32 v7, 1, v7
	s_delay_alu instid0(VALU_DEP_2) | instskip(NEXT) | instid1(VALU_DEP_1)
	v_lshrrev_b32_e32 v5, s60, v5
	v_and_b32_e32 v5, s68, v5
	s_delay_alu instid0(VALU_DEP_1) | instskip(SKIP_3) | instid1(VALU_DEP_1)
	v_lshlrev_b32_e32 v5, 3, v5
	ds_load_b64 v[5:6], v5
	s_waitcnt lgkmcnt(0)
	v_add_co_u32 v5, s29, s50, v5
	v_add_co_ci_u32_e64 v6, s29, s51, v6, s29
	s_delay_alu instid0(VALU_DEP_2) | instskip(NEXT) | instid1(VALU_DEP_1)
	v_add_co_u32 v5, s29, v5, v1
	v_add_co_ci_u32_e64 v6, s29, 0, v6, s29
	global_store_b8 v[5:6], v7, off offset:1024
.LBB170_115:
	s_or_b32 exec_lo, exec_lo, s30
	v_add_nc_u32_e32 v79, 0x500, v1
	s_delay_alu instid0(VALU_DEP_1) | instskip(NEXT) | instid1(VALU_DEP_1)
	v_cmp_gt_u32_e64 s29, s47, v79
	s_and_saveexec_b32 s31, s29
	s_cbranch_execz .LBB170_117
; %bb.116:
	ds_load_u8 v7, v1 offset:3328
	s_waitcnt lgkmcnt(0)
	v_and_b32_e32 v5, 1, v7
	v_xor_b32_e32 v7, 1, v7
	s_delay_alu instid0(VALU_DEP_2) | instskip(NEXT) | instid1(VALU_DEP_1)
	v_lshrrev_b32_e32 v5, s60, v5
	v_and_b32_e32 v5, s68, v5
	s_delay_alu instid0(VALU_DEP_1) | instskip(SKIP_3) | instid1(VALU_DEP_1)
	v_lshlrev_b32_e32 v5, 3, v5
	ds_load_b64 v[5:6], v5
	s_waitcnt lgkmcnt(0)
	v_add_co_u32 v5, s30, s50, v5
	v_add_co_ci_u32_e64 v6, s30, s51, v6, s30
	s_delay_alu instid0(VALU_DEP_2) | instskip(NEXT) | instid1(VALU_DEP_1)
	v_add_co_u32 v5, s30, v5, v1
	v_add_co_ci_u32_e64 v6, s30, 0, v6, s30
	global_store_b8 v[5:6], v7, off offset:1280
.LBB170_117:
	s_or_b32 exec_lo, exec_lo, s31
	v_add_nc_u32_e32 v80, 0x600, v1
	;; [unrolled: 25-line block ×3, first 2 shown]
	s_delay_alu instid0(VALU_DEP_1) | instskip(NEXT) | instid1(VALU_DEP_1)
	v_cmp_gt_u32_e64 s31, s47, v81
	s_and_saveexec_b32 s34, s31
	s_cbranch_execz .LBB170_121
; %bb.120:
	ds_load_u8 v7, v1 offset:3840
	s_waitcnt lgkmcnt(0)
	v_and_b32_e32 v5, 1, v7
	v_xor_b32_e32 v7, 1, v7
	s_delay_alu instid0(VALU_DEP_2) | instskip(NEXT) | instid1(VALU_DEP_1)
	v_lshrrev_b32_e32 v5, s60, v5
	v_and_b32_e32 v5, s68, v5
	s_delay_alu instid0(VALU_DEP_1) | instskip(SKIP_3) | instid1(VALU_DEP_1)
	v_lshlrev_b32_e32 v5, 3, v5
	ds_load_b64 v[5:6], v5
	s_waitcnt lgkmcnt(0)
	v_add_co_u32 v5, s33, s50, v5
	v_add_co_ci_u32_e64 v6, s33, s51, v6, s33
	s_delay_alu instid0(VALU_DEP_2) | instskip(NEXT) | instid1(VALU_DEP_1)
	v_add_co_u32 v5, s33, v5, v1
	v_add_co_ci_u32_e64 v6, s33, 0, v6, s33
	global_store_b8 v[5:6], v7, off offset:1792
.LBB170_121:
	s_or_b32 exec_lo, exec_lo, s34
	v_or_b32_e32 v82, 0x800, v1
	s_delay_alu instid0(VALU_DEP_1) | instskip(NEXT) | instid1(VALU_DEP_1)
	v_cmp_gt_u32_e64 s33, s47, v82
	s_and_saveexec_b32 s35, s33
	s_cbranch_execz .LBB170_123
; %bb.122:
	ds_load_u8 v7, v1 offset:4096
	s_waitcnt lgkmcnt(0)
	v_and_b32_e32 v5, 1, v7
	v_xor_b32_e32 v7, 1, v7
	s_delay_alu instid0(VALU_DEP_2) | instskip(NEXT) | instid1(VALU_DEP_1)
	v_lshrrev_b32_e32 v5, s60, v5
	v_and_b32_e32 v5, s68, v5
	s_delay_alu instid0(VALU_DEP_1) | instskip(SKIP_3) | instid1(VALU_DEP_1)
	v_lshlrev_b32_e32 v5, 3, v5
	ds_load_b64 v[5:6], v5
	s_waitcnt lgkmcnt(0)
	v_add_co_u32 v5, s34, s50, v5
	v_add_co_ci_u32_e64 v6, s34, s51, v6, s34
	s_delay_alu instid0(VALU_DEP_2) | instskip(NEXT) | instid1(VALU_DEP_1)
	v_add_co_u32 v5, s34, v5, v1
	v_add_co_ci_u32_e64 v6, s34, 0, v6, s34
	global_store_b8 v[5:6], v7, off offset:2048
.LBB170_123:
	s_or_b32 exec_lo, exec_lo, s35
	v_add_nc_u32_e32 v83, 0x900, v1
	s_delay_alu instid0(VALU_DEP_1) | instskip(NEXT) | instid1(VALU_DEP_1)
	v_cmp_gt_u32_e64 s34, s47, v83
	s_and_saveexec_b32 s36, s34
	s_cbranch_execz .LBB170_125
; %bb.124:
	ds_load_u8 v7, v1 offset:4352
	s_waitcnt lgkmcnt(0)
	v_and_b32_e32 v5, 1, v7
	v_xor_b32_e32 v7, 1, v7
	s_delay_alu instid0(VALU_DEP_2) | instskip(NEXT) | instid1(VALU_DEP_1)
	v_lshrrev_b32_e32 v5, s60, v5
	v_and_b32_e32 v5, s68, v5
	s_delay_alu instid0(VALU_DEP_1) | instskip(SKIP_3) | instid1(VALU_DEP_1)
	v_lshlrev_b32_e32 v5, 3, v5
	ds_load_b64 v[5:6], v5
	s_waitcnt lgkmcnt(0)
	v_add_co_u32 v5, s35, s50, v5
	v_add_co_ci_u32_e64 v6, s35, s51, v6, s35
	s_delay_alu instid0(VALU_DEP_2) | instskip(NEXT) | instid1(VALU_DEP_1)
	v_add_co_u32 v5, s35, v5, v1
	v_add_co_ci_u32_e64 v6, s35, 0, v6, s35
	global_store_b8 v[5:6], v7, off offset:2304
.LBB170_125:
	s_or_b32 exec_lo, exec_lo, s36
	v_add_nc_u32_e32 v84, 0xa00, v1
	;; [unrolled: 25-line block ×3, first 2 shown]
	s_delay_alu instid0(VALU_DEP_1) | instskip(NEXT) | instid1(VALU_DEP_1)
	v_cmp_gt_u32_e64 s36, s47, v85
	s_and_saveexec_b32 s38, s36
	s_cbranch_execz .LBB170_129
; %bb.128:
	ds_load_u8 v7, v1 offset:4864
	s_waitcnt lgkmcnt(0)
	v_and_b32_e32 v5, 1, v7
	v_xor_b32_e32 v7, 1, v7
	s_delay_alu instid0(VALU_DEP_2) | instskip(NEXT) | instid1(VALU_DEP_1)
	v_lshrrev_b32_e32 v5, s60, v5
	v_and_b32_e32 v5, s68, v5
	s_delay_alu instid0(VALU_DEP_1) | instskip(SKIP_3) | instid1(VALU_DEP_1)
	v_lshlrev_b32_e32 v5, 3, v5
	ds_load_b64 v[5:6], v5
	s_waitcnt lgkmcnt(0)
	v_add_co_u32 v5, s37, s50, v5
	v_add_co_ci_u32_e64 v6, s37, s51, v6, s37
	s_delay_alu instid0(VALU_DEP_2) | instskip(NEXT) | instid1(VALU_DEP_1)
	v_add_co_u32 v5, s37, v5, v1
	v_add_co_ci_u32_e64 v6, s37, 0, v6, s37
	global_store_b8 v[5:6], v7, off offset:2816
.LBB170_129:
	s_or_b32 exec_lo, exec_lo, s38
	v_or_b32_e32 v86, 0xc00, v1
	s_delay_alu instid0(VALU_DEP_1) | instskip(NEXT) | instid1(VALU_DEP_1)
	v_cmp_gt_u32_e64 s37, s47, v86
	s_and_saveexec_b32 s39, s37
	s_cbranch_execz .LBB170_131
; %bb.130:
	ds_load_u8 v7, v1 offset:5120
	s_waitcnt lgkmcnt(0)
	v_and_b32_e32 v5, 1, v7
	v_xor_b32_e32 v7, 1, v7
	s_delay_alu instid0(VALU_DEP_2) | instskip(NEXT) | instid1(VALU_DEP_1)
	v_lshrrev_b32_e32 v5, s60, v5
	v_and_b32_e32 v5, s68, v5
	s_delay_alu instid0(VALU_DEP_1) | instskip(SKIP_3) | instid1(VALU_DEP_1)
	v_lshlrev_b32_e32 v5, 3, v5
	ds_load_b64 v[5:6], v5
	s_waitcnt lgkmcnt(0)
	v_add_co_u32 v5, s38, s50, v5
	v_add_co_ci_u32_e64 v6, s38, s51, v6, s38
	s_delay_alu instid0(VALU_DEP_2) | instskip(NEXT) | instid1(VALU_DEP_1)
	v_add_co_u32 v5, s38, v5, v1
	v_add_co_ci_u32_e64 v6, s38, 0, v6, s38
	global_store_b8 v[5:6], v7, off offset:3072
.LBB170_131:
	s_or_b32 exec_lo, exec_lo, s39
	v_add_nc_u32_e32 v87, 0xd00, v1
	s_delay_alu instid0(VALU_DEP_1) | instskip(NEXT) | instid1(VALU_DEP_1)
	v_cmp_gt_u32_e64 s38, s47, v87
	s_and_saveexec_b32 s40, s38
	s_cbranch_execz .LBB170_133
; %bb.132:
	ds_load_u8 v7, v1 offset:5376
	s_waitcnt lgkmcnt(0)
	v_and_b32_e32 v5, 1, v7
	v_xor_b32_e32 v7, 1, v7
	s_delay_alu instid0(VALU_DEP_2) | instskip(NEXT) | instid1(VALU_DEP_1)
	v_lshrrev_b32_e32 v5, s60, v5
	v_and_b32_e32 v5, s68, v5
	s_delay_alu instid0(VALU_DEP_1) | instskip(SKIP_3) | instid1(VALU_DEP_1)
	v_lshlrev_b32_e32 v5, 3, v5
	ds_load_b64 v[5:6], v5
	s_waitcnt lgkmcnt(0)
	v_add_co_u32 v5, s39, s50, v5
	v_add_co_ci_u32_e64 v6, s39, s51, v6, s39
	s_delay_alu instid0(VALU_DEP_2) | instskip(NEXT) | instid1(VALU_DEP_1)
	v_add_co_u32 v5, s39, v5, v1
	v_add_co_ci_u32_e64 v6, s39, 0, v6, s39
	global_store_b8 v[5:6], v7, off offset:3328
.LBB170_133:
	s_or_b32 exec_lo, exec_lo, s40
	v_add_nc_u32_e32 v88, 0xe00, v1
	;; [unrolled: 25-line block ×3, first 2 shown]
	s_delay_alu instid0(VALU_DEP_1) | instskip(NEXT) | instid1(VALU_DEP_1)
	v_cmp_gt_u32_e64 s40, s47, v89
	s_and_saveexec_b32 s42, s40
	s_cbranch_execz .LBB170_137
; %bb.136:
	ds_load_u8 v7, v1 offset:5888
	s_waitcnt lgkmcnt(0)
	v_and_b32_e32 v5, 1, v7
	v_xor_b32_e32 v7, 1, v7
	s_delay_alu instid0(VALU_DEP_2) | instskip(NEXT) | instid1(VALU_DEP_1)
	v_lshrrev_b32_e32 v5, s60, v5
	v_and_b32_e32 v5, s68, v5
	s_delay_alu instid0(VALU_DEP_1) | instskip(SKIP_3) | instid1(VALU_DEP_1)
	v_lshlrev_b32_e32 v5, 3, v5
	ds_load_b64 v[5:6], v5
	s_waitcnt lgkmcnt(0)
	v_add_co_u32 v5, s41, s50, v5
	v_add_co_ci_u32_e64 v6, s41, s51, v6, s41
	s_delay_alu instid0(VALU_DEP_2) | instskip(NEXT) | instid1(VALU_DEP_1)
	v_add_co_u32 v5, s41, v5, v1
	v_add_co_ci_u32_e64 v6, s41, 0, v6, s41
	global_store_b8 v[5:6], v7, off offset:3840
.LBB170_137:
	s_or_b32 exec_lo, exec_lo, s42
	v_or_b32_e32 v90, 0x1000, v1
	s_delay_alu instid0(VALU_DEP_1) | instskip(NEXT) | instid1(VALU_DEP_1)
	v_cmp_gt_u32_e64 s41, s47, v90
	s_and_saveexec_b32 s43, s41
	s_cbranch_execz .LBB170_139
; %bb.138:
	ds_load_u8 v7, v1 offset:6144
	s_waitcnt lgkmcnt(0)
	v_and_b32_e32 v5, 1, v7
	v_xor_b32_e32 v7, 1, v7
	s_delay_alu instid0(VALU_DEP_2) | instskip(NEXT) | instid1(VALU_DEP_1)
	v_lshrrev_b32_e32 v5, s60, v5
	v_and_b32_e32 v5, s68, v5
	s_delay_alu instid0(VALU_DEP_1) | instskip(SKIP_3) | instid1(VALU_DEP_1)
	v_lshlrev_b32_e32 v5, 3, v5
	ds_load_b64 v[5:6], v5
	s_waitcnt lgkmcnt(0)
	v_add_co_u32 v5, s42, s50, v5
	v_add_co_ci_u32_e64 v6, s42, s51, v6, s42
	s_delay_alu instid0(VALU_DEP_2) | instskip(NEXT) | instid1(VALU_DEP_1)
	v_add_co_u32 v5, s42, v5, v90
	v_add_co_ci_u32_e64 v6, s42, 0, v6, s42
	global_store_b8 v[5:6], v7, off
.LBB170_139:
	s_or_b32 exec_lo, exec_lo, s43
	v_add_nc_u32_e32 v91, 0x1100, v1
	s_delay_alu instid0(VALU_DEP_1) | instskip(NEXT) | instid1(VALU_DEP_1)
	v_cmp_gt_u32_e64 s42, s47, v91
	s_and_saveexec_b32 s44, s42
	s_cbranch_execz .LBB170_141
; %bb.140:
	ds_load_u8 v7, v1 offset:6400
	s_waitcnt lgkmcnt(0)
	v_and_b32_e32 v5, 1, v7
	v_xor_b32_e32 v7, 1, v7
	s_delay_alu instid0(VALU_DEP_2) | instskip(NEXT) | instid1(VALU_DEP_1)
	v_lshrrev_b32_e32 v5, s60, v5
	v_and_b32_e32 v5, s68, v5
	s_delay_alu instid0(VALU_DEP_1) | instskip(SKIP_3) | instid1(VALU_DEP_1)
	v_lshlrev_b32_e32 v5, 3, v5
	ds_load_b64 v[5:6], v5
	s_waitcnt lgkmcnt(0)
	v_add_co_u32 v5, s43, s50, v5
	v_add_co_ci_u32_e64 v6, s43, s51, v6, s43
	s_delay_alu instid0(VALU_DEP_2) | instskip(NEXT) | instid1(VALU_DEP_1)
	v_add_co_u32 v5, s43, v5, v91
	v_add_co_ci_u32_e64 v6, s43, 0, v6, s43
	global_store_b8 v[5:6], v7, off
.LBB170_141:
	s_or_b32 exec_lo, exec_lo, s44
	v_add_nc_u32_e32 v92, 0x1200, v1
	;; [unrolled: 25-line block ×3, first 2 shown]
	s_delay_alu instid0(VALU_DEP_1) | instskip(NEXT) | instid1(VALU_DEP_1)
	v_cmp_gt_u32_e64 s44, s47, v93
	s_and_saveexec_b32 s46, s44
	s_cbranch_execz .LBB170_145
; %bb.144:
	ds_load_u8 v7, v1 offset:6912
	s_waitcnt lgkmcnt(0)
	v_and_b32_e32 v5, 1, v7
	v_xor_b32_e32 v7, 1, v7
	s_delay_alu instid0(VALU_DEP_2) | instskip(NEXT) | instid1(VALU_DEP_1)
	v_lshrrev_b32_e32 v5, s60, v5
	v_and_b32_e32 v5, s68, v5
	s_delay_alu instid0(VALU_DEP_1) | instskip(SKIP_3) | instid1(VALU_DEP_1)
	v_lshlrev_b32_e32 v5, 3, v5
	ds_load_b64 v[5:6], v5
	s_waitcnt lgkmcnt(0)
	v_add_co_u32 v5, s45, s50, v5
	v_add_co_ci_u32_e64 v6, s45, s51, v6, s45
	s_delay_alu instid0(VALU_DEP_2) | instskip(NEXT) | instid1(VALU_DEP_1)
	v_add_co_u32 v5, s45, v5, v93
	v_add_co_ci_u32_e64 v6, s45, 0, v6, s45
	global_store_b8 v[5:6], v7, off
.LBB170_145:
	s_or_b32 exec_lo, exec_lo, s46
	v_or_b32_e32 v94, 0x1400, v1
	s_delay_alu instid0(VALU_DEP_1) | instskip(NEXT) | instid1(VALU_DEP_1)
	v_cmp_gt_u32_e64 s45, s47, v94
	s_and_saveexec_b32 s69, s45
	s_cbranch_execz .LBB170_147
; %bb.146:
	ds_load_u8 v7, v1 offset:7168
	s_waitcnt lgkmcnt(0)
	v_and_b32_e32 v5, 1, v7
	v_xor_b32_e32 v7, 1, v7
	s_delay_alu instid0(VALU_DEP_2) | instskip(NEXT) | instid1(VALU_DEP_1)
	v_lshrrev_b32_e32 v5, s60, v5
	v_and_b32_e32 v5, s68, v5
	s_delay_alu instid0(VALU_DEP_1) | instskip(SKIP_3) | instid1(VALU_DEP_1)
	v_lshlrev_b32_e32 v5, 3, v5
	ds_load_b64 v[5:6], v5
	s_waitcnt lgkmcnt(0)
	v_add_co_u32 v5, s46, s50, v5
	v_add_co_ci_u32_e64 v6, s46, s51, v6, s46
	s_delay_alu instid0(VALU_DEP_2) | instskip(NEXT) | instid1(VALU_DEP_1)
	v_add_co_u32 v5, s46, v5, v94
	v_add_co_ci_u32_e64 v6, s46, 0, v6, s46
	global_store_b8 v[5:6], v7, off
.LBB170_147:
	s_or_b32 exec_lo, exec_lo, s69
	v_add_nc_u32_e32 v95, 0x1500, v1
	s_delay_alu instid0(VALU_DEP_1) | instskip(NEXT) | instid1(VALU_DEP_1)
	v_cmp_gt_u32_e64 s46, s47, v95
	s_and_saveexec_b32 s69, s46
	s_cbranch_execz .LBB170_149
; %bb.148:
	ds_load_u8 v7, v1 offset:7424
	s_waitcnt lgkmcnt(0)
	v_and_b32_e32 v5, 1, v7
	v_xor_b32_e32 v7, 1, v7
	s_delay_alu instid0(VALU_DEP_2) | instskip(NEXT) | instid1(VALU_DEP_1)
	v_lshrrev_b32_e32 v5, s60, v5
	v_and_b32_e32 v5, s68, v5
	s_delay_alu instid0(VALU_DEP_1) | instskip(SKIP_3) | instid1(VALU_DEP_1)
	v_lshlrev_b32_e32 v5, 3, v5
	ds_load_b64 v[5:6], v5
	s_waitcnt lgkmcnt(0)
	v_add_co_u32 v5, s47, s50, v5
	v_add_co_ci_u32_e64 v6, s47, s51, v6, s47
	s_delay_alu instid0(VALU_DEP_2) | instskip(NEXT) | instid1(VALU_DEP_1)
	v_add_co_u32 v5, s47, v5, v95
	v_add_co_ci_u32_e64 v6, s47, 0, v6, s47
	global_store_b8 v[5:6], v7, off
.LBB170_149:
	s_or_b32 exec_lo, exec_lo, s69
	v_lshlrev_b32_e32 v5, 3, v51
	s_lshl_b64 s[70:71], s[64:65], 3
	v_lshlrev_b32_e32 v6, 3, v10
	s_add_u32 s47, s52, s70
	s_addc_u32 s65, s53, s71
	v_add_co_u32 v5, s47, s47, v5
	s_delay_alu instid0(VALU_DEP_1) | instskip(NEXT) | instid1(VALU_DEP_2)
	v_add_co_ci_u32_e64 v7, null, s65, 0, s47
	v_add_co_u32 v49, s47, v5, v6
	s_delay_alu instid0(VALU_DEP_1) | instskip(SKIP_1) | instid1(SALU_CYCLE_1)
	v_add_co_ci_u32_e64 v50, s47, 0, v7, s47
                                        ; implicit-def: $vgpr5_vgpr6
	s_and_saveexec_b32 s47, vcc_lo
	s_xor_b32 s47, exec_lo, s47
	s_cbranch_execnz .LBB170_283
; %bb.150:
	s_or_b32 exec_lo, exec_lo, s47
                                        ; implicit-def: $vgpr7_vgpr8
	s_and_saveexec_b32 s47, s2
	s_cbranch_execnz .LBB170_284
.LBB170_151:
	s_or_b32 exec_lo, exec_lo, s47
                                        ; implicit-def: $vgpr9_vgpr10
	s_and_saveexec_b32 s2, s3
	s_cbranch_execnz .LBB170_285
.LBB170_152:
	s_or_b32 exec_lo, exec_lo, s2
                                        ; implicit-def: $vgpr11_vgpr12
	s_and_saveexec_b32 s2, s4
	s_cbranch_execnz .LBB170_286
.LBB170_153:
	s_or_b32 exec_lo, exec_lo, s2
                                        ; implicit-def: $vgpr13_vgpr14
	s_and_saveexec_b32 s2, s5
	s_cbranch_execnz .LBB170_287
.LBB170_154:
	s_or_b32 exec_lo, exec_lo, s2
                                        ; implicit-def: $vgpr15_vgpr16
	s_and_saveexec_b32 s2, s6
	s_cbranch_execnz .LBB170_288
.LBB170_155:
	s_or_b32 exec_lo, exec_lo, s2
                                        ; implicit-def: $vgpr17_vgpr18
	s_and_saveexec_b32 s2, s7
	s_cbranch_execnz .LBB170_289
.LBB170_156:
	s_or_b32 exec_lo, exec_lo, s2
                                        ; implicit-def: $vgpr19_vgpr20
	s_and_saveexec_b32 s2, s8
	s_cbranch_execnz .LBB170_290
.LBB170_157:
	s_or_b32 exec_lo, exec_lo, s2
                                        ; implicit-def: $vgpr21_vgpr22
	s_and_saveexec_b32 s2, s9
	s_cbranch_execnz .LBB170_291
.LBB170_158:
	s_or_b32 exec_lo, exec_lo, s2
                                        ; implicit-def: $vgpr23_vgpr24
	s_and_saveexec_b32 s2, s10
	s_cbranch_execnz .LBB170_292
.LBB170_159:
	s_or_b32 exec_lo, exec_lo, s2
                                        ; implicit-def: $vgpr25_vgpr26
	s_and_saveexec_b32 s2, s11
	s_cbranch_execnz .LBB170_293
.LBB170_160:
	s_or_b32 exec_lo, exec_lo, s2
                                        ; implicit-def: $vgpr27_vgpr28
	s_and_saveexec_b32 s2, s12
	s_cbranch_execnz .LBB170_294
.LBB170_161:
	s_or_b32 exec_lo, exec_lo, s2
                                        ; implicit-def: $vgpr29_vgpr30
	s_and_saveexec_b32 s2, s13
	s_cbranch_execnz .LBB170_295
.LBB170_162:
	s_or_b32 exec_lo, exec_lo, s2
                                        ; implicit-def: $vgpr31_vgpr32
	s_and_saveexec_b32 s2, s14
	s_cbranch_execnz .LBB170_296
.LBB170_163:
	s_or_b32 exec_lo, exec_lo, s2
                                        ; implicit-def: $vgpr33_vgpr34
	s_and_saveexec_b32 s2, s16
	s_cbranch_execnz .LBB170_297
.LBB170_164:
	s_or_b32 exec_lo, exec_lo, s2
                                        ; implicit-def: $vgpr35_vgpr36
	s_and_saveexec_b32 s2, s17
	s_cbranch_execnz .LBB170_298
.LBB170_165:
	s_or_b32 exec_lo, exec_lo, s2
                                        ; implicit-def: $vgpr37_vgpr38
	s_and_saveexec_b32 s2, s18
	s_cbranch_execnz .LBB170_299
.LBB170_166:
	s_or_b32 exec_lo, exec_lo, s2
                                        ; implicit-def: $vgpr39_vgpr40
	s_and_saveexec_b32 s2, s19
	s_cbranch_execnz .LBB170_300
.LBB170_167:
	s_or_b32 exec_lo, exec_lo, s2
                                        ; implicit-def: $vgpr41_vgpr42
	s_and_saveexec_b32 s2, s20
	s_cbranch_execnz .LBB170_301
.LBB170_168:
	s_or_b32 exec_lo, exec_lo, s2
                                        ; implicit-def: $vgpr43_vgpr44
	s_and_saveexec_b32 s2, s21
	s_cbranch_execnz .LBB170_302
.LBB170_169:
	s_or_b32 exec_lo, exec_lo, s2
                                        ; implicit-def: $vgpr45_vgpr46
	s_and_saveexec_b32 s2, s22
	s_cbranch_execnz .LBB170_303
.LBB170_170:
	s_or_b32 exec_lo, exec_lo, s2
                                        ; implicit-def: $vgpr47_vgpr48
	s_and_saveexec_b32 s2, s23
	s_cbranch_execnz .LBB170_304
.LBB170_171:
	s_or_b32 exec_lo, exec_lo, s2
                                        ; implicit-def: $vgpr115
	s_and_saveexec_b32 s2, s24
	s_cbranch_execnz .LBB170_305
.LBB170_172:
	s_or_b32 exec_lo, exec_lo, s2
                                        ; implicit-def: $vgpr114
	s_and_saveexec_b32 s2, s25
	s_cbranch_execnz .LBB170_306
.LBB170_173:
	s_or_b32 exec_lo, exec_lo, s2
                                        ; implicit-def: $vgpr113
	s_and_saveexec_b32 s2, s26
	s_cbranch_execnz .LBB170_307
.LBB170_174:
	s_or_b32 exec_lo, exec_lo, s2
                                        ; implicit-def: $vgpr112
	s_and_saveexec_b32 s2, s27
	s_cbranch_execnz .LBB170_308
.LBB170_175:
	s_or_b32 exec_lo, exec_lo, s2
                                        ; implicit-def: $vgpr111
	s_and_saveexec_b32 s2, s28
	s_cbranch_execnz .LBB170_309
.LBB170_176:
	s_or_b32 exec_lo, exec_lo, s2
                                        ; implicit-def: $vgpr110
	s_and_saveexec_b32 s2, s29
	s_cbranch_execnz .LBB170_310
.LBB170_177:
	s_or_b32 exec_lo, exec_lo, s2
                                        ; implicit-def: $vgpr109
	s_and_saveexec_b32 s2, s30
	s_cbranch_execnz .LBB170_311
.LBB170_178:
	s_or_b32 exec_lo, exec_lo, s2
                                        ; implicit-def: $vgpr108
	s_and_saveexec_b32 s2, s31
	s_cbranch_execnz .LBB170_312
.LBB170_179:
	s_or_b32 exec_lo, exec_lo, s2
                                        ; implicit-def: $vgpr107
	s_and_saveexec_b32 s2, s33
	s_cbranch_execnz .LBB170_313
.LBB170_180:
	s_or_b32 exec_lo, exec_lo, s2
                                        ; implicit-def: $vgpr106
	s_and_saveexec_b32 s2, s34
	s_cbranch_execnz .LBB170_314
.LBB170_181:
	s_or_b32 exec_lo, exec_lo, s2
                                        ; implicit-def: $vgpr105
	s_and_saveexec_b32 s2, s35
	s_cbranch_execnz .LBB170_315
.LBB170_182:
	s_or_b32 exec_lo, exec_lo, s2
                                        ; implicit-def: $vgpr104
	s_and_saveexec_b32 s2, s36
	s_cbranch_execnz .LBB170_316
.LBB170_183:
	s_or_b32 exec_lo, exec_lo, s2
                                        ; implicit-def: $vgpr103
	s_and_saveexec_b32 s2, s37
	s_cbranch_execnz .LBB170_317
.LBB170_184:
	s_or_b32 exec_lo, exec_lo, s2
                                        ; implicit-def: $vgpr102
	s_and_saveexec_b32 s2, s38
	s_cbranch_execnz .LBB170_318
.LBB170_185:
	s_or_b32 exec_lo, exec_lo, s2
                                        ; implicit-def: $vgpr101
	s_and_saveexec_b32 s2, s39
	s_cbranch_execnz .LBB170_319
.LBB170_186:
	s_or_b32 exec_lo, exec_lo, s2
                                        ; implicit-def: $vgpr100
	s_and_saveexec_b32 s2, s40
	s_cbranch_execnz .LBB170_320
.LBB170_187:
	s_or_b32 exec_lo, exec_lo, s2
                                        ; implicit-def: $vgpr99
	s_and_saveexec_b32 s2, s41
	s_cbranch_execnz .LBB170_321
.LBB170_188:
	s_or_b32 exec_lo, exec_lo, s2
                                        ; implicit-def: $vgpr98
	s_and_saveexec_b32 s2, s42
	s_cbranch_execnz .LBB170_322
.LBB170_189:
	s_or_b32 exec_lo, exec_lo, s2
                                        ; implicit-def: $vgpr97
	s_and_saveexec_b32 s2, s43
	s_cbranch_execnz .LBB170_323
.LBB170_190:
	s_or_b32 exec_lo, exec_lo, s2
                                        ; implicit-def: $vgpr96
	s_and_saveexec_b32 s2, s44
	s_cbranch_execnz .LBB170_324
.LBB170_191:
	s_or_b32 exec_lo, exec_lo, s2
                                        ; implicit-def: $vgpr50
	s_and_saveexec_b32 s2, s45
	s_cbranch_execnz .LBB170_325
.LBB170_192:
	s_or_b32 exec_lo, exec_lo, s2
                                        ; implicit-def: $vgpr49
	s_and_saveexec_b32 s2, s46
	s_cbranch_execz .LBB170_194
.LBB170_193:
	ds_load_u8 v49, v1 offset:7424
	s_waitcnt lgkmcnt(0)
	v_lshrrev_b32_e32 v49, s60, v49
	s_delay_alu instid0(VALU_DEP_1)
	v_and_b32_e32 v49, s68, v49
.LBB170_194:
	s_or_b32 exec_lo, exec_lo, s2
	v_lshlrev_b32_e32 v75, 3, v75
	v_lshlrev_b32_e32 v74, 3, v74
	s_waitcnt vmcnt(0)
	s_waitcnt_vscnt null, 0x0
	s_barrier
	buffer_gl0_inv
	ds_store_b64 v75, v[5:6] offset:2048
	ds_store_b64 v74, v[7:8] offset:2048
	v_lshlrev_b32_e32 v5, 3, v73
	v_lshlrev_b32_e32 v6, 3, v72
	v_lshlrev_b32_e32 v7, 3, v71
	v_lshlrev_b32_e32 v8, 3, v70
	v_lshlrev_b32_e32 v69, 3, v69
	ds_store_b64 v5, v[9:10] offset:2048
	ds_store_b64 v6, v[11:12] offset:2048
	ds_store_b64 v7, v[13:14] offset:2048
	ds_store_b64 v8, v[15:16] offset:2048
	ds_store_b64 v69, v[17:18] offset:2048
	v_lshlrev_b32_e32 v5, 3, v68
	v_lshlrev_b32_e32 v6, 3, v67
	v_lshlrev_b32_e32 v7, 3, v66
	v_lshlrev_b32_e32 v8, 3, v65
	v_lshlrev_b32_e32 v9, 3, v64
	ds_store_b64 v5, v[19:20] offset:2048
	ds_store_b64 v6, v[21:22] offset:2048
	ds_store_b64 v7, v[23:24] offset:2048
	;; [unrolled: 10-line block ×4, first 2 shown]
	ds_store_b64 v8, v[45:46] offset:2048
	ds_store_b64 v9, v[47:48] offset:2048
	s_waitcnt lgkmcnt(0)
	s_barrier
	buffer_gl0_inv
	s_and_saveexec_b32 s2, s24
	s_cbranch_execnz .LBB170_326
; %bb.195:
	s_or_b32 exec_lo, exec_lo, s2
	s_and_saveexec_b32 s2, s25
	s_cbranch_execnz .LBB170_327
.LBB170_196:
	s_or_b32 exec_lo, exec_lo, s2
	s_and_saveexec_b32 s2, s26
	s_cbranch_execnz .LBB170_328
.LBB170_197:
	s_or_b32 exec_lo, exec_lo, s2
	s_and_saveexec_b32 s2, s27
	s_cbranch_execnz .LBB170_329
.LBB170_198:
	s_or_b32 exec_lo, exec_lo, s2
	s_and_saveexec_b32 s2, s28
	s_cbranch_execnz .LBB170_330
.LBB170_199:
	s_or_b32 exec_lo, exec_lo, s2
	s_and_saveexec_b32 s2, s29
	s_cbranch_execnz .LBB170_331
.LBB170_200:
	s_or_b32 exec_lo, exec_lo, s2
	s_and_saveexec_b32 s2, s30
	s_cbranch_execnz .LBB170_332
.LBB170_201:
	s_or_b32 exec_lo, exec_lo, s2
	s_and_saveexec_b32 s2, s31
	s_cbranch_execnz .LBB170_333
.LBB170_202:
	s_or_b32 exec_lo, exec_lo, s2
	s_and_saveexec_b32 s2, s33
	s_cbranch_execnz .LBB170_334
.LBB170_203:
	s_or_b32 exec_lo, exec_lo, s2
	s_and_saveexec_b32 s2, s34
	s_cbranch_execnz .LBB170_335
.LBB170_204:
	s_or_b32 exec_lo, exec_lo, s2
	s_and_saveexec_b32 s2, s35
	s_cbranch_execnz .LBB170_336
.LBB170_205:
	s_or_b32 exec_lo, exec_lo, s2
	s_and_saveexec_b32 s2, s36
	s_cbranch_execnz .LBB170_337
.LBB170_206:
	s_or_b32 exec_lo, exec_lo, s2
	s_and_saveexec_b32 s2, s37
	s_cbranch_execnz .LBB170_338
.LBB170_207:
	s_or_b32 exec_lo, exec_lo, s2
	s_and_saveexec_b32 s2, s38
	s_cbranch_execnz .LBB170_339
.LBB170_208:
	s_or_b32 exec_lo, exec_lo, s2
	s_and_saveexec_b32 s2, s39
	s_cbranch_execnz .LBB170_340
.LBB170_209:
	s_or_b32 exec_lo, exec_lo, s2
	s_and_saveexec_b32 s2, s40
	s_cbranch_execnz .LBB170_341
.LBB170_210:
	s_or_b32 exec_lo, exec_lo, s2
	s_and_saveexec_b32 s2, s41
	s_cbranch_execnz .LBB170_342
.LBB170_211:
	s_or_b32 exec_lo, exec_lo, s2
	s_and_saveexec_b32 s2, s42
	s_cbranch_execnz .LBB170_343
.LBB170_212:
	s_or_b32 exec_lo, exec_lo, s2
	s_and_saveexec_b32 s2, s43
	s_cbranch_execnz .LBB170_344
.LBB170_213:
	s_or_b32 exec_lo, exec_lo, s2
	s_and_saveexec_b32 s2, s44
	s_cbranch_execnz .LBB170_345
.LBB170_214:
	s_or_b32 exec_lo, exec_lo, s2
	s_and_saveexec_b32 s2, s45
	s_cbranch_execnz .LBB170_346
.LBB170_215:
	s_or_b32 exec_lo, exec_lo, s2
	s_and_saveexec_b32 s2, s46
	s_cbranch_execz .LBB170_217
.LBB170_216:
	v_lshlrev_b32_e32 v5, 3, v49
	v_lshlrev_b32_e32 v7, 3, v1
	;; [unrolled: 1-line block ×3, first 2 shown]
	ds_load_b64 v[5:6], v5
	ds_load_b64 v[7:8], v7 offset:45056
	s_waitcnt lgkmcnt(1)
	v_lshlrev_b64 v[5:6], 3, v[5:6]
	s_delay_alu instid0(VALU_DEP_1) | instskip(NEXT) | instid1(VALU_DEP_2)
	v_add_co_u32 v5, vcc_lo, s54, v5
	v_add_co_ci_u32_e32 v6, vcc_lo, s55, v6, vcc_lo
	s_delay_alu instid0(VALU_DEP_2) | instskip(NEXT) | instid1(VALU_DEP_2)
	v_add_co_u32 v5, vcc_lo, v5, v9
	v_add_co_ci_u32_e32 v6, vcc_lo, 0, v6, vcc_lo
	s_waitcnt lgkmcnt(0)
	global_store_b64 v[5:6], v[7:8], off
.LBB170_217:
	s_or_b32 exec_lo, exec_lo, s2
	s_add_i32 s62, s62, -1
	s_delay_alu instid0(SALU_CYCLE_1)
	s_cmp_eq_u32 s15, s62
	s_cselect_b32 s2, -1, 0
	s_branch .LBB170_280
.LBB170_218:
	s_mov_b32 s2, 0
                                        ; implicit-def: $vgpr53
                                        ; implicit-def: $vgpr3_vgpr4
                                        ; implicit-def: $vgpr52
	s_cbranch_execz .LBB170_280
; %bb.219:
	v_and_b32_e32 v14, 0xe0, v1
	s_add_u32 s2, s48, s64
	s_addc_u32 s3, s49, 0
	v_add_co_u32 v2, s2, s2, v51
	s_delay_alu instid0(VALU_DEP_2) | instskip(SKIP_3) | instid1(VALU_DEP_4)
	v_mul_u32_u24_e32 v10, 22, v14
	v_add_co_ci_u32_e64 v3, null, s3, 0, s2
	v_mov_b32_e32 v18, 0
	v_bfe_u32 v15, v0, 10, 10
	v_add_co_u32 v2, vcc_lo, v2, v10
	s_delay_alu instid0(VALU_DEP_4)
	v_add_co_ci_u32_e32 v3, vcc_lo, 0, v3, vcc_lo
	v_bfe_u32 v0, v0, 20, 10
	s_mov_b32 s65, 0
	global_load_u8 v4, v[2:3], off
	s_clause 0x1
	s_load_b32 s2, s[0:1], 0x50
	s_load_b32 s3, s[0:1], 0x5c
	s_clause 0x6
	global_load_u8 v12, v[2:3], off offset:32
	global_load_u8 v17, v[2:3], off offset:64
	;; [unrolled: 1-line block ×7, first 2 shown]
	s_waitcnt vmcnt(7)
	v_and_b32_e32 v4, 1, v4
	s_delay_alu instid0(VALU_DEP_1)
	v_cmp_eq_u32_e32 vcc_lo, 1, v4
	s_xor_b32 s4, vcc_lo, -1
	s_add_u32 s0, s0, 0x50
	s_addc_u32 s1, s1, 0
	s_waitcnt lgkmcnt(0)
	s_lshr_b32 s3, s3, 16
	s_cmp_lt_u32 s15, s2
	v_cndmask_b32_e64 v11, 0, 1, s4
	s_cselect_b32 s5, 12, 18
	v_mad_u32_u24 v0, v0, s3, v15
	s_add_u32 s0, s0, s5
	s_addc_u32 s1, s1, 0
	global_load_u16 v19, v18, s[0:1]
	s_clause 0xd
	global_load_u8 v41, v[2:3], off offset:256
	global_load_u8 v45, v[2:3], off offset:288
	;; [unrolled: 1-line block ×14, first 2 shown]
	v_lshrrev_b32_e32 v3, s60, v11
	s_lshl_b32 s0, -1, s61
	s_delay_alu instid0(SALU_CYCLE_1)
	s_not_b32 s1, s0
	s_delay_alu instid0(VALU_DEP_1) | instid1(SALU_CYCLE_1)
	v_and_b32_e32 v20, s1, v3
	s_delay_alu instid0(VALU_DEP_1) | instskip(NEXT) | instid1(VALU_DEP_1)
	v_add_co_u32 v3, s0, v20, -1
	v_cndmask_b32_e64 v13, 0, 1, s0
	s_delay_alu instid0(VALU_DEP_1) | instskip(SKIP_1) | instid1(VALU_DEP_4)
	v_cmp_ne_u32_e32 vcc_lo, 0, v13
	v_mul_u32_u24_e32 v13, 9, v1
	v_xor_b32_e32 v3, vcc_lo, v3
	s_delay_alu instid0(VALU_DEP_2)
	v_lshlrev_b32_e32 v13, 2, v13
	ds_store_2addr_b32 v13, v18, v18 offset0:8 offset1:9
	ds_store_2addr_b32 v13, v18, v18 offset0:10 offset1:11
	;; [unrolled: 1-line block ×4, first 2 shown]
	ds_store_b32 v13, v18 offset:64
	s_waitcnt vmcnt(0) lgkmcnt(0)
	s_waitcnt_vscnt null, 0x0
	s_barrier
	buffer_gl0_inv
	; wave barrier
	v_mad_u64_u32 v[15:16], null, v0, v19, v[1:2]
	v_and_b32_e32 v16, exec_lo, v3
	s_delay_alu instid0(VALU_DEP_1) | instskip(NEXT) | instid1(VALU_DEP_3)
	v_mbcnt_lo_u32_b32 v0, v16, 0
	v_lshrrev_b32_e32 v3, 5, v15
	v_mul_u32_u24_e32 v15, 9, v20
	v_cmp_ne_u32_e64 s0, 0, v16
	s_delay_alu instid0(VALU_DEP_4) | instskip(NEXT) | instid1(VALU_DEP_3)
	v_cmp_eq_u32_e32 vcc_lo, 0, v0
	v_add_lshl_u32 v15, v3, v15, 2
	s_delay_alu instid0(VALU_DEP_3) | instskip(NEXT) | instid1(SALU_CYCLE_1)
	s_and_b32 s3, s0, vcc_lo
	s_and_saveexec_b32 s0, s3
	s_cbranch_execz .LBB170_221
; %bb.220:
	v_bcnt_u32_b32 v16, v16, 0
	ds_store_b32 v15, v16 offset:32
.LBB170_221:
	s_or_b32 exec_lo, exec_lo, s0
	v_and_b32_e32 v12, 1, v12
	; wave barrier
	s_delay_alu instid0(VALU_DEP_1) | instskip(SKIP_1) | instid1(SALU_CYCLE_1)
	v_cmp_eq_u32_e32 vcc_lo, 1, v12
	s_xor_b32 s0, vcc_lo, -1
	v_cndmask_b32_e64 v12, 0, 1, s0
	s_delay_alu instid0(VALU_DEP_1) | instskip(NEXT) | instid1(VALU_DEP_1)
	v_lshrrev_b32_e32 v16, s60, v12
	v_and_b32_e32 v16, s1, v16
	s_delay_alu instid0(VALU_DEP_1) | instskip(NEXT) | instid1(VALU_DEP_1)
	v_add_co_u32 v18, s0, v16, -1
	v_cndmask_b32_e64 v19, 0, 1, s0
	v_mul_u32_u24_e32 v16, 9, v16
	s_delay_alu instid0(VALU_DEP_2) | instskip(NEXT) | instid1(VALU_DEP_2)
	v_cmp_ne_u32_e32 vcc_lo, 0, v19
	v_add_lshl_u32 v19, v3, v16, 2
	v_xor_b32_e32 v18, vcc_lo, v18
	ds_load_b32 v16, v19 offset:32
	; wave barrier
	v_and_b32_e32 v20, exec_lo, v18
	s_delay_alu instid0(VALU_DEP_1) | instskip(SKIP_1) | instid1(VALU_DEP_2)
	v_mbcnt_lo_u32_b32 v18, v20, 0
	v_cmp_ne_u32_e64 s0, 0, v20
	v_cmp_eq_u32_e32 vcc_lo, 0, v18
	s_delay_alu instid0(VALU_DEP_2) | instskip(NEXT) | instid1(SALU_CYCLE_1)
	s_and_b32 s3, s0, vcc_lo
	s_and_saveexec_b32 s0, s3
	s_cbranch_execz .LBB170_223
; %bb.222:
	s_waitcnt lgkmcnt(0)
	v_bcnt_u32_b32 v20, v20, v16
	ds_store_b32 v19, v20 offset:32
.LBB170_223:
	s_or_b32 exec_lo, exec_lo, s0
	v_and_b32_e32 v17, 1, v17
	; wave barrier
	s_delay_alu instid0(VALU_DEP_1) | instskip(SKIP_1) | instid1(SALU_CYCLE_1)
	v_cmp_eq_u32_e32 vcc_lo, 1, v17
	s_xor_b32 s0, vcc_lo, -1
	v_cndmask_b32_e64 v17, 0, 1, s0
	s_delay_alu instid0(VALU_DEP_1) | instskip(NEXT) | instid1(VALU_DEP_1)
	v_lshrrev_b32_e32 v20, s60, v17
	v_and_b32_e32 v20, s1, v20
	s_delay_alu instid0(VALU_DEP_1) | instskip(NEXT) | instid1(VALU_DEP_1)
	v_add_co_u32 v22, s0, v20, -1
	v_cndmask_b32_e64 v23, 0, 1, s0
	v_mul_u32_u24_e32 v20, 9, v20
	s_delay_alu instid0(VALU_DEP_2) | instskip(NEXT) | instid1(VALU_DEP_2)
	v_cmp_ne_u32_e32 vcc_lo, 0, v23
	v_add_lshl_u32 v23, v3, v20, 2
	v_xor_b32_e32 v22, vcc_lo, v22
	ds_load_b32 v20, v23 offset:32
	; wave barrier
	v_and_b32_e32 v24, exec_lo, v22
	s_delay_alu instid0(VALU_DEP_1) | instskip(SKIP_1) | instid1(VALU_DEP_2)
	v_mbcnt_lo_u32_b32 v22, v24, 0
	v_cmp_ne_u32_e64 s0, 0, v24
	v_cmp_eq_u32_e32 vcc_lo, 0, v22
	s_delay_alu instid0(VALU_DEP_2) | instskip(NEXT) | instid1(SALU_CYCLE_1)
	s_and_b32 s3, s0, vcc_lo
	s_and_saveexec_b32 s0, s3
	s_cbranch_execz .LBB170_225
; %bb.224:
	s_waitcnt lgkmcnt(0)
	v_bcnt_u32_b32 v24, v24, v20
	ds_store_b32 v23, v24 offset:32
.LBB170_225:
	;; [unrolled: 34-line block ×20, first 2 shown]
	s_or_b32 exec_lo, exec_lo, s0
	v_and_b32_e32 v2, 1, v2
	; wave barrier
	v_add_nc_u32_e32 v100, 32, v13
	s_delay_alu instid0(VALU_DEP_2) | instskip(SKIP_1) | instid1(SALU_CYCLE_1)
	v_cmp_eq_u32_e32 vcc_lo, 1, v2
	s_xor_b32 s0, vcc_lo, -1
	v_cndmask_b32_e64 v92, 0, 1, s0
	s_delay_alu instid0(VALU_DEP_1) | instskip(NEXT) | instid1(VALU_DEP_1)
	v_lshrrev_b32_e32 v2, s60, v92
	v_and_b32_e32 v2, s1, v2
	s_delay_alu instid0(VALU_DEP_1) | instskip(NEXT) | instid1(VALU_DEP_1)
	v_add_co_u32 v4, s0, v2, -1
	v_cndmask_b32_e64 v5, 0, 1, s0
	v_mul_u32_u24_e32 v2, 9, v2
	s_delay_alu instid0(VALU_DEP_2) | instskip(NEXT) | instid1(VALU_DEP_2)
	v_cmp_ne_u32_e32 vcc_lo, 0, v5
	v_add_lshl_u32 v99, v3, v2, 2
	v_xor_b32_e32 v2, vcc_lo, v4
	ds_load_b32 v97, v99 offset:32
	; wave barrier
	v_and_b32_e32 v2, exec_lo, v2
	s_delay_alu instid0(VALU_DEP_1) | instskip(SKIP_1) | instid1(VALU_DEP_2)
	v_mbcnt_lo_u32_b32 v98, v2, 0
	v_cmp_ne_u32_e64 s0, 0, v2
	v_cmp_eq_u32_e32 vcc_lo, 0, v98
	s_delay_alu instid0(VALU_DEP_2) | instskip(NEXT) | instid1(SALU_CYCLE_1)
	s_and_b32 s3, s0, vcc_lo
	s_and_saveexec_b32 s0, s3
	s_cbranch_execz .LBB170_263
; %bb.262:
	s_waitcnt lgkmcnt(0)
	v_bcnt_u32_b32 v2, v2, v97
	ds_store_b32 v99, v2 offset:32
.LBB170_263:
	s_or_b32 exec_lo, exec_lo, s0
	; wave barrier
	s_waitcnt lgkmcnt(0)
	s_barrier
	buffer_gl0_inv
	ds_load_2addr_b32 v[8:9], v13 offset0:8 offset1:9
	ds_load_2addr_b32 v[6:7], v100 offset0:2 offset1:3
	;; [unrolled: 1-line block ×4, first 2 shown]
	ds_load_b32 v101, v100 offset:32
	v_min_u32_e32 v14, 0xe0, v14
	s_mov_b32 s0, exec_lo
	s_delay_alu instid0(VALU_DEP_1) | instskip(SKIP_3) | instid1(VALU_DEP_1)
	v_or_b32_e32 v104, 31, v14
	s_waitcnt lgkmcnt(3)
	v_add3_u32 v102, v9, v8, v6
	s_waitcnt lgkmcnt(2)
	v_add3_u32 v102, v102, v7, v4
	s_waitcnt lgkmcnt(1)
	s_delay_alu instid0(VALU_DEP_1) | instskip(SKIP_1) | instid1(VALU_DEP_1)
	v_add3_u32 v102, v102, v5, v2
	s_waitcnt lgkmcnt(0)
	v_add3_u32 v101, v102, v3, v101
	v_and_b32_e32 v102, 15, v51
	s_delay_alu instid0(VALU_DEP_2) | instskip(NEXT) | instid1(VALU_DEP_2)
	v_mov_b32_dpp v103, v101 row_shr:1 row_mask:0xf bank_mask:0xf
	v_cmp_ne_u32_e32 vcc_lo, 0, v102
	s_delay_alu instid0(VALU_DEP_2) | instskip(SKIP_1) | instid1(VALU_DEP_2)
	v_cndmask_b32_e32 v103, 0, v103, vcc_lo
	v_cmp_lt_u32_e32 vcc_lo, 1, v102
	v_add_nc_u32_e32 v101, v103, v101
	s_delay_alu instid0(VALU_DEP_1) | instskip(NEXT) | instid1(VALU_DEP_1)
	v_mov_b32_dpp v103, v101 row_shr:2 row_mask:0xf bank_mask:0xf
	v_cndmask_b32_e32 v103, 0, v103, vcc_lo
	v_cmp_lt_u32_e32 vcc_lo, 3, v102
	s_delay_alu instid0(VALU_DEP_2) | instskip(NEXT) | instid1(VALU_DEP_1)
	v_add_nc_u32_e32 v101, v101, v103
	v_mov_b32_dpp v103, v101 row_shr:4 row_mask:0xf bank_mask:0xf
	s_delay_alu instid0(VALU_DEP_1) | instskip(SKIP_1) | instid1(VALU_DEP_2)
	v_cndmask_b32_e32 v103, 0, v103, vcc_lo
	v_cmp_lt_u32_e32 vcc_lo, 7, v102
	v_add_nc_u32_e32 v101, v101, v103
	s_delay_alu instid0(VALU_DEP_1) | instskip(NEXT) | instid1(VALU_DEP_1)
	v_mov_b32_dpp v103, v101 row_shr:8 row_mask:0xf bank_mask:0xf
	v_cndmask_b32_e32 v102, 0, v103, vcc_lo
	v_bfe_i32 v103, v51, 4, 1
	s_delay_alu instid0(VALU_DEP_2) | instskip(SKIP_4) | instid1(VALU_DEP_2)
	v_add_nc_u32_e32 v102, v101, v102
	ds_swizzle_b32 v101, v102 offset:swizzle(BROADCAST,32,15)
	s_waitcnt lgkmcnt(0)
	v_and_b32_e32 v103, v103, v101
	v_lshrrev_b32_e32 v101, 5, v1
	v_add_nc_u32_e32 v14, v102, v103
	v_cmpx_eq_u32_e64 v104, v1
	s_cbranch_execz .LBB170_265
; %bb.264:
	s_delay_alu instid0(VALU_DEP_3)
	v_lshlrev_b32_e32 v102, 2, v101
	ds_store_b32 v102, v14
.LBB170_265:
	s_or_b32 exec_lo, exec_lo, s0
	s_delay_alu instid0(SALU_CYCLE_1)
	s_mov_b32 s0, exec_lo
	s_waitcnt lgkmcnt(0)
	s_barrier
	buffer_gl0_inv
	v_cmpx_gt_u32_e32 8, v1
	s_cbranch_execz .LBB170_267
; %bb.266:
	v_lshlrev_b32_e32 v102, 2, v1
	ds_load_b32 v103, v102
	s_waitcnt lgkmcnt(0)
	v_mov_b32_dpp v105, v103 row_shr:1 row_mask:0xf bank_mask:0xf
	v_and_b32_e32 v104, 7, v51
	s_delay_alu instid0(VALU_DEP_1) | instskip(NEXT) | instid1(VALU_DEP_3)
	v_cmp_ne_u32_e32 vcc_lo, 0, v104
	v_cndmask_b32_e32 v105, 0, v105, vcc_lo
	v_cmp_lt_u32_e32 vcc_lo, 1, v104
	s_delay_alu instid0(VALU_DEP_2) | instskip(NEXT) | instid1(VALU_DEP_1)
	v_add_nc_u32_e32 v103, v105, v103
	v_mov_b32_dpp v105, v103 row_shr:2 row_mask:0xf bank_mask:0xf
	s_delay_alu instid0(VALU_DEP_1) | instskip(SKIP_1) | instid1(VALU_DEP_2)
	v_cndmask_b32_e32 v105, 0, v105, vcc_lo
	v_cmp_lt_u32_e32 vcc_lo, 3, v104
	v_add_nc_u32_e32 v103, v103, v105
	s_delay_alu instid0(VALU_DEP_1) | instskip(NEXT) | instid1(VALU_DEP_1)
	v_mov_b32_dpp v105, v103 row_shr:4 row_mask:0xf bank_mask:0xf
	v_cndmask_b32_e32 v104, 0, v105, vcc_lo
	s_delay_alu instid0(VALU_DEP_1)
	v_add_nc_u32_e32 v103, v103, v104
	ds_store_b32 v102, v103
.LBB170_267:
	s_or_b32 exec_lo, exec_lo, s0
	v_mov_b32_e32 v102, 0
	s_mov_b32 s0, exec_lo
	s_waitcnt lgkmcnt(0)
	s_barrier
	buffer_gl0_inv
	v_cmpx_lt_u32_e32 31, v1
	s_cbranch_execz .LBB170_269
; %bb.268:
	v_lshl_add_u32 v101, v101, 2, -4
	ds_load_b32 v102, v101
.LBB170_269:
	s_or_b32 exec_lo, exec_lo, s0
	v_add_nc_u32_e32 v101, -1, v51
	s_mov_b32 s0, 0
	s_mov_b32 s3, exec_lo
	s_waitcnt lgkmcnt(0)
	v_add_nc_u32_e32 v14, v102, v14
	v_cmp_gt_i32_e32 vcc_lo, 0, v101
	v_cndmask_b32_e32 v101, v101, v51, vcc_lo
	v_cmp_eq_u32_e32 vcc_lo, 0, v51
	s_delay_alu instid0(VALU_DEP_2) | instskip(SKIP_4) | instid1(VALU_DEP_2)
	v_lshlrev_b32_e32 v101, 2, v101
	ds_bpermute_b32 v14, v101, v14
	s_waitcnt lgkmcnt(0)
	v_cndmask_b32_e32 v14, v14, v102, vcc_lo
	v_cmp_ne_u32_e32 vcc_lo, 0, v1
	v_cndmask_b32_e32 v14, 0, v14, vcc_lo
	s_delay_alu instid0(VALU_DEP_1) | instskip(NEXT) | instid1(VALU_DEP_1)
	v_add_nc_u32_e32 v8, v14, v8
	v_add_nc_u32_e32 v9, v8, v9
	s_delay_alu instid0(VALU_DEP_1) | instskip(NEXT) | instid1(VALU_DEP_1)
	v_add_nc_u32_e32 v6, v9, v6
	v_add_nc_u32_e32 v7, v6, v7
	;; [unrolled: 3-line block ×4, first 2 shown]
	ds_store_2addr_b32 v13, v14, v8 offset0:8 offset1:9
	ds_store_2addr_b32 v100, v9, v6 offset0:2 offset1:3
	;; [unrolled: 1-line block ×4, first 2 shown]
	ds_store_b32 v100, v3 offset:32
	v_mov_b32_e32 v2, 0x1600
	s_waitcnt lgkmcnt(0)
	s_barrier
	buffer_gl0_inv
	ds_load_b32 v4, v19 offset:32
	ds_load_b32 v5, v23 offset:32
	ds_load_b32 v6, v27 offset:32
	ds_load_b32 v7, v31 offset:32
	ds_load_b32 v8, v35 offset:32
	ds_load_b32 v9, v39 offset:32
	ds_load_b32 v14, v43 offset:32
	ds_load_b32 v19, v47 offset:32
	ds_load_b32 v23, v52 offset:32
	ds_load_b32 v27, v56 offset:32
	ds_load_b32 v52, v61 offset:32
	ds_load_b32 v100, v65 offset:32
	ds_load_b32 v69, v69 offset:32
	ds_load_b32 v73, v73 offset:32
	ds_load_b32 v77, v77 offset:32
	ds_load_b32 v81, v81 offset:32
	ds_load_b32 v85, v85 offset:32
	ds_load_b32 v89, v89 offset:32
	ds_load_b32 v93, v93 offset:32
	ds_load_b32 v96, v96 offset:32
	ds_load_b32 v99, v99 offset:32
	ds_load_b32 v15, v15 offset:32
	ds_load_b32 v3, v13 offset:32
	v_add_nc_u32_e32 v13, 1, v1
	s_delay_alu instid0(VALU_DEP_1)
	v_cmpx_ne_u32_e32 0x100, v13
	s_cbranch_execz .LBB170_271
; %bb.270:
	v_mul_u32_u24_e32 v2, 9, v13
	s_delay_alu instid0(VALU_DEP_1)
	v_lshlrev_b32_e32 v2, 2, v2
	ds_load_b32 v2, v2 offset:32
.LBB170_271:
	s_or_b32 exec_lo, exec_lo, s3
	s_waitcnt lgkmcnt(22)
	v_add3_u32 v61, v18, v16, v4
	s_waitcnt lgkmcnt(21)
	v_add3_u32 v56, v22, v20, v5
	v_lshl_add_u32 v4, s15, 8, v1
	v_mov_b32_e32 v5, 0
	s_waitcnt lgkmcnt(20)
	v_add3_u32 v47, v26, v24, v6
	s_waitcnt lgkmcnt(19)
	v_add3_u32 v43, v30, v28, v7
	;; [unrolled: 2-line block ×3, first 2 shown]
	s_waitcnt lgkmcnt(0)
	v_sub_nc_u32_e32 v52, v2, v3
	v_lshlrev_b64 v[6:7], 2, v[4:5]
	v_dual_mov_b32 v0, 0 :: v_dual_add_nc_u32 v65, v15, v0
	v_add3_u32 v39, v34, v32, v8
	v_add3_u32 v35, v38, v36, v9
	;; [unrolled: 1-line block ×3, first 2 shown]
	v_add_co_u32 v6, vcc_lo, s66, v6
	v_add3_u32 v32, v46, v44, v19
	v_add3_u32 v31, v50, v48, v23
	;; [unrolled: 1-line block ×13, first 2 shown]
	v_add_co_ci_u32_e32 v7, vcc_lo, s67, v7, vcc_lo
	v_or_b32_e32 v2, 2.0, v52
	s_barrier
	buffer_gl0_inv
	ds_store_b8 v65, v11 offset:2048
	ds_store_b8 v61, v12 offset:2048
	;; [unrolled: 1-line block ×22, first 2 shown]
	s_waitcnt lgkmcnt(0)
	s_barrier
	buffer_gl0_inv
	global_store_b32 v[6:7], v2, off
                                        ; implicit-def: $sgpr3
	s_branch .LBB170_274
	.p2align	6
.LBB170_272:                            ;   in Loop: Header=BB170_274 Depth=1
	s_or_b32 exec_lo, exec_lo, s4
.LBB170_273:                            ;   in Loop: Header=BB170_274 Depth=1
	s_delay_alu instid0(SALU_CYCLE_1) | instskip(SKIP_2) | instid1(VALU_DEP_2)
	s_or_b32 exec_lo, exec_lo, s3
	v_and_b32_e32 v4, 0x3fffffff, v4
	v_cmp_eq_u32_e64 s3, 0x80000000, v2
	v_add_nc_u32_e32 v0, v4, v0
	s_delay_alu instid0(VALU_DEP_2) | instskip(NEXT) | instid1(SALU_CYCLE_1)
	s_and_b32 s4, exec_lo, s3
	s_or_b32 s0, s4, s0
	s_delay_alu instid0(SALU_CYCLE_1)
	s_and_not1_b32 exec_lo, exec_lo, s0
	s_cbranch_execz .LBB170_279
.LBB170_274:                            ; =>This Loop Header: Depth=1
                                        ;     Child Loop BB170_277 Depth 2
	s_or_b32 s3, s3, exec_lo
	s_cmp_eq_u32 s63, 0
	s_cbranch_scc1 .LBB170_278
; %bb.275:                              ;   in Loop: Header=BB170_274 Depth=1
	s_add_i32 s63, s63, -1
	s_mov_b32 s3, exec_lo
	v_lshl_add_u32 v4, s63, 8, v1
	s_delay_alu instid0(VALU_DEP_1) | instskip(NEXT) | instid1(VALU_DEP_1)
	v_lshlrev_b64 v[8:9], 2, v[4:5]
	v_add_co_u32 v8, vcc_lo, s66, v8
	s_delay_alu instid0(VALU_DEP_2) | instskip(SKIP_3) | instid1(VALU_DEP_1)
	v_add_co_ci_u32_e32 v9, vcc_lo, s67, v9, vcc_lo
	global_load_b32 v4, v[8:9], off glc
	s_waitcnt vmcnt(0)
	v_and_b32_e32 v2, -2.0, v4
	v_cmpx_eq_u32_e32 0, v2
	s_cbranch_execz .LBB170_273
; %bb.276:                              ;   in Loop: Header=BB170_274 Depth=1
	s_mov_b32 s4, 0
.LBB170_277:                            ;   Parent Loop BB170_274 Depth=1
                                        ; =>  This Inner Loop Header: Depth=2
	global_load_b32 v4, v[8:9], off glc
	s_waitcnt vmcnt(0)
	v_and_b32_e32 v2, -2.0, v4
	s_delay_alu instid0(VALU_DEP_1) | instskip(SKIP_1) | instid1(SALU_CYCLE_1)
	v_cmp_ne_u32_e32 vcc_lo, 0, v2
	s_or_b32 s4, vcc_lo, s4
	s_and_not1_b32 exec_lo, exec_lo, s4
	s_cbranch_execnz .LBB170_277
	s_branch .LBB170_272
.LBB170_278:                            ;   in Loop: Header=BB170_274 Depth=1
                                        ; implicit-def: $sgpr63
	s_and_b32 s4, exec_lo, s3
	s_delay_alu instid0(SALU_CYCLE_1) | instskip(NEXT) | instid1(SALU_CYCLE_1)
	s_or_b32 s0, s4, s0
	s_and_not1_b32 exec_lo, exec_lo, s0
	s_cbranch_execnz .LBB170_274
.LBB170_279:
	s_or_b32 exec_lo, exec_lo, s0
	v_add_nc_u32_e32 v2, v0, v52
	v_lshlrev_b32_e32 v53, 3, v1
	v_lshlrev_b32_e32 v17, 3, v51
	v_sub_co_u32 v13, s0, v0, v3
	s_delay_alu instid0(VALU_DEP_4)
	v_or_b32_e32 v2, 0x80000000, v2
	s_lshl_b64 s[4:5], s[64:65], 3
	v_sub_co_ci_u32_e64 v14, null, 0, 0, s0
	s_add_u32 s0, s52, s4
	global_store_b32 v[6:7], v2, off
	v_mov_b32_e32 v2, 0
	global_load_b64 v[5:6], v53, s[56:57]
	v_lshlrev_b32_e32 v48, 3, v10
	v_lshlrev_b32_e32 v33, 3, v47
	s_addc_u32 s3, s53, s5
	v_add_co_u32 v47, s0, s0, v17
	s_delay_alu instid0(VALU_DEP_1) | instskip(SKIP_1) | instid1(VALU_DEP_3)
	v_add_co_ci_u32_e64 v49, null, s3, 0, s0
	v_lshlrev_b32_e32 v21, 3, v65
	v_add_co_u32 v47, vcc_lo, v47, v48
	s_delay_alu instid0(VALU_DEP_3)
	v_add_co_ci_u32_e32 v48, vcc_lo, 0, v49, vcc_lo
	v_lshlrev_b32_e32 v25, 3, v61
	v_lshlrev_b32_e32 v29, 3, v56
	v_or_b32_e32 v9, 0x1000, v1
	v_dual_mov_b32 v4, v2 :: v_dual_add_nc_u32 v11, 0x1100, v1
	v_add_nc_u32_e32 v12, 0x1200, v1
	v_add_nc_u32_e32 v0, 0x1300, v1
	v_or_b32_e32 v7, 0x1400, v1
	s_delay_alu instid0(VALU_DEP_4)
	v_lshlrev_b32_e32 v137, 3, v11
	v_add_nc_u32_e32 v8, 0x1500, v1
	v_lshlrev_b32_e32 v138, 3, v12
	v_lshlrev_b32_e32 v36, 3, v43
	;; [unrolled: 1-line block ×20, first 2 shown]
	v_add_nc_u32_e32 v10, 0x1000, v53
	v_add_nc_u32_e32 v15, 0x1800, v53
	v_or_b32_e32 v16, 0x2000, v53
	v_add_nc_u32_e32 v17, 0x2800, v53
	v_add_nc_u32_e32 v18, 0x3000, v53
	v_add_nc_u32_e32 v19, 0x3800, v53
	v_or_b32_e32 v20, 0x4000, v53
	v_add_nc_u32_e32 v22, 0x4800, v53
	;; [unrolled: 4-line block ×3, first 2 shown]
	v_add_nc_u32_e32 v134, 0x7000, v53
	v_add_nc_u32_e32 v135, 0x7800, v53
	s_add_i32 s2, s2, -1
	s_delay_alu instid0(SALU_CYCLE_1)
	s_cmp_eq_u32 s15, s2
	s_cselect_b32 s2, -1, 0
	s_waitcnt vmcnt(0)
	v_add_co_u32 v5, vcc_lo, v13, v5
	v_add_co_ci_u32_e32 v6, vcc_lo, v14, v6, vcc_lo
	v_add_co_u32 v13, vcc_lo, 0x1000, v47
	v_add_co_ci_u32_e32 v14, vcc_lo, 0, v48, vcc_lo
	ds_store_b64 v53, v[5:6]
	s_waitcnt lgkmcnt(0)
	s_waitcnt_vscnt null, 0x0
	s_barrier
	buffer_gl0_inv
	ds_load_u8 v90, v1 offset:2048
	ds_load_u8 v91, v1 offset:2304
	;; [unrolled: 1-line block ×22, first 2 shown]
	s_clause 0x15
	global_load_b64 v[5:6], v[47:48], off
	global_load_b64 v[49:50], v[47:48], off offset:256
	global_load_b64 v[54:55], v[47:48], off offset:512
	global_load_b64 v[56:57], v[47:48], off offset:768
	global_load_b64 v[58:59], v[47:48], off offset:1024
	global_load_b64 v[60:61], v[47:48], off offset:1280
	global_load_b64 v[62:63], v[47:48], off offset:1536
	global_load_b64 v[64:65], v[47:48], off offset:1792
	global_load_b64 v[66:67], v[47:48], off offset:2048
	global_load_b64 v[68:69], v[47:48], off offset:2304
	global_load_b64 v[70:71], v[47:48], off offset:2560
	global_load_b64 v[72:73], v[47:48], off offset:2816
	global_load_b64 v[74:75], v[47:48], off offset:3072
	global_load_b64 v[76:77], v[47:48], off offset:3328
	global_load_b64 v[78:79], v[47:48], off offset:3584
	global_load_b64 v[47:48], v[47:48], off offset:3840
	global_load_b64 v[80:81], v[13:14], off
	global_load_b64 v[82:83], v[13:14], off offset:256
	global_load_b64 v[84:85], v[13:14], off offset:512
	;; [unrolled: 1-line block ×5, first 2 shown]
	s_waitcnt lgkmcnt(21)
	v_and_b32_e32 v112, 1, v90
	v_xor_b32_e32 v139, 1, v90
	s_waitcnt lgkmcnt(20)
	v_and_b32_e32 v90, 1, v91
	v_xor_b32_e32 v140, 1, v91
	;; [unrolled: 3-line block ×22, first 2 shown]
	v_lshrrev_b32_e32 v111, s60, v112
	v_lshrrev_b32_e32 v90, s60, v90
	;; [unrolled: 1-line block ×22, first 2 shown]
	v_and_b32_e32 v111, s1, v111
	v_and_b32_e32 v90, s1, v90
	;; [unrolled: 1-line block ×22, first 2 shown]
	v_lshlrev_b32_e32 v161, 3, v111
	v_lshlrev_b32_e32 v162, 3, v90
	;; [unrolled: 1-line block ×22, first 2 shown]
	ds_load_b64 v[90:91], v161
	ds_load_b64 v[92:93], v162
	;; [unrolled: 1-line block ×22, first 2 shown]
	s_waitcnt lgkmcnt(21)
	v_add_co_u32 v90, vcc_lo, s50, v90
	v_add_co_ci_u32_e32 v91, vcc_lo, s51, v91, vcc_lo
	s_waitcnt lgkmcnt(20)
	v_add_co_u32 v92, vcc_lo, s50, v92
	v_add_co_ci_u32_e32 v93, vcc_lo, s51, v93, vcc_lo
	;; [unrolled: 3-line block ×22, first 2 shown]
	v_add_co_u32 v90, vcc_lo, v90, v1
	v_add_co_ci_u32_e32 v91, vcc_lo, 0, v91, vcc_lo
	v_add_co_u32 v92, vcc_lo, v92, v1
	v_add_co_ci_u32_e32 v93, vcc_lo, 0, v93, vcc_lo
	v_add_co_u32 v94, vcc_lo, v94, v1
	v_add_co_ci_u32_e32 v95, vcc_lo, 0, v95, vcc_lo
	v_add_co_u32 v96, vcc_lo, v96, v1
	v_add_co_ci_u32_e32 v97, vcc_lo, 0, v97, vcc_lo
	v_add_co_u32 v98, vcc_lo, v98, v1
	v_add_co_ci_u32_e32 v99, vcc_lo, 0, v99, vcc_lo
	v_add_co_u32 v100, vcc_lo, v100, v1
	v_add_co_ci_u32_e32 v101, vcc_lo, 0, v101, vcc_lo
	v_add_co_u32 v102, vcc_lo, v102, v1
	v_add_co_ci_u32_e32 v103, vcc_lo, 0, v103, vcc_lo
	v_add_co_u32 v104, vcc_lo, v104, v1
	v_add_co_ci_u32_e32 v105, vcc_lo, 0, v105, vcc_lo
	v_add_co_u32 v106, vcc_lo, v106, v1
	v_add_co_ci_u32_e32 v107, vcc_lo, 0, v107, vcc_lo
	v_add_co_u32 v108, vcc_lo, v108, v1
	v_add_co_ci_u32_e32 v109, vcc_lo, 0, v109, vcc_lo
	v_add_co_u32 v110, vcc_lo, v110, v1
	v_add_co_ci_u32_e32 v111, vcc_lo, 0, v111, vcc_lo
	v_add_co_u32 v112, vcc_lo, v112, v1
	v_add_co_ci_u32_e32 v113, vcc_lo, 0, v113, vcc_lo
	v_add_co_u32 v114, vcc_lo, v114, v1
	v_add_co_ci_u32_e32 v115, vcc_lo, 0, v115, vcc_lo
	v_add_co_u32 v116, vcc_lo, v116, v1
	v_add_co_ci_u32_e32 v117, vcc_lo, 0, v117, vcc_lo
	v_add_co_u32 v118, vcc_lo, v118, v1
	v_add_co_ci_u32_e32 v119, vcc_lo, 0, v119, vcc_lo
	v_add_co_u32 v120, vcc_lo, v120, v1
	v_add_co_ci_u32_e32 v121, vcc_lo, 0, v121, vcc_lo
	v_add_co_u32 v122, vcc_lo, v122, v9
	v_add_co_ci_u32_e32 v123, vcc_lo, 0, v123, vcc_lo
	v_add_co_u32 v124, vcc_lo, v124, v11
	v_add_co_ci_u32_e32 v125, vcc_lo, 0, v125, vcc_lo
	v_add_co_u32 v11, vcc_lo, v126, v12
	v_add_co_ci_u32_e32 v12, vcc_lo, 0, v127, vcc_lo
	v_add_co_u32 v126, vcc_lo, v128, v0
	v_add_co_ci_u32_e32 v127, vcc_lo, 0, v129, vcc_lo
	v_add_co_u32 v128, vcc_lo, v130, v7
	v_add_co_ci_u32_e32 v129, vcc_lo, 0, v131, vcc_lo
	v_add_co_u32 v130, vcc_lo, v132, v8
	v_add_co_ci_u32_e32 v131, vcc_lo, 0, v133, vcc_lo
	s_clause 0x15
	global_store_b8 v[90:91], v139, off
	global_store_b8 v[92:93], v140, off offset:256
	global_store_b8 v[94:95], v141, off offset:512
	global_store_b8 v[96:97], v142, off offset:768
	global_store_b8 v[98:99], v143, off offset:1024
	global_store_b8 v[100:101], v144, off offset:1280
	global_store_b8 v[102:103], v145, off offset:1536
	global_store_b8 v[104:105], v146, off offset:1792
	global_store_b8 v[106:107], v147, off offset:2048
	global_store_b8 v[108:109], v148, off offset:2304
	global_store_b8 v[110:111], v149, off offset:2560
	global_store_b8 v[112:113], v150, off offset:2816
	global_store_b8 v[114:115], v151, off offset:3072
	global_store_b8 v[116:117], v152, off offset:3328
	global_store_b8 v[118:119], v153, off offset:3584
	global_store_b8 v[120:121], v154, off offset:3840
	global_store_b8 v[122:123], v155, off
	global_store_b8 v[124:125], v156, off
	;; [unrolled: 1-line block ×6, first 2 shown]
	s_waitcnt vmcnt(0)
	s_waitcnt_vscnt null, 0x0
	s_barrier
	buffer_gl0_inv
	v_lshlrev_b32_e32 v0, 3, v0
	v_lshlrev_b32_e32 v7, 3, v7
	v_lshlrev_b32_e32 v8, 3, v8
	ds_store_b64 v21, v[5:6] offset:2048
	ds_store_b64 v25, v[49:50] offset:2048
	;; [unrolled: 1-line block ×22, first 2 shown]
	s_waitcnt lgkmcnt(0)
	s_barrier
	buffer_gl0_inv
	ds_load_2addr_stride64_b64 v[11:14], v53 offset0:4 offset1:8
	ds_load_2addr_stride64_b64 v[24:27], v53 offset0:12 offset1:16
	ds_load_b64 v[5:6], v161
	ds_load_b64 v[66:67], v162
	ds_load_b64 v[68:69], v163
	ds_load_b64 v[70:71], v164
	ds_load_2addr_stride64_b64 v[28:31], v53 offset0:20 offset1:24
	ds_load_2addr_stride64_b64 v[32:35], v53 offset0:28 offset1:32
	ds_load_b64 v[72:73], v165
	ds_load_b64 v[74:75], v166
	ds_load_b64 v[76:77], v167
	ds_load_b64 v[78:79], v168
	;; [unrolled: 6-line block ×5, first 2 shown]
	ds_load_b64 v[104:105], v181
	s_waitcnt lgkmcnt(28)
	v_lshlrev_b64 v[5:6], 3, v[5:6]
	s_waitcnt lgkmcnt(27)
	v_lshlrev_b64 v[66:67], 3, v[66:67]
	s_waitcnt lgkmcnt(26)
	v_lshlrev_b64 v[68:69], 3, v[68:69]
	s_waitcnt lgkmcnt(25)
	v_lshlrev_b64 v[70:71], 3, v[70:71]
	s_waitcnt lgkmcnt(22)
	v_lshlrev_b64 v[72:73], 3, v[72:73]
	s_waitcnt lgkmcnt(21)
	v_lshlrev_b64 v[74:75], 3, v[74:75]
	v_add_co_u32 v5, vcc_lo, s54, v5
	v_add_co_ci_u32_e32 v6, vcc_lo, s55, v6, vcc_lo
	v_add_co_u32 v9, vcc_lo, s54, v66
	v_add_co_ci_u32_e32 v21, vcc_lo, s55, v67, vcc_lo
	;; [unrolled: 2-line block ×4, first 2 shown]
	s_waitcnt lgkmcnt(20)
	v_lshlrev_b64 v[76:77], 3, v[76:77]
	v_add_co_u32 v71, vcc_lo, s54, v72
	v_add_co_ci_u32_e32 v72, vcc_lo, s55, v73, vcc_lo
	s_waitcnt lgkmcnt(19)
	v_lshlrev_b64 v[78:79], 3, v[78:79]
	v_add_co_u32 v73, vcc_lo, s54, v74
	v_add_co_ci_u32_e32 v74, vcc_lo, s55, v75, vcc_lo
	;; [unrolled: 4-line block ×12, first 2 shown]
	v_add_co_u32 v95, vcc_lo, s54, v96
	v_add_co_ci_u32_e32 v96, vcc_lo, s55, v97, vcc_lo
	v_add_co_u32 v97, vcc_lo, s54, v98
	v_add_co_ci_u32_e32 v98, vcc_lo, s55, v99, vcc_lo
	;; [unrolled: 2-line block ×18, first 2 shown]
	s_waitcnt lgkmcnt(2)
	v_lshlrev_b64 v[100:101], 3, v[100:101]
	v_add_co_u32 v84, vcc_lo, v95, v136
	v_add_co_ci_u32_e32 v85, vcc_lo, 0, v96, vcc_lo
	v_add_co_u32 v86, vcc_lo, v97, v137
	s_clause 0xe
	global_store_b64 v[5:6], v[11:12], off
	global_store_b64 v[66:67], v[13:14], off offset:2048
	global_store_b64 v[9:10], v[24:25], off
	global_store_b64 v[68:69], v[26:27], off
	;; [unrolled: 1-line block ×13, first 2 shown]
	ds_load_b64 v[5:6], v182
	v_add_co_ci_u32_e32 v87, vcc_lo, 0, v98, vcc_lo
	v_add_co_u32 v9, vcc_lo, s54, v100
	v_add_co_ci_u32_e32 v10, vcc_lo, s55, v101, vcc_lo
	s_waitcnt lgkmcnt(2)
	v_lshlrev_b64 v[11:12], 3, v[102:103]
	s_delay_alu instid0(VALU_DEP_3) | instskip(NEXT) | instid1(VALU_DEP_3)
	v_add_co_u32 v9, vcc_lo, v9, v138
	v_add_co_ci_u32_e32 v10, vcc_lo, 0, v10, vcc_lo
	s_clause 0x3
	global_store_b64 v[82:83], v[56:57], off
	global_store_b64 v[84:85], v[58:59], off
	global_store_b64 v[86:87], v[60:61], off
	global_store_b64 v[9:10], v[62:63], off
	v_add_co_u32 v9, vcc_lo, s54, v11
	v_add_co_ci_u32_e32 v10, vcc_lo, s55, v12, vcc_lo
	s_waitcnt lgkmcnt(1)
	v_lshlrev_b64 v[13:14], 3, v[104:105]
	s_delay_alu instid0(VALU_DEP_3) | instskip(NEXT) | instid1(VALU_DEP_3)
	v_add_co_u32 v15, vcc_lo, v9, v0
	v_add_co_ci_u32_e32 v16, vcc_lo, 0, v10, vcc_lo
	ds_load_2addr_stride64_b64 v[9:12], v53 offset0:84 offset1:88
	s_waitcnt lgkmcnt(1)
	v_lshlrev_b64 v[5:6], 3, v[5:6]
	v_add_co_u32 v0, vcc_lo, s54, v13
	v_add_co_ci_u32_e32 v13, vcc_lo, s55, v14, vcc_lo
	global_store_b64 v[15:16], v[64:65], off
	v_add_co_u32 v14, vcc_lo, s54, v5
	v_add_co_ci_u32_e32 v17, vcc_lo, s55, v6, vcc_lo
	v_add_co_u32 v5, vcc_lo, v0, v7
	v_add_co_ci_u32_e32 v6, vcc_lo, 0, v13, vcc_lo
	s_delay_alu instid0(VALU_DEP_4) | instskip(NEXT) | instid1(VALU_DEP_4)
	v_add_co_u32 v7, vcc_lo, v14, v8
	v_add_co_ci_u32_e32 v8, vcc_lo, 0, v17, vcc_lo
	s_waitcnt lgkmcnt(0)
	s_clause 0x1
	global_store_b64 v[5:6], v[9:10], off
	global_store_b64 v[7:8], v[11:12], off
.LBB170_280:
	s_and_b32 vcc_lo, exec_lo, s2
	s_cbranch_vccnz .LBB170_282
; %bb.281:
	s_nop 0
	s_sendmsg sendmsg(MSG_DEALLOC_VGPRS)
	s_endpgm
.LBB170_282:
	ds_load_b64 v[5:6], v53
	v_lshlrev_b64 v[0:1], 3, v[1:2]
	v_add_co_u32 v2, vcc_lo, v3, v52
	v_add_co_ci_u32_e32 v3, vcc_lo, 0, v4, vcc_lo
	s_delay_alu instid0(VALU_DEP_3) | instskip(NEXT) | instid1(VALU_DEP_4)
	v_add_co_u32 v0, vcc_lo, s58, v0
	v_add_co_ci_u32_e32 v1, vcc_lo, s59, v1, vcc_lo
	s_waitcnt lgkmcnt(0)
	v_add_co_u32 v2, vcc_lo, v2, v5
	v_add_co_ci_u32_e32 v3, vcc_lo, v3, v6, vcc_lo
	global_store_b64 v[0:1], v[2:3], off
	s_nop 0
	s_sendmsg sendmsg(MSG_DEALLOC_VGPRS)
	s_endpgm
.LBB170_283:
	global_load_b64 v[5:6], v[49:50], off
	s_or_b32 exec_lo, exec_lo, s47
                                        ; implicit-def: $vgpr7_vgpr8
	s_and_saveexec_b32 s47, s2
	s_cbranch_execz .LBB170_151
.LBB170_284:
	global_load_b64 v[7:8], v[49:50], off offset:256
	s_or_b32 exec_lo, exec_lo, s47
                                        ; implicit-def: $vgpr9_vgpr10
	s_and_saveexec_b32 s2, s3
	s_cbranch_execz .LBB170_152
.LBB170_285:
	global_load_b64 v[9:10], v[49:50], off offset:512
	s_or_b32 exec_lo, exec_lo, s2
                                        ; implicit-def: $vgpr11_vgpr12
	s_and_saveexec_b32 s2, s4
	s_cbranch_execz .LBB170_153
.LBB170_286:
	global_load_b64 v[11:12], v[49:50], off offset:768
	s_or_b32 exec_lo, exec_lo, s2
                                        ; implicit-def: $vgpr13_vgpr14
	s_and_saveexec_b32 s2, s5
	s_cbranch_execz .LBB170_154
.LBB170_287:
	global_load_b64 v[13:14], v[49:50], off offset:1024
	s_or_b32 exec_lo, exec_lo, s2
                                        ; implicit-def: $vgpr15_vgpr16
	s_and_saveexec_b32 s2, s6
	s_cbranch_execz .LBB170_155
.LBB170_288:
	global_load_b64 v[15:16], v[49:50], off offset:1280
	s_or_b32 exec_lo, exec_lo, s2
                                        ; implicit-def: $vgpr17_vgpr18
	s_and_saveexec_b32 s2, s7
	s_cbranch_execz .LBB170_156
.LBB170_289:
	global_load_b64 v[17:18], v[49:50], off offset:1536
	s_or_b32 exec_lo, exec_lo, s2
                                        ; implicit-def: $vgpr19_vgpr20
	s_and_saveexec_b32 s2, s8
	s_cbranch_execz .LBB170_157
.LBB170_290:
	global_load_b64 v[19:20], v[49:50], off offset:1792
	s_or_b32 exec_lo, exec_lo, s2
                                        ; implicit-def: $vgpr21_vgpr22
	s_and_saveexec_b32 s2, s9
	s_cbranch_execz .LBB170_158
.LBB170_291:
	global_load_b64 v[21:22], v[49:50], off offset:2048
	s_or_b32 exec_lo, exec_lo, s2
                                        ; implicit-def: $vgpr23_vgpr24
	s_and_saveexec_b32 s2, s10
	s_cbranch_execz .LBB170_159
.LBB170_292:
	global_load_b64 v[23:24], v[49:50], off offset:2304
	s_or_b32 exec_lo, exec_lo, s2
                                        ; implicit-def: $vgpr25_vgpr26
	s_and_saveexec_b32 s2, s11
	s_cbranch_execz .LBB170_160
.LBB170_293:
	global_load_b64 v[25:26], v[49:50], off offset:2560
	s_or_b32 exec_lo, exec_lo, s2
                                        ; implicit-def: $vgpr27_vgpr28
	s_and_saveexec_b32 s2, s12
	s_cbranch_execz .LBB170_161
.LBB170_294:
	global_load_b64 v[27:28], v[49:50], off offset:2816
	s_or_b32 exec_lo, exec_lo, s2
                                        ; implicit-def: $vgpr29_vgpr30
	s_and_saveexec_b32 s2, s13
	s_cbranch_execz .LBB170_162
.LBB170_295:
	global_load_b64 v[29:30], v[49:50], off offset:3072
	s_or_b32 exec_lo, exec_lo, s2
                                        ; implicit-def: $vgpr31_vgpr32
	s_and_saveexec_b32 s2, s14
	s_cbranch_execz .LBB170_163
.LBB170_296:
	global_load_b64 v[31:32], v[49:50], off offset:3328
	s_or_b32 exec_lo, exec_lo, s2
                                        ; implicit-def: $vgpr33_vgpr34
	s_and_saveexec_b32 s2, s16
	s_cbranch_execz .LBB170_164
.LBB170_297:
	global_load_b64 v[33:34], v[49:50], off offset:3584
	s_or_b32 exec_lo, exec_lo, s2
                                        ; implicit-def: $vgpr35_vgpr36
	s_and_saveexec_b32 s2, s17
	s_cbranch_execz .LBB170_165
.LBB170_298:
	global_load_b64 v[35:36], v[49:50], off offset:3840
	s_or_b32 exec_lo, exec_lo, s2
                                        ; implicit-def: $vgpr37_vgpr38
	s_and_saveexec_b32 s2, s18
	s_cbranch_execz .LBB170_166
.LBB170_299:
	v_add_co_u32 v37, vcc_lo, 0x1000, v49
	v_add_co_ci_u32_e32 v38, vcc_lo, 0, v50, vcc_lo
	global_load_b64 v[37:38], v[37:38], off
	s_or_b32 exec_lo, exec_lo, s2
                                        ; implicit-def: $vgpr39_vgpr40
	s_and_saveexec_b32 s2, s19
	s_cbranch_execz .LBB170_167
.LBB170_300:
	v_add_co_u32 v39, vcc_lo, 0x1000, v49
	v_add_co_ci_u32_e32 v40, vcc_lo, 0, v50, vcc_lo
	global_load_b64 v[39:40], v[39:40], off offset:256
	s_or_b32 exec_lo, exec_lo, s2
                                        ; implicit-def: $vgpr41_vgpr42
	s_and_saveexec_b32 s2, s20
	s_cbranch_execz .LBB170_168
.LBB170_301:
	v_add_co_u32 v41, vcc_lo, 0x1000, v49
	v_add_co_ci_u32_e32 v42, vcc_lo, 0, v50, vcc_lo
	global_load_b64 v[41:42], v[41:42], off offset:512
	s_or_b32 exec_lo, exec_lo, s2
                                        ; implicit-def: $vgpr43_vgpr44
	s_and_saveexec_b32 s2, s21
	s_cbranch_execz .LBB170_169
.LBB170_302:
	v_add_co_u32 v43, vcc_lo, 0x1000, v49
	v_add_co_ci_u32_e32 v44, vcc_lo, 0, v50, vcc_lo
	global_load_b64 v[43:44], v[43:44], off offset:768
	s_or_b32 exec_lo, exec_lo, s2
                                        ; implicit-def: $vgpr45_vgpr46
	s_and_saveexec_b32 s2, s22
	s_cbranch_execz .LBB170_170
.LBB170_303:
	v_add_co_u32 v45, vcc_lo, 0x1000, v49
	v_add_co_ci_u32_e32 v46, vcc_lo, 0, v50, vcc_lo
	global_load_b64 v[45:46], v[45:46], off offset:1024
	s_or_b32 exec_lo, exec_lo, s2
                                        ; implicit-def: $vgpr47_vgpr48
	s_and_saveexec_b32 s2, s23
	s_cbranch_execz .LBB170_171
.LBB170_304:
	v_add_co_u32 v47, vcc_lo, 0x1000, v49
	v_add_co_ci_u32_e32 v48, vcc_lo, 0, v50, vcc_lo
	global_load_b64 v[47:48], v[47:48], off offset:1280
	s_or_b32 exec_lo, exec_lo, s2
                                        ; implicit-def: $vgpr115
	s_and_saveexec_b32 s2, s24
	s_cbranch_execz .LBB170_172
.LBB170_305:
	ds_load_u8 v49, v1 offset:2048
	s_waitcnt lgkmcnt(0)
	v_lshrrev_b32_e32 v49, s60, v49
	s_delay_alu instid0(VALU_DEP_1)
	v_and_b32_e32 v115, s68, v49
	s_or_b32 exec_lo, exec_lo, s2
                                        ; implicit-def: $vgpr114
	s_and_saveexec_b32 s2, s25
	s_cbranch_execz .LBB170_173
.LBB170_306:
	ds_load_u8 v49, v1 offset:2304
	s_waitcnt lgkmcnt(0)
	v_lshrrev_b32_e32 v49, s60, v49
	s_delay_alu instid0(VALU_DEP_1)
	v_and_b32_e32 v114, s68, v49
	s_or_b32 exec_lo, exec_lo, s2
                                        ; implicit-def: $vgpr113
	s_and_saveexec_b32 s2, s26
	s_cbranch_execz .LBB170_174
.LBB170_307:
	ds_load_u8 v49, v1 offset:2560
	s_waitcnt lgkmcnt(0)
	v_lshrrev_b32_e32 v49, s60, v49
	s_delay_alu instid0(VALU_DEP_1)
	v_and_b32_e32 v113, s68, v49
	s_or_b32 exec_lo, exec_lo, s2
                                        ; implicit-def: $vgpr112
	s_and_saveexec_b32 s2, s27
	s_cbranch_execz .LBB170_175
.LBB170_308:
	ds_load_u8 v49, v1 offset:2816
	s_waitcnt lgkmcnt(0)
	v_lshrrev_b32_e32 v49, s60, v49
	s_delay_alu instid0(VALU_DEP_1)
	v_and_b32_e32 v112, s68, v49
	s_or_b32 exec_lo, exec_lo, s2
                                        ; implicit-def: $vgpr111
	s_and_saveexec_b32 s2, s28
	s_cbranch_execz .LBB170_176
.LBB170_309:
	ds_load_u8 v49, v1 offset:3072
	s_waitcnt lgkmcnt(0)
	v_lshrrev_b32_e32 v49, s60, v49
	s_delay_alu instid0(VALU_DEP_1)
	v_and_b32_e32 v111, s68, v49
	s_or_b32 exec_lo, exec_lo, s2
                                        ; implicit-def: $vgpr110
	s_and_saveexec_b32 s2, s29
	s_cbranch_execz .LBB170_177
.LBB170_310:
	ds_load_u8 v49, v1 offset:3328
	s_waitcnt lgkmcnt(0)
	v_lshrrev_b32_e32 v49, s60, v49
	s_delay_alu instid0(VALU_DEP_1)
	v_and_b32_e32 v110, s68, v49
	s_or_b32 exec_lo, exec_lo, s2
                                        ; implicit-def: $vgpr109
	s_and_saveexec_b32 s2, s30
	s_cbranch_execz .LBB170_178
.LBB170_311:
	ds_load_u8 v49, v1 offset:3584
	s_waitcnt lgkmcnt(0)
	v_lshrrev_b32_e32 v49, s60, v49
	s_delay_alu instid0(VALU_DEP_1)
	v_and_b32_e32 v109, s68, v49
	s_or_b32 exec_lo, exec_lo, s2
                                        ; implicit-def: $vgpr108
	s_and_saveexec_b32 s2, s31
	s_cbranch_execz .LBB170_179
.LBB170_312:
	ds_load_u8 v49, v1 offset:3840
	s_waitcnt lgkmcnt(0)
	v_lshrrev_b32_e32 v49, s60, v49
	s_delay_alu instid0(VALU_DEP_1)
	v_and_b32_e32 v108, s68, v49
	s_or_b32 exec_lo, exec_lo, s2
                                        ; implicit-def: $vgpr107
	s_and_saveexec_b32 s2, s33
	s_cbranch_execz .LBB170_180
.LBB170_313:
	ds_load_u8 v49, v1 offset:4096
	s_waitcnt lgkmcnt(0)
	v_lshrrev_b32_e32 v49, s60, v49
	s_delay_alu instid0(VALU_DEP_1)
	v_and_b32_e32 v107, s68, v49
	s_or_b32 exec_lo, exec_lo, s2
                                        ; implicit-def: $vgpr106
	s_and_saveexec_b32 s2, s34
	s_cbranch_execz .LBB170_181
.LBB170_314:
	ds_load_u8 v49, v1 offset:4352
	s_waitcnt lgkmcnt(0)
	v_lshrrev_b32_e32 v49, s60, v49
	s_delay_alu instid0(VALU_DEP_1)
	v_and_b32_e32 v106, s68, v49
	s_or_b32 exec_lo, exec_lo, s2
                                        ; implicit-def: $vgpr105
	s_and_saveexec_b32 s2, s35
	s_cbranch_execz .LBB170_182
.LBB170_315:
	ds_load_u8 v49, v1 offset:4608
	s_waitcnt lgkmcnt(0)
	v_lshrrev_b32_e32 v49, s60, v49
	s_delay_alu instid0(VALU_DEP_1)
	v_and_b32_e32 v105, s68, v49
	s_or_b32 exec_lo, exec_lo, s2
                                        ; implicit-def: $vgpr104
	s_and_saveexec_b32 s2, s36
	s_cbranch_execz .LBB170_183
.LBB170_316:
	ds_load_u8 v49, v1 offset:4864
	s_waitcnt lgkmcnt(0)
	v_lshrrev_b32_e32 v49, s60, v49
	s_delay_alu instid0(VALU_DEP_1)
	v_and_b32_e32 v104, s68, v49
	s_or_b32 exec_lo, exec_lo, s2
                                        ; implicit-def: $vgpr103
	s_and_saveexec_b32 s2, s37
	s_cbranch_execz .LBB170_184
.LBB170_317:
	ds_load_u8 v49, v1 offset:5120
	s_waitcnt lgkmcnt(0)
	v_lshrrev_b32_e32 v49, s60, v49
	s_delay_alu instid0(VALU_DEP_1)
	v_and_b32_e32 v103, s68, v49
	s_or_b32 exec_lo, exec_lo, s2
                                        ; implicit-def: $vgpr102
	s_and_saveexec_b32 s2, s38
	s_cbranch_execz .LBB170_185
.LBB170_318:
	ds_load_u8 v49, v1 offset:5376
	s_waitcnt lgkmcnt(0)
	v_lshrrev_b32_e32 v49, s60, v49
	s_delay_alu instid0(VALU_DEP_1)
	v_and_b32_e32 v102, s68, v49
	s_or_b32 exec_lo, exec_lo, s2
                                        ; implicit-def: $vgpr101
	s_and_saveexec_b32 s2, s39
	s_cbranch_execz .LBB170_186
.LBB170_319:
	ds_load_u8 v49, v1 offset:5632
	s_waitcnt lgkmcnt(0)
	v_lshrrev_b32_e32 v49, s60, v49
	s_delay_alu instid0(VALU_DEP_1)
	v_and_b32_e32 v101, s68, v49
	s_or_b32 exec_lo, exec_lo, s2
                                        ; implicit-def: $vgpr100
	s_and_saveexec_b32 s2, s40
	s_cbranch_execz .LBB170_187
.LBB170_320:
	ds_load_u8 v49, v1 offset:5888
	s_waitcnt lgkmcnt(0)
	v_lshrrev_b32_e32 v49, s60, v49
	s_delay_alu instid0(VALU_DEP_1)
	v_and_b32_e32 v100, s68, v49
	s_or_b32 exec_lo, exec_lo, s2
                                        ; implicit-def: $vgpr99
	s_and_saveexec_b32 s2, s41
	s_cbranch_execz .LBB170_188
.LBB170_321:
	ds_load_u8 v49, v1 offset:6144
	s_waitcnt lgkmcnt(0)
	v_lshrrev_b32_e32 v49, s60, v49
	s_delay_alu instid0(VALU_DEP_1)
	v_and_b32_e32 v99, s68, v49
	s_or_b32 exec_lo, exec_lo, s2
                                        ; implicit-def: $vgpr98
	s_and_saveexec_b32 s2, s42
	s_cbranch_execz .LBB170_189
.LBB170_322:
	ds_load_u8 v49, v1 offset:6400
	s_waitcnt lgkmcnt(0)
	v_lshrrev_b32_e32 v49, s60, v49
	s_delay_alu instid0(VALU_DEP_1)
	v_and_b32_e32 v98, s68, v49
	s_or_b32 exec_lo, exec_lo, s2
                                        ; implicit-def: $vgpr97
	s_and_saveexec_b32 s2, s43
	s_cbranch_execz .LBB170_190
.LBB170_323:
	ds_load_u8 v49, v1 offset:6656
	s_waitcnt lgkmcnt(0)
	v_lshrrev_b32_e32 v49, s60, v49
	s_delay_alu instid0(VALU_DEP_1)
	v_and_b32_e32 v97, s68, v49
	s_or_b32 exec_lo, exec_lo, s2
                                        ; implicit-def: $vgpr96
	s_and_saveexec_b32 s2, s44
	s_cbranch_execz .LBB170_191
.LBB170_324:
	ds_load_u8 v49, v1 offset:6912
	s_waitcnt lgkmcnt(0)
	v_lshrrev_b32_e32 v49, s60, v49
	s_delay_alu instid0(VALU_DEP_1)
	v_and_b32_e32 v96, s68, v49
	s_or_b32 exec_lo, exec_lo, s2
                                        ; implicit-def: $vgpr50
	s_and_saveexec_b32 s2, s45
	s_cbranch_execz .LBB170_192
.LBB170_325:
	ds_load_u8 v49, v1 offset:7168
	s_waitcnt lgkmcnt(0)
	v_lshrrev_b32_e32 v49, s60, v49
	s_delay_alu instid0(VALU_DEP_1)
	v_and_b32_e32 v50, s68, v49
	s_or_b32 exec_lo, exec_lo, s2
                                        ; implicit-def: $vgpr49
	s_and_saveexec_b32 s2, s46
	s_cbranch_execnz .LBB170_193
	s_branch .LBB170_194
.LBB170_326:
	v_lshlrev_b32_e32 v5, 3, v115
	ds_load_b64 v[5:6], v5
	ds_load_b64 v[7:8], v53 offset:2048
	s_waitcnt lgkmcnt(1)
	v_lshlrev_b64 v[5:6], 3, v[5:6]
	s_delay_alu instid0(VALU_DEP_1) | instskip(NEXT) | instid1(VALU_DEP_2)
	v_add_co_u32 v5, vcc_lo, s54, v5
	v_add_co_ci_u32_e32 v6, vcc_lo, s55, v6, vcc_lo
	s_delay_alu instid0(VALU_DEP_2) | instskip(NEXT) | instid1(VALU_DEP_2)
	v_add_co_u32 v5, vcc_lo, v5, v53
	v_add_co_ci_u32_e32 v6, vcc_lo, 0, v6, vcc_lo
	s_waitcnt lgkmcnt(0)
	global_store_b64 v[5:6], v[7:8], off
	s_or_b32 exec_lo, exec_lo, s2
	s_and_saveexec_b32 s2, s25
	s_cbranch_execz .LBB170_196
.LBB170_327:
	v_lshlrev_b32_e32 v5, 3, v114
	v_lshlrev_b32_e32 v9, 3, v1
	ds_load_b64 v[5:6], v5
	ds_load_b64 v[7:8], v9 offset:4096
	s_waitcnt lgkmcnt(1)
	v_lshlrev_b64 v[5:6], 3, v[5:6]
	s_delay_alu instid0(VALU_DEP_1) | instskip(NEXT) | instid1(VALU_DEP_2)
	v_add_co_u32 v5, vcc_lo, s54, v5
	v_add_co_ci_u32_e32 v6, vcc_lo, s55, v6, vcc_lo
	s_delay_alu instid0(VALU_DEP_2) | instskip(NEXT) | instid1(VALU_DEP_2)
	v_add_co_u32 v5, vcc_lo, v5, v9
	v_add_co_ci_u32_e32 v6, vcc_lo, 0, v6, vcc_lo
	s_waitcnt lgkmcnt(0)
	global_store_b64 v[5:6], v[7:8], off offset:2048
	s_or_b32 exec_lo, exec_lo, s2
	s_and_saveexec_b32 s2, s26
	s_cbranch_execz .LBB170_197
.LBB170_328:
	v_lshlrev_b32_e32 v5, 3, v113
	v_lshlrev_b32_e32 v7, 3, v1
	;; [unrolled: 1-line block ×3, first 2 shown]
	ds_load_b64 v[5:6], v5
	ds_load_b64 v[7:8], v7 offset:6144
	s_waitcnt lgkmcnt(1)
	v_lshlrev_b64 v[5:6], 3, v[5:6]
	s_delay_alu instid0(VALU_DEP_1) | instskip(NEXT) | instid1(VALU_DEP_2)
	v_add_co_u32 v5, vcc_lo, s54, v5
	v_add_co_ci_u32_e32 v6, vcc_lo, s55, v6, vcc_lo
	s_delay_alu instid0(VALU_DEP_2) | instskip(NEXT) | instid1(VALU_DEP_2)
	v_add_co_u32 v5, vcc_lo, v5, v9
	v_add_co_ci_u32_e32 v6, vcc_lo, 0, v6, vcc_lo
	s_waitcnt lgkmcnt(0)
	global_store_b64 v[5:6], v[7:8], off
	s_or_b32 exec_lo, exec_lo, s2
	s_and_saveexec_b32 s2, s27
	s_cbranch_execz .LBB170_198
.LBB170_329:
	v_lshlrev_b32_e32 v5, 3, v112
	v_lshlrev_b32_e32 v7, 3, v1
	v_lshlrev_b32_e32 v9, 3, v77
	ds_load_b64 v[5:6], v5
	ds_load_b64 v[7:8], v7 offset:8192
	s_waitcnt lgkmcnt(1)
	v_lshlrev_b64 v[5:6], 3, v[5:6]
	s_delay_alu instid0(VALU_DEP_1) | instskip(NEXT) | instid1(VALU_DEP_2)
	v_add_co_u32 v5, vcc_lo, s54, v5
	v_add_co_ci_u32_e32 v6, vcc_lo, s55, v6, vcc_lo
	s_delay_alu instid0(VALU_DEP_2) | instskip(NEXT) | instid1(VALU_DEP_2)
	v_add_co_u32 v5, vcc_lo, v5, v9
	v_add_co_ci_u32_e32 v6, vcc_lo, 0, v6, vcc_lo
	s_waitcnt lgkmcnt(0)
	global_store_b64 v[5:6], v[7:8], off
	s_or_b32 exec_lo, exec_lo, s2
	s_and_saveexec_b32 s2, s28
	s_cbranch_execz .LBB170_199
.LBB170_330:
	v_lshlrev_b32_e32 v5, 3, v111
	v_lshlrev_b32_e32 v7, 3, v1
	;; [unrolled: 1-line block ×3, first 2 shown]
	ds_load_b64 v[5:6], v5
	ds_load_b64 v[7:8], v7 offset:10240
	s_waitcnt lgkmcnt(1)
	v_lshlrev_b64 v[5:6], 3, v[5:6]
	s_delay_alu instid0(VALU_DEP_1) | instskip(NEXT) | instid1(VALU_DEP_2)
	v_add_co_u32 v5, vcc_lo, s54, v5
	v_add_co_ci_u32_e32 v6, vcc_lo, s55, v6, vcc_lo
	s_delay_alu instid0(VALU_DEP_2) | instskip(NEXT) | instid1(VALU_DEP_2)
	v_add_co_u32 v5, vcc_lo, v5, v9
	v_add_co_ci_u32_e32 v6, vcc_lo, 0, v6, vcc_lo
	s_waitcnt lgkmcnt(0)
	global_store_b64 v[5:6], v[7:8], off
	s_or_b32 exec_lo, exec_lo, s2
	s_and_saveexec_b32 s2, s29
	s_cbranch_execz .LBB170_200
.LBB170_331:
	v_lshlrev_b32_e32 v5, 3, v110
	v_lshlrev_b32_e32 v7, 3, v1
	;; [unrolled: 1-line block ×3, first 2 shown]
	ds_load_b64 v[5:6], v5
	ds_load_b64 v[7:8], v7 offset:12288
	s_waitcnt lgkmcnt(1)
	v_lshlrev_b64 v[5:6], 3, v[5:6]
	s_delay_alu instid0(VALU_DEP_1) | instskip(NEXT) | instid1(VALU_DEP_2)
	v_add_co_u32 v5, vcc_lo, s54, v5
	v_add_co_ci_u32_e32 v6, vcc_lo, s55, v6, vcc_lo
	s_delay_alu instid0(VALU_DEP_2) | instskip(NEXT) | instid1(VALU_DEP_2)
	v_add_co_u32 v5, vcc_lo, v5, v9
	v_add_co_ci_u32_e32 v6, vcc_lo, 0, v6, vcc_lo
	s_waitcnt lgkmcnt(0)
	global_store_b64 v[5:6], v[7:8], off
	s_or_b32 exec_lo, exec_lo, s2
	s_and_saveexec_b32 s2, s30
	s_cbranch_execz .LBB170_201
.LBB170_332:
	v_lshlrev_b32_e32 v5, 3, v109
	v_lshlrev_b32_e32 v7, 3, v1
	;; [unrolled: 1-line block ×3, first 2 shown]
	ds_load_b64 v[5:6], v5
	ds_load_b64 v[7:8], v7 offset:14336
	s_waitcnt lgkmcnt(1)
	v_lshlrev_b64 v[5:6], 3, v[5:6]
	s_delay_alu instid0(VALU_DEP_1) | instskip(NEXT) | instid1(VALU_DEP_2)
	v_add_co_u32 v5, vcc_lo, s54, v5
	v_add_co_ci_u32_e32 v6, vcc_lo, s55, v6, vcc_lo
	s_delay_alu instid0(VALU_DEP_2) | instskip(NEXT) | instid1(VALU_DEP_2)
	v_add_co_u32 v5, vcc_lo, v5, v9
	v_add_co_ci_u32_e32 v6, vcc_lo, 0, v6, vcc_lo
	s_waitcnt lgkmcnt(0)
	global_store_b64 v[5:6], v[7:8], off
	s_or_b32 exec_lo, exec_lo, s2
	s_and_saveexec_b32 s2, s31
	s_cbranch_execz .LBB170_202
.LBB170_333:
	v_lshlrev_b32_e32 v5, 3, v108
	v_lshlrev_b32_e32 v7, 3, v1
	v_lshlrev_b32_e32 v9, 3, v81
	ds_load_b64 v[5:6], v5
	ds_load_b64 v[7:8], v7 offset:16384
	s_waitcnt lgkmcnt(1)
	v_lshlrev_b64 v[5:6], 3, v[5:6]
	s_delay_alu instid0(VALU_DEP_1) | instskip(NEXT) | instid1(VALU_DEP_2)
	v_add_co_u32 v5, vcc_lo, s54, v5
	v_add_co_ci_u32_e32 v6, vcc_lo, s55, v6, vcc_lo
	s_delay_alu instid0(VALU_DEP_2) | instskip(NEXT) | instid1(VALU_DEP_2)
	v_add_co_u32 v5, vcc_lo, v5, v9
	v_add_co_ci_u32_e32 v6, vcc_lo, 0, v6, vcc_lo
	s_waitcnt lgkmcnt(0)
	global_store_b64 v[5:6], v[7:8], off
	s_or_b32 exec_lo, exec_lo, s2
	s_and_saveexec_b32 s2, s33
	s_cbranch_execz .LBB170_203
.LBB170_334:
	v_lshlrev_b32_e32 v5, 3, v107
	v_lshlrev_b32_e32 v7, 3, v1
	;; [unrolled: 1-line block ×3, first 2 shown]
	ds_load_b64 v[5:6], v5
	ds_load_b64 v[7:8], v7 offset:18432
	s_waitcnt lgkmcnt(1)
	v_lshlrev_b64 v[5:6], 3, v[5:6]
	s_delay_alu instid0(VALU_DEP_1) | instskip(NEXT) | instid1(VALU_DEP_2)
	v_add_co_u32 v5, vcc_lo, s54, v5
	v_add_co_ci_u32_e32 v6, vcc_lo, s55, v6, vcc_lo
	s_delay_alu instid0(VALU_DEP_2) | instskip(NEXT) | instid1(VALU_DEP_2)
	v_add_co_u32 v5, vcc_lo, v5, v9
	v_add_co_ci_u32_e32 v6, vcc_lo, 0, v6, vcc_lo
	s_waitcnt lgkmcnt(0)
	global_store_b64 v[5:6], v[7:8], off
	s_or_b32 exec_lo, exec_lo, s2
	s_and_saveexec_b32 s2, s34
	s_cbranch_execz .LBB170_204
.LBB170_335:
	v_lshlrev_b32_e32 v5, 3, v106
	v_lshlrev_b32_e32 v7, 3, v1
	;; [unrolled: 1-line block ×3, first 2 shown]
	ds_load_b64 v[5:6], v5
	ds_load_b64 v[7:8], v7 offset:20480
	s_waitcnt lgkmcnt(1)
	v_lshlrev_b64 v[5:6], 3, v[5:6]
	s_delay_alu instid0(VALU_DEP_1) | instskip(NEXT) | instid1(VALU_DEP_2)
	v_add_co_u32 v5, vcc_lo, s54, v5
	v_add_co_ci_u32_e32 v6, vcc_lo, s55, v6, vcc_lo
	s_delay_alu instid0(VALU_DEP_2) | instskip(NEXT) | instid1(VALU_DEP_2)
	v_add_co_u32 v5, vcc_lo, v5, v9
	v_add_co_ci_u32_e32 v6, vcc_lo, 0, v6, vcc_lo
	s_waitcnt lgkmcnt(0)
	global_store_b64 v[5:6], v[7:8], off
	s_or_b32 exec_lo, exec_lo, s2
	s_and_saveexec_b32 s2, s35
	s_cbranch_execz .LBB170_205
.LBB170_336:
	v_lshlrev_b32_e32 v5, 3, v105
	v_lshlrev_b32_e32 v7, 3, v1
	;; [unrolled: 1-line block ×3, first 2 shown]
	ds_load_b64 v[5:6], v5
	ds_load_b64 v[7:8], v7 offset:22528
	s_waitcnt lgkmcnt(1)
	v_lshlrev_b64 v[5:6], 3, v[5:6]
	s_delay_alu instid0(VALU_DEP_1) | instskip(NEXT) | instid1(VALU_DEP_2)
	v_add_co_u32 v5, vcc_lo, s54, v5
	v_add_co_ci_u32_e32 v6, vcc_lo, s55, v6, vcc_lo
	s_delay_alu instid0(VALU_DEP_2) | instskip(NEXT) | instid1(VALU_DEP_2)
	v_add_co_u32 v5, vcc_lo, v5, v9
	v_add_co_ci_u32_e32 v6, vcc_lo, 0, v6, vcc_lo
	s_waitcnt lgkmcnt(0)
	global_store_b64 v[5:6], v[7:8], off
	s_or_b32 exec_lo, exec_lo, s2
	s_and_saveexec_b32 s2, s36
	s_cbranch_execz .LBB170_206
.LBB170_337:
	v_lshlrev_b32_e32 v5, 3, v104
	v_lshlrev_b32_e32 v7, 3, v1
	;; [unrolled: 1-line block ×3, first 2 shown]
	ds_load_b64 v[5:6], v5
	ds_load_b64 v[7:8], v7 offset:24576
	s_waitcnt lgkmcnt(1)
	v_lshlrev_b64 v[5:6], 3, v[5:6]
	s_delay_alu instid0(VALU_DEP_1) | instskip(NEXT) | instid1(VALU_DEP_2)
	v_add_co_u32 v5, vcc_lo, s54, v5
	v_add_co_ci_u32_e32 v6, vcc_lo, s55, v6, vcc_lo
	s_delay_alu instid0(VALU_DEP_2) | instskip(NEXT) | instid1(VALU_DEP_2)
	v_add_co_u32 v5, vcc_lo, v5, v9
	v_add_co_ci_u32_e32 v6, vcc_lo, 0, v6, vcc_lo
	s_waitcnt lgkmcnt(0)
	global_store_b64 v[5:6], v[7:8], off
	s_or_b32 exec_lo, exec_lo, s2
	s_and_saveexec_b32 s2, s37
	s_cbranch_execz .LBB170_207
.LBB170_338:
	v_lshlrev_b32_e32 v5, 3, v103
	v_lshlrev_b32_e32 v7, 3, v1
	;; [unrolled: 1-line block ×3, first 2 shown]
	ds_load_b64 v[5:6], v5
	ds_load_b64 v[7:8], v7 offset:26624
	s_waitcnt lgkmcnt(1)
	v_lshlrev_b64 v[5:6], 3, v[5:6]
	s_delay_alu instid0(VALU_DEP_1) | instskip(NEXT) | instid1(VALU_DEP_2)
	v_add_co_u32 v5, vcc_lo, s54, v5
	v_add_co_ci_u32_e32 v6, vcc_lo, s55, v6, vcc_lo
	s_delay_alu instid0(VALU_DEP_2) | instskip(NEXT) | instid1(VALU_DEP_2)
	v_add_co_u32 v5, vcc_lo, v5, v9
	v_add_co_ci_u32_e32 v6, vcc_lo, 0, v6, vcc_lo
	s_waitcnt lgkmcnt(0)
	global_store_b64 v[5:6], v[7:8], off
	s_or_b32 exec_lo, exec_lo, s2
	s_and_saveexec_b32 s2, s38
	s_cbranch_execz .LBB170_208
.LBB170_339:
	v_lshlrev_b32_e32 v5, 3, v102
	v_lshlrev_b32_e32 v7, 3, v1
	;; [unrolled: 1-line block ×3, first 2 shown]
	ds_load_b64 v[5:6], v5
	ds_load_b64 v[7:8], v7 offset:28672
	s_waitcnt lgkmcnt(1)
	v_lshlrev_b64 v[5:6], 3, v[5:6]
	s_delay_alu instid0(VALU_DEP_1) | instskip(NEXT) | instid1(VALU_DEP_2)
	v_add_co_u32 v5, vcc_lo, s54, v5
	v_add_co_ci_u32_e32 v6, vcc_lo, s55, v6, vcc_lo
	s_delay_alu instid0(VALU_DEP_2) | instskip(NEXT) | instid1(VALU_DEP_2)
	v_add_co_u32 v5, vcc_lo, v5, v9
	v_add_co_ci_u32_e32 v6, vcc_lo, 0, v6, vcc_lo
	s_waitcnt lgkmcnt(0)
	global_store_b64 v[5:6], v[7:8], off
	s_or_b32 exec_lo, exec_lo, s2
	s_and_saveexec_b32 s2, s39
	s_cbranch_execz .LBB170_209
.LBB170_340:
	v_lshlrev_b32_e32 v5, 3, v101
	v_lshlrev_b32_e32 v7, 3, v1
	;; [unrolled: 1-line block ×3, first 2 shown]
	ds_load_b64 v[5:6], v5
	ds_load_b64 v[7:8], v7 offset:30720
	s_waitcnt lgkmcnt(1)
	v_lshlrev_b64 v[5:6], 3, v[5:6]
	s_delay_alu instid0(VALU_DEP_1) | instskip(NEXT) | instid1(VALU_DEP_2)
	v_add_co_u32 v5, vcc_lo, s54, v5
	v_add_co_ci_u32_e32 v6, vcc_lo, s55, v6, vcc_lo
	s_delay_alu instid0(VALU_DEP_2) | instskip(NEXT) | instid1(VALU_DEP_2)
	v_add_co_u32 v5, vcc_lo, v5, v9
	v_add_co_ci_u32_e32 v6, vcc_lo, 0, v6, vcc_lo
	s_waitcnt lgkmcnt(0)
	global_store_b64 v[5:6], v[7:8], off
	s_or_b32 exec_lo, exec_lo, s2
	s_and_saveexec_b32 s2, s40
	s_cbranch_execz .LBB170_210
.LBB170_341:
	v_lshlrev_b32_e32 v5, 3, v100
	v_lshlrev_b32_e32 v7, 3, v1
	;; [unrolled: 1-line block ×3, first 2 shown]
	ds_load_b64 v[5:6], v5
	ds_load_b64 v[7:8], v7 offset:32768
	s_waitcnt lgkmcnt(1)
	v_lshlrev_b64 v[5:6], 3, v[5:6]
	s_delay_alu instid0(VALU_DEP_1) | instskip(NEXT) | instid1(VALU_DEP_2)
	v_add_co_u32 v5, vcc_lo, s54, v5
	v_add_co_ci_u32_e32 v6, vcc_lo, s55, v6, vcc_lo
	s_delay_alu instid0(VALU_DEP_2) | instskip(NEXT) | instid1(VALU_DEP_2)
	v_add_co_u32 v5, vcc_lo, v5, v9
	v_add_co_ci_u32_e32 v6, vcc_lo, 0, v6, vcc_lo
	s_waitcnt lgkmcnt(0)
	global_store_b64 v[5:6], v[7:8], off
	s_or_b32 exec_lo, exec_lo, s2
	s_and_saveexec_b32 s2, s41
	s_cbranch_execz .LBB170_211
.LBB170_342:
	v_lshlrev_b32_e32 v5, 3, v99
	v_lshlrev_b32_e32 v7, 3, v1
	;; [unrolled: 1-line block ×3, first 2 shown]
	ds_load_b64 v[5:6], v5
	ds_load_b64 v[7:8], v7 offset:34816
	s_waitcnt lgkmcnt(1)
	v_lshlrev_b64 v[5:6], 3, v[5:6]
	s_delay_alu instid0(VALU_DEP_1) | instskip(NEXT) | instid1(VALU_DEP_2)
	v_add_co_u32 v5, vcc_lo, s54, v5
	v_add_co_ci_u32_e32 v6, vcc_lo, s55, v6, vcc_lo
	s_delay_alu instid0(VALU_DEP_2) | instskip(NEXT) | instid1(VALU_DEP_2)
	v_add_co_u32 v5, vcc_lo, v5, v9
	v_add_co_ci_u32_e32 v6, vcc_lo, 0, v6, vcc_lo
	s_waitcnt lgkmcnt(0)
	global_store_b64 v[5:6], v[7:8], off
	s_or_b32 exec_lo, exec_lo, s2
	s_and_saveexec_b32 s2, s42
	s_cbranch_execz .LBB170_212
.LBB170_343:
	v_lshlrev_b32_e32 v5, 3, v98
	v_lshlrev_b32_e32 v7, 3, v1
	;; [unrolled: 1-line block ×3, first 2 shown]
	ds_load_b64 v[5:6], v5
	ds_load_b64 v[7:8], v7 offset:36864
	s_waitcnt lgkmcnt(1)
	v_lshlrev_b64 v[5:6], 3, v[5:6]
	s_delay_alu instid0(VALU_DEP_1) | instskip(NEXT) | instid1(VALU_DEP_2)
	v_add_co_u32 v5, vcc_lo, s54, v5
	v_add_co_ci_u32_e32 v6, vcc_lo, s55, v6, vcc_lo
	s_delay_alu instid0(VALU_DEP_2) | instskip(NEXT) | instid1(VALU_DEP_2)
	v_add_co_u32 v5, vcc_lo, v5, v9
	v_add_co_ci_u32_e32 v6, vcc_lo, 0, v6, vcc_lo
	s_waitcnt lgkmcnt(0)
	global_store_b64 v[5:6], v[7:8], off
	s_or_b32 exec_lo, exec_lo, s2
	s_and_saveexec_b32 s2, s43
	s_cbranch_execz .LBB170_213
.LBB170_344:
	v_lshlrev_b32_e32 v5, 3, v97
	v_lshlrev_b32_e32 v7, 3, v1
	v_lshlrev_b32_e32 v9, 3, v92
	ds_load_b64 v[5:6], v5
	ds_load_b64 v[7:8], v7 offset:38912
	s_waitcnt lgkmcnt(1)
	v_lshlrev_b64 v[5:6], 3, v[5:6]
	s_delay_alu instid0(VALU_DEP_1) | instskip(NEXT) | instid1(VALU_DEP_2)
	v_add_co_u32 v5, vcc_lo, s54, v5
	v_add_co_ci_u32_e32 v6, vcc_lo, s55, v6, vcc_lo
	s_delay_alu instid0(VALU_DEP_2) | instskip(NEXT) | instid1(VALU_DEP_2)
	v_add_co_u32 v5, vcc_lo, v5, v9
	v_add_co_ci_u32_e32 v6, vcc_lo, 0, v6, vcc_lo
	s_waitcnt lgkmcnt(0)
	global_store_b64 v[5:6], v[7:8], off
	s_or_b32 exec_lo, exec_lo, s2
	s_and_saveexec_b32 s2, s44
	s_cbranch_execz .LBB170_214
.LBB170_345:
	v_lshlrev_b32_e32 v5, 3, v96
	v_lshlrev_b32_e32 v7, 3, v1
	;; [unrolled: 1-line block ×3, first 2 shown]
	ds_load_b64 v[5:6], v5
	ds_load_b64 v[7:8], v7 offset:40960
	s_waitcnt lgkmcnt(1)
	v_lshlrev_b64 v[5:6], 3, v[5:6]
	s_delay_alu instid0(VALU_DEP_1) | instskip(NEXT) | instid1(VALU_DEP_2)
	v_add_co_u32 v5, vcc_lo, s54, v5
	v_add_co_ci_u32_e32 v6, vcc_lo, s55, v6, vcc_lo
	s_delay_alu instid0(VALU_DEP_2) | instskip(NEXT) | instid1(VALU_DEP_2)
	v_add_co_u32 v5, vcc_lo, v5, v9
	v_add_co_ci_u32_e32 v6, vcc_lo, 0, v6, vcc_lo
	s_waitcnt lgkmcnt(0)
	global_store_b64 v[5:6], v[7:8], off
	s_or_b32 exec_lo, exec_lo, s2
	s_and_saveexec_b32 s2, s45
	s_cbranch_execz .LBB170_215
.LBB170_346:
	v_lshlrev_b32_e32 v5, 3, v50
	v_lshlrev_b32_e32 v7, 3, v1
	;; [unrolled: 1-line block ×3, first 2 shown]
	ds_load_b64 v[5:6], v5
	ds_load_b64 v[7:8], v7 offset:43008
	s_waitcnt lgkmcnt(1)
	v_lshlrev_b64 v[5:6], 3, v[5:6]
	s_delay_alu instid0(VALU_DEP_1) | instskip(NEXT) | instid1(VALU_DEP_2)
	v_add_co_u32 v5, vcc_lo, s54, v5
	v_add_co_ci_u32_e32 v6, vcc_lo, s55, v6, vcc_lo
	s_delay_alu instid0(VALU_DEP_2) | instskip(NEXT) | instid1(VALU_DEP_2)
	v_add_co_u32 v5, vcc_lo, v5, v9
	v_add_co_ci_u32_e32 v6, vcc_lo, 0, v6, vcc_lo
	s_waitcnt lgkmcnt(0)
	global_store_b64 v[5:6], v[7:8], off
	s_or_b32 exec_lo, exec_lo, s2
	s_and_saveexec_b32 s2, s46
	s_cbranch_execnz .LBB170_216
	s_branch .LBB170_217
	.section	.rodata,"a",@progbits
	.p2align	6, 0x0
	.amdhsa_kernel _ZN7rocprim17ROCPRIM_304000_NS6detail25onesweep_iteration_kernelINS1_34wrapped_radix_sort_onesweep_configINS0_14default_configEbN2at4cuda3cub6detail10OpaqueTypeILi8EEEEELb1EPKbPbPKSA_PSA_mNS0_19identity_decomposerEEEvT1_T2_T3_T4_jPT5_SO_PNS1_23onesweep_lookback_stateET6_jjj
		.amdhsa_group_segment_fixed_size 47104
		.amdhsa_private_segment_fixed_size 0
		.amdhsa_kernarg_size 336
		.amdhsa_user_sgpr_count 15
		.amdhsa_user_sgpr_dispatch_ptr 0
		.amdhsa_user_sgpr_queue_ptr 0
		.amdhsa_user_sgpr_kernarg_segment_ptr 1
		.amdhsa_user_sgpr_dispatch_id 0
		.amdhsa_user_sgpr_private_segment_size 0
		.amdhsa_wavefront_size32 1
		.amdhsa_uses_dynamic_stack 0
		.amdhsa_enable_private_segment 0
		.amdhsa_system_sgpr_workgroup_id_x 1
		.amdhsa_system_sgpr_workgroup_id_y 0
		.amdhsa_system_sgpr_workgroup_id_z 0
		.amdhsa_system_sgpr_workgroup_info 0
		.amdhsa_system_vgpr_workitem_id 2
		.amdhsa_next_free_vgpr 183
		.amdhsa_next_free_sgpr 72
		.amdhsa_reserve_vcc 1
		.amdhsa_float_round_mode_32 0
		.amdhsa_float_round_mode_16_64 0
		.amdhsa_float_denorm_mode_32 3
		.amdhsa_float_denorm_mode_16_64 3
		.amdhsa_dx10_clamp 1
		.amdhsa_ieee_mode 1
		.amdhsa_fp16_overflow 0
		.amdhsa_workgroup_processor_mode 1
		.amdhsa_memory_ordered 1
		.amdhsa_forward_progress 0
		.amdhsa_shared_vgpr_count 0
		.amdhsa_exception_fp_ieee_invalid_op 0
		.amdhsa_exception_fp_denorm_src 0
		.amdhsa_exception_fp_ieee_div_zero 0
		.amdhsa_exception_fp_ieee_overflow 0
		.amdhsa_exception_fp_ieee_underflow 0
		.amdhsa_exception_fp_ieee_inexact 0
		.amdhsa_exception_int_div_zero 0
	.end_amdhsa_kernel
	.section	.text._ZN7rocprim17ROCPRIM_304000_NS6detail25onesweep_iteration_kernelINS1_34wrapped_radix_sort_onesweep_configINS0_14default_configEbN2at4cuda3cub6detail10OpaqueTypeILi8EEEEELb1EPKbPbPKSA_PSA_mNS0_19identity_decomposerEEEvT1_T2_T3_T4_jPT5_SO_PNS1_23onesweep_lookback_stateET6_jjj,"axG",@progbits,_ZN7rocprim17ROCPRIM_304000_NS6detail25onesweep_iteration_kernelINS1_34wrapped_radix_sort_onesweep_configINS0_14default_configEbN2at4cuda3cub6detail10OpaqueTypeILi8EEEEELb1EPKbPbPKSA_PSA_mNS0_19identity_decomposerEEEvT1_T2_T3_T4_jPT5_SO_PNS1_23onesweep_lookback_stateET6_jjj,comdat
.Lfunc_end170:
	.size	_ZN7rocprim17ROCPRIM_304000_NS6detail25onesweep_iteration_kernelINS1_34wrapped_radix_sort_onesweep_configINS0_14default_configEbN2at4cuda3cub6detail10OpaqueTypeILi8EEEEELb1EPKbPbPKSA_PSA_mNS0_19identity_decomposerEEEvT1_T2_T3_T4_jPT5_SO_PNS1_23onesweep_lookback_stateET6_jjj, .Lfunc_end170-_ZN7rocprim17ROCPRIM_304000_NS6detail25onesweep_iteration_kernelINS1_34wrapped_radix_sort_onesweep_configINS0_14default_configEbN2at4cuda3cub6detail10OpaqueTypeILi8EEEEELb1EPKbPbPKSA_PSA_mNS0_19identity_decomposerEEEvT1_T2_T3_T4_jPT5_SO_PNS1_23onesweep_lookback_stateET6_jjj
                                        ; -- End function
	.section	.AMDGPU.csdata,"",@progbits
; Kernel info:
; codeLenInByte = 23752
; NumSgprs: 74
; NumVgprs: 183
; ScratchSize: 0
; MemoryBound: 0
; FloatMode: 240
; IeeeMode: 1
; LDSByteSize: 47104 bytes/workgroup (compile time only)
; SGPRBlocks: 9
; VGPRBlocks: 22
; NumSGPRsForWavesPerEU: 74
; NumVGPRsForWavesPerEU: 183
; Occupancy: 4
; WaveLimiterHint : 1
; COMPUTE_PGM_RSRC2:SCRATCH_EN: 0
; COMPUTE_PGM_RSRC2:USER_SGPR: 15
; COMPUTE_PGM_RSRC2:TRAP_HANDLER: 0
; COMPUTE_PGM_RSRC2:TGID_X_EN: 1
; COMPUTE_PGM_RSRC2:TGID_Y_EN: 0
; COMPUTE_PGM_RSRC2:TGID_Z_EN: 0
; COMPUTE_PGM_RSRC2:TIDIG_COMP_CNT: 2
	.section	.text._ZN7rocprim17ROCPRIM_304000_NS6detail25onesweep_iteration_kernelINS1_34wrapped_radix_sort_onesweep_configINS0_14default_configEbN2at4cuda3cub6detail10OpaqueTypeILi8EEEEELb1EPbSC_PSA_SD_mNS0_19identity_decomposerEEEvT1_T2_T3_T4_jPT5_SK_PNS1_23onesweep_lookback_stateET6_jjj,"axG",@progbits,_ZN7rocprim17ROCPRIM_304000_NS6detail25onesweep_iteration_kernelINS1_34wrapped_radix_sort_onesweep_configINS0_14default_configEbN2at4cuda3cub6detail10OpaqueTypeILi8EEEEELb1EPbSC_PSA_SD_mNS0_19identity_decomposerEEEvT1_T2_T3_T4_jPT5_SK_PNS1_23onesweep_lookback_stateET6_jjj,comdat
	.protected	_ZN7rocprim17ROCPRIM_304000_NS6detail25onesweep_iteration_kernelINS1_34wrapped_radix_sort_onesweep_configINS0_14default_configEbN2at4cuda3cub6detail10OpaqueTypeILi8EEEEELb1EPbSC_PSA_SD_mNS0_19identity_decomposerEEEvT1_T2_T3_T4_jPT5_SK_PNS1_23onesweep_lookback_stateET6_jjj ; -- Begin function _ZN7rocprim17ROCPRIM_304000_NS6detail25onesweep_iteration_kernelINS1_34wrapped_radix_sort_onesweep_configINS0_14default_configEbN2at4cuda3cub6detail10OpaqueTypeILi8EEEEELb1EPbSC_PSA_SD_mNS0_19identity_decomposerEEEvT1_T2_T3_T4_jPT5_SK_PNS1_23onesweep_lookback_stateET6_jjj
	.globl	_ZN7rocprim17ROCPRIM_304000_NS6detail25onesweep_iteration_kernelINS1_34wrapped_radix_sort_onesweep_configINS0_14default_configEbN2at4cuda3cub6detail10OpaqueTypeILi8EEEEELb1EPbSC_PSA_SD_mNS0_19identity_decomposerEEEvT1_T2_T3_T4_jPT5_SK_PNS1_23onesweep_lookback_stateET6_jjj
	.p2align	8
	.type	_ZN7rocprim17ROCPRIM_304000_NS6detail25onesweep_iteration_kernelINS1_34wrapped_radix_sort_onesweep_configINS0_14default_configEbN2at4cuda3cub6detail10OpaqueTypeILi8EEEEELb1EPbSC_PSA_SD_mNS0_19identity_decomposerEEEvT1_T2_T3_T4_jPT5_SK_PNS1_23onesweep_lookback_stateET6_jjj,@function
_ZN7rocprim17ROCPRIM_304000_NS6detail25onesweep_iteration_kernelINS1_34wrapped_radix_sort_onesweep_configINS0_14default_configEbN2at4cuda3cub6detail10OpaqueTypeILi8EEEEELb1EPbSC_PSA_SD_mNS0_19identity_decomposerEEEvT1_T2_T3_T4_jPT5_SK_PNS1_23onesweep_lookback_stateET6_jjj: ; @_ZN7rocprim17ROCPRIM_304000_NS6detail25onesweep_iteration_kernelINS1_34wrapped_radix_sort_onesweep_configINS0_14default_configEbN2at4cuda3cub6detail10OpaqueTypeILi8EEEEELb1EPbSC_PSA_SD_mNS0_19identity_decomposerEEEvT1_T2_T3_T4_jPT5_SK_PNS1_23onesweep_lookback_stateET6_jjj
; %bb.0:
	s_clause 0x3
	s_load_b128 s[60:63], s[0:1], 0x44
	s_load_b256 s[48:55], s[0:1], 0x0
	s_load_b128 s[56:59], s[0:1], 0x28
	s_load_b64 s[66:67], s[0:1], 0x38
	v_and_b32_e32 v1, 0x3ff, v0
	v_mbcnt_lo_u32_b32 v51, -1, 0
	s_waitcnt lgkmcnt(0)
	s_mov_b32 s63, s15
	s_mul_i32 s64, s15, 0x1600
	s_cmp_ge_u32 s15, s62
	s_cbranch_scc0 .LBB171_218
; %bb.1:
	s_load_b32 s2, s[0:1], 0x20
	v_and_b32_e32 v11, 0xe0, v1
	s_mul_i32 s47, s62, 0xffffea00
	s_mov_b32 s46, 0
	s_mov_b32 s25, 0
	;; [unrolled: 1-line block ×3, first 2 shown]
	v_mul_u32_u24_e32 v10, 22, v11
	s_delay_alu instid0(VALU_DEP_1)
	v_or_b32_e32 v4, v51, v10
	s_waitcnt lgkmcnt(0)
	s_add_i32 s47, s47, s2
	s_add_u32 s2, s48, s64
	s_addc_u32 s3, s49, 0
	v_add_co_u32 v2, s2, s2, v51
	s_delay_alu instid0(VALU_DEP_1) | instskip(NEXT) | instid1(VALU_DEP_2)
	v_add_co_ci_u32_e64 v3, null, s3, 0, s2
	v_add_co_u32 v2, vcc_lo, v2, v10
	s_delay_alu instid0(VALU_DEP_2)
	v_add_co_ci_u32_e32 v3, vcc_lo, 0, v3, vcc_lo
	v_cmp_gt_u32_e32 vcc_lo, s47, v4
	s_and_saveexec_b32 s3, vcc_lo
	s_cbranch_execz .LBB171_3
; %bb.2:
	global_load_u8 v5, v[2:3], off
	s_waitcnt vmcnt(0)
	v_and_b32_e32 v5, 1, v5
	s_delay_alu instid0(VALU_DEP_1) | instskip(NEXT) | instid1(VALU_DEP_1)
	v_cmp_eq_u32_e64 s2, 1, v5
	s_and_b32 s25, s2, exec_lo
.LBB171_3:
	s_or_b32 exec_lo, exec_lo, s3
	v_add_nc_u32_e32 v5, 32, v4
	s_delay_alu instid0(VALU_DEP_1) | instskip(NEXT) | instid1(VALU_DEP_1)
	v_cmp_gt_u32_e64 s2, s47, v5
	s_and_saveexec_b32 s4, s2
	s_cbranch_execz .LBB171_5
; %bb.4:
	global_load_u8 v5, v[2:3], off offset:32
	s_waitcnt vmcnt(0)
	v_and_b32_e32 v5, 1, v5
	s_delay_alu instid0(VALU_DEP_1) | instskip(NEXT) | instid1(VALU_DEP_1)
	v_cmp_eq_u32_e64 s3, 1, v5
	s_and_b32 s46, s3, exec_lo
.LBB171_5:
	s_or_b32 exec_lo, exec_lo, s4
	v_add_nc_u32_e32 v5, 64, v4
	s_mov_b32 s45, 0
	s_mov_b32 s69, 0
	s_delay_alu instid0(VALU_DEP_1) | instskip(NEXT) | instid1(VALU_DEP_1)
	v_cmp_gt_u32_e64 s3, s47, v5
	s_and_saveexec_b32 s5, s3
	s_cbranch_execz .LBB171_7
; %bb.6:
	global_load_u8 v5, v[2:3], off offset:64
	s_waitcnt vmcnt(0)
	v_and_b32_e32 v5, 1, v5
	s_delay_alu instid0(VALU_DEP_1) | instskip(NEXT) | instid1(VALU_DEP_1)
	v_cmp_eq_u32_e64 s4, 1, v5
	s_and_b32 s69, s4, exec_lo
.LBB171_7:
	s_or_b32 exec_lo, exec_lo, s5
	v_add_nc_u32_e32 v5, 0x60, v4
	s_delay_alu instid0(VALU_DEP_1) | instskip(NEXT) | instid1(VALU_DEP_1)
	v_cmp_gt_u32_e64 s4, s47, v5
	s_and_saveexec_b32 s6, s4
	s_cbranch_execz .LBB171_9
; %bb.8:
	global_load_u8 v5, v[2:3], off offset:96
	s_waitcnt vmcnt(0)
	v_and_b32_e32 v5, 1, v5
	s_delay_alu instid0(VALU_DEP_1) | instskip(NEXT) | instid1(VALU_DEP_1)
	v_cmp_eq_u32_e64 s5, 1, v5
	s_and_b32 s45, s5, exec_lo
.LBB171_9:
	s_or_b32 exec_lo, exec_lo, s6
	v_add_nc_u32_e32 v5, 0x80, v4
	s_mov_b32 s43, 0
	s_mov_b32 s44, 0
	s_delay_alu instid0(VALU_DEP_1) | instskip(NEXT) | instid1(VALU_DEP_1)
	v_cmp_gt_u32_e64 s5, s47, v5
	s_and_saveexec_b32 s7, s5
	s_cbranch_execz .LBB171_11
; %bb.10:
	global_load_u8 v5, v[2:3], off offset:128
	s_waitcnt vmcnt(0)
	v_and_b32_e32 v5, 1, v5
	s_delay_alu instid0(VALU_DEP_1) | instskip(NEXT) | instid1(VALU_DEP_1)
	v_cmp_eq_u32_e64 s6, 1, v5
	s_and_b32 s44, s6, exec_lo
.LBB171_11:
	;; [unrolled: 30-line block ×10, first 2 shown]
	s_or_b32 exec_lo, exec_lo, s24
	v_add_nc_u32_e32 v4, 0x2a0, v4
	s_delay_alu instid0(VALU_DEP_1) | instskip(NEXT) | instid1(VALU_DEP_1)
	v_cmp_gt_u32_e64 s23, s47, v4
	s_and_saveexec_b32 s62, s23
	s_cbranch_execz .LBB171_45
; %bb.44:
	global_load_u8 v2, v[2:3], off offset:672
	s_waitcnt vmcnt(0)
	v_and_b32_e32 v2, 1, v2
	s_delay_alu instid0(VALU_DEP_1) | instskip(NEXT) | instid1(VALU_DEP_1)
	v_cmp_eq_u32_e64 s24, 1, v2
	s_and_b32 s26, s24, exec_lo
.LBB171_45:
	s_or_b32 exec_lo, exec_lo, s62
	s_clause 0x1
	s_load_b32 s24, s[0:1], 0x5c
	s_load_b32 s62, s[0:1], 0x50
	s_xor_b32 s68, s25, -1
	s_add_u32 s25, s0, 0x50
	s_addc_u32 s70, s1, 0
	v_mov_b32_e32 v4, 0
	v_cndmask_b32_e64 v12, 0, 1, s68
	v_bfe_u32 v7, v0, 10, 10
	v_bfe_u32 v8, v0, 20, 10
	s_delay_alu instid0(VALU_DEP_3)
	v_lshrrev_b32_e32 v2, s60, v12
	s_waitcnt lgkmcnt(0)
	s_lshr_b32 s71, s24, 16
	s_cmp_lt_u32 s15, s62
	v_mad_u32_u24 v7, v8, s71, v7
	s_cselect_b32 s24, 12, 18
	s_delay_alu instid0(SALU_CYCLE_1) | instskip(SKIP_3) | instid1(SALU_CYCLE_1)
	s_add_u32 s24, s25, s24
	s_addc_u32 s25, s70, 0
	global_load_u16 v5, v4, s[24:25]
	s_lshl_b32 s24, -1, s61
	s_not_b32 s68, s24
	s_delay_alu instid0(SALU_CYCLE_1) | instskip(NEXT) | instid1(VALU_DEP_1)
	v_and_b32_e32 v6, s68, v2
	v_add_co_u32 v2, s24, v6, -1
	s_delay_alu instid0(VALU_DEP_1) | instskip(NEXT) | instid1(VALU_DEP_1)
	v_cndmask_b32_e64 v3, 0, 1, s24
	v_cmp_ne_u32_e64 s24, 0, v3
	v_mul_u32_u24_e32 v3, 9, v1
	s_delay_alu instid0(VALU_DEP_2) | instskip(NEXT) | instid1(VALU_DEP_2)
	v_xor_b32_e32 v8, s24, v2
	v_lshlrev_b32_e32 v15, 2, v3
	ds_store_2addr_b32 v15, v4, v4 offset0:8 offset1:9
	ds_store_2addr_b32 v15, v4, v4 offset0:10 offset1:11
	;; [unrolled: 1-line block ×4, first 2 shown]
	ds_store_b32 v15, v4 offset:64
	v_mul_u32_u24_e32 v4, 9, v6
	s_waitcnt vmcnt(0) lgkmcnt(0)
	s_barrier
	buffer_gl0_inv
	; wave barrier
	v_mad_u64_u32 v[2:3], null, v7, v5, v[1:2]
	v_and_b32_e32 v3, exec_lo, v8
	s_delay_alu instid0(VALU_DEP_1) | instskip(NEXT) | instid1(VALU_DEP_3)
	v_mbcnt_lo_u32_b32 v13, v3, 0
	v_lshrrev_b32_e32 v2, 5, v2
	v_cmp_ne_u32_e64 s25, 0, v3
	s_delay_alu instid0(VALU_DEP_3) | instskip(NEXT) | instid1(VALU_DEP_3)
	v_cmp_eq_u32_e64 s24, 0, v13
	v_add_lshl_u32 v16, v2, v4, 2
	s_delay_alu instid0(VALU_DEP_2) | instskip(NEXT) | instid1(SALU_CYCLE_1)
	s_and_b32 s25, s25, s24
	s_and_saveexec_b32 s24, s25
	s_cbranch_execz .LBB171_47
; %bb.46:
	v_bcnt_u32_b32 v3, v3, 0
	ds_store_b32 v16, v3 offset:32
.LBB171_47:
	s_or_b32 exec_lo, exec_lo, s24
	s_xor_b32 s24, s46, -1
	s_delay_alu instid0(SALU_CYCLE_1) | instskip(NEXT) | instid1(VALU_DEP_1)
	v_cndmask_b32_e64 v14, 0, 1, s24
	; wave barrier
	v_lshrrev_b32_e32 v3, s60, v14
	s_delay_alu instid0(VALU_DEP_1) | instskip(NEXT) | instid1(VALU_DEP_1)
	v_and_b32_e32 v3, s68, v3
	v_add_co_u32 v4, s24, v3, -1
	s_delay_alu instid0(VALU_DEP_1) | instskip(SKIP_1) | instid1(VALU_DEP_2)
	v_cndmask_b32_e64 v5, 0, 1, s24
	v_mul_u32_u24_e32 v3, 9, v3
	v_cmp_ne_u32_e64 s24, 0, v5
	s_delay_alu instid0(VALU_DEP_2) | instskip(NEXT) | instid1(VALU_DEP_2)
	v_add_lshl_u32 v20, v2, v3, 2
	v_xor_b32_e32 v3, s24, v4
	ds_load_b32 v17, v20 offset:32
	; wave barrier
	v_and_b32_e32 v3, exec_lo, v3
	s_delay_alu instid0(VALU_DEP_1) | instskip(SKIP_1) | instid1(VALU_DEP_2)
	v_mbcnt_lo_u32_b32 v19, v3, 0
	v_cmp_ne_u32_e64 s25, 0, v3
	v_cmp_eq_u32_e64 s24, 0, v19
	s_delay_alu instid0(VALU_DEP_1) | instskip(NEXT) | instid1(SALU_CYCLE_1)
	s_and_b32 s25, s25, s24
	s_and_saveexec_b32 s24, s25
	s_cbranch_execz .LBB171_49
; %bb.48:
	s_waitcnt lgkmcnt(0)
	v_bcnt_u32_b32 v3, v3, v17
	ds_store_b32 v20, v3 offset:32
.LBB171_49:
	s_or_b32 exec_lo, exec_lo, s24
	s_xor_b32 s24, s69, -1
	s_delay_alu instid0(SALU_CYCLE_1) | instskip(NEXT) | instid1(VALU_DEP_1)
	v_cndmask_b32_e64 v18, 0, 1, s24
	; wave barrier
	v_lshrrev_b32_e32 v3, s60, v18
	s_delay_alu instid0(VALU_DEP_1) | instskip(NEXT) | instid1(VALU_DEP_1)
	v_and_b32_e32 v3, s68, v3
	v_add_co_u32 v4, s24, v3, -1
	s_delay_alu instid0(VALU_DEP_1) | instskip(SKIP_1) | instid1(VALU_DEP_2)
	v_cndmask_b32_e64 v5, 0, 1, s24
	v_mul_u32_u24_e32 v3, 9, v3
	v_cmp_ne_u32_e64 s24, 0, v5
	s_delay_alu instid0(VALU_DEP_2) | instskip(NEXT) | instid1(VALU_DEP_2)
	v_add_lshl_u32 v24, v2, v3, 2
	v_xor_b32_e32 v3, s24, v4
	ds_load_b32 v21, v24 offset:32
	; wave barrier
	v_and_b32_e32 v3, exec_lo, v3
	s_delay_alu instid0(VALU_DEP_1) | instskip(SKIP_1) | instid1(VALU_DEP_2)
	v_mbcnt_lo_u32_b32 v23, v3, 0
	v_cmp_ne_u32_e64 s25, 0, v3
	v_cmp_eq_u32_e64 s24, 0, v23
	s_delay_alu instid0(VALU_DEP_1) | instskip(NEXT) | instid1(SALU_CYCLE_1)
	s_and_b32 s25, s25, s24
	s_and_saveexec_b32 s24, s25
	s_cbranch_execz .LBB171_51
; %bb.50:
	s_waitcnt lgkmcnt(0)
	v_bcnt_u32_b32 v3, v3, v21
	ds_store_b32 v24, v3 offset:32
.LBB171_51:
	;; [unrolled: 32-line block ×20, first 2 shown]
	s_or_b32 exec_lo, exec_lo, s24
	s_xor_b32 s24, s26, -1
	s_delay_alu instid0(SALU_CYCLE_1) | instskip(SKIP_1) | instid1(VALU_DEP_2)
	v_cndmask_b32_e64 v100, 0, 1, s24
	; wave barrier
	v_add_nc_u32_e32 v72, 32, v15
	v_lshrrev_b32_e32 v3, s60, v100
	s_delay_alu instid0(VALU_DEP_1) | instskip(NEXT) | instid1(VALU_DEP_1)
	v_and_b32_e32 v3, s68, v3
	v_add_co_u32 v4, s24, v3, -1
	s_delay_alu instid0(VALU_DEP_1) | instskip(SKIP_1) | instid1(VALU_DEP_2)
	v_cndmask_b32_e64 v5, 0, 1, s24
	v_mul_u32_u24_e32 v3, 9, v3
	v_cmp_ne_u32_e64 s24, 0, v5
	s_delay_alu instid0(VALU_DEP_2) | instskip(NEXT) | instid1(VALU_DEP_2)
	v_add_lshl_u32 v71, v2, v3, 2
	v_xor_b32_e32 v2, s24, v4
	ds_load_b32 v103, v71 offset:32
	; wave barrier
	v_and_b32_e32 v2, exec_lo, v2
	s_delay_alu instid0(VALU_DEP_1) | instskip(SKIP_1) | instid1(VALU_DEP_2)
	v_mbcnt_lo_u32_b32 v104, v2, 0
	v_cmp_ne_u32_e64 s25, 0, v2
	v_cmp_eq_u32_e64 s24, 0, v104
	s_delay_alu instid0(VALU_DEP_1) | instskip(NEXT) | instid1(SALU_CYCLE_1)
	s_and_b32 s25, s25, s24
	s_and_saveexec_b32 s24, s25
	s_cbranch_execz .LBB171_89
; %bb.88:
	s_waitcnt lgkmcnt(0)
	v_bcnt_u32_b32 v2, v2, v103
	ds_store_b32 v71, v2 offset:32
.LBB171_89:
	s_or_b32 exec_lo, exec_lo, s24
	; wave barrier
	s_waitcnt lgkmcnt(0)
	s_barrier
	buffer_gl0_inv
	ds_load_2addr_b32 v[8:9], v15 offset0:8 offset1:9
	ds_load_2addr_b32 v[6:7], v72 offset0:2 offset1:3
	;; [unrolled: 1-line block ×4, first 2 shown]
	ds_load_b32 v73, v72 offset:32
	v_min_u32_e32 v11, 0xe0, v11
	s_mov_b32 s25, exec_lo
	s_delay_alu instid0(VALU_DEP_1) | instskip(SKIP_3) | instid1(VALU_DEP_1)
	v_or_b32_e32 v105, 31, v11
	s_waitcnt lgkmcnt(3)
	v_add3_u32 v74, v9, v8, v6
	s_waitcnt lgkmcnt(2)
	v_add3_u32 v74, v74, v7, v4
	s_waitcnt lgkmcnt(1)
	s_delay_alu instid0(VALU_DEP_1) | instskip(SKIP_1) | instid1(VALU_DEP_1)
	v_add3_u32 v74, v74, v5, v2
	s_waitcnt lgkmcnt(0)
	v_add3_u32 v73, v74, v3, v73
	v_and_b32_e32 v74, 15, v51
	s_delay_alu instid0(VALU_DEP_2) | instskip(NEXT) | instid1(VALU_DEP_2)
	v_mov_b32_dpp v75, v73 row_shr:1 row_mask:0xf bank_mask:0xf
	v_cmp_ne_u32_e64 s24, 0, v74
	s_delay_alu instid0(VALU_DEP_1) | instskip(SKIP_1) | instid1(VALU_DEP_2)
	v_cndmask_b32_e64 v75, 0, v75, s24
	v_cmp_lt_u32_e64 s24, 1, v74
	v_add_nc_u32_e32 v73, v75, v73
	s_delay_alu instid0(VALU_DEP_1) | instskip(NEXT) | instid1(VALU_DEP_1)
	v_mov_b32_dpp v75, v73 row_shr:2 row_mask:0xf bank_mask:0xf
	v_cndmask_b32_e64 v75, 0, v75, s24
	v_cmp_lt_u32_e64 s24, 3, v74
	s_delay_alu instid0(VALU_DEP_2) | instskip(NEXT) | instid1(VALU_DEP_1)
	v_add_nc_u32_e32 v73, v73, v75
	v_mov_b32_dpp v75, v73 row_shr:4 row_mask:0xf bank_mask:0xf
	s_delay_alu instid0(VALU_DEP_1) | instskip(SKIP_1) | instid1(VALU_DEP_2)
	v_cndmask_b32_e64 v75, 0, v75, s24
	v_cmp_lt_u32_e64 s24, 7, v74
	v_add_nc_u32_e32 v73, v73, v75
	s_delay_alu instid0(VALU_DEP_1) | instskip(NEXT) | instid1(VALU_DEP_1)
	v_mov_b32_dpp v75, v73 row_shr:8 row_mask:0xf bank_mask:0xf
	v_cndmask_b32_e64 v74, 0, v75, s24
	v_bfe_i32 v75, v51, 4, 1
	s_delay_alu instid0(VALU_DEP_2) | instskip(SKIP_4) | instid1(VALU_DEP_2)
	v_add_nc_u32_e32 v74, v73, v74
	ds_swizzle_b32 v73, v74 offset:swizzle(BROADCAST,32,15)
	s_waitcnt lgkmcnt(0)
	v_and_b32_e32 v75, v75, v73
	v_lshrrev_b32_e32 v73, 5, v1
	v_add_nc_u32_e32 v11, v74, v75
	v_cmpx_eq_u32_e64 v105, v1
	s_cbranch_execz .LBB171_91
; %bb.90:
	s_delay_alu instid0(VALU_DEP_3)
	v_lshlrev_b32_e32 v74, 2, v73
	ds_store_b32 v74, v11
.LBB171_91:
	s_or_b32 exec_lo, exec_lo, s25
	s_delay_alu instid0(SALU_CYCLE_1)
	s_mov_b32 s25, exec_lo
	s_waitcnt lgkmcnt(0)
	s_barrier
	buffer_gl0_inv
	v_cmpx_gt_u32_e32 8, v1
	s_cbranch_execz .LBB171_93
; %bb.92:
	v_lshlrev_b32_e32 v74, 2, v1
	v_and_b32_e32 v105, 7, v51
	ds_load_b32 v75, v74
	v_cmp_ne_u32_e64 s24, 0, v105
	s_waitcnt lgkmcnt(0)
	v_mov_b32_dpp v106, v75 row_shr:1 row_mask:0xf bank_mask:0xf
	s_delay_alu instid0(VALU_DEP_1) | instskip(SKIP_1) | instid1(VALU_DEP_2)
	v_cndmask_b32_e64 v106, 0, v106, s24
	v_cmp_lt_u32_e64 s24, 1, v105
	v_add_nc_u32_e32 v75, v106, v75
	s_delay_alu instid0(VALU_DEP_1) | instskip(NEXT) | instid1(VALU_DEP_1)
	v_mov_b32_dpp v106, v75 row_shr:2 row_mask:0xf bank_mask:0xf
	v_cndmask_b32_e64 v106, 0, v106, s24
	v_cmp_lt_u32_e64 s24, 3, v105
	s_delay_alu instid0(VALU_DEP_2) | instskip(NEXT) | instid1(VALU_DEP_1)
	v_add_nc_u32_e32 v75, v75, v106
	v_mov_b32_dpp v106, v75 row_shr:4 row_mask:0xf bank_mask:0xf
	s_delay_alu instid0(VALU_DEP_1) | instskip(NEXT) | instid1(VALU_DEP_1)
	v_cndmask_b32_e64 v105, 0, v106, s24
	v_add_nc_u32_e32 v75, v75, v105
	ds_store_b32 v74, v75
.LBB171_93:
	s_or_b32 exec_lo, exec_lo, s25
	v_mov_b32_e32 v74, 0
	s_mov_b32 s25, exec_lo
	s_waitcnt lgkmcnt(0)
	s_barrier
	buffer_gl0_inv
	v_cmpx_lt_u32_e32 31, v1
	s_cbranch_execz .LBB171_95
; %bb.94:
	v_lshl_add_u32 v73, v73, 2, -4
	ds_load_b32 v74, v73
.LBB171_95:
	s_or_b32 exec_lo, exec_lo, s25
	v_add_nc_u32_e32 v73, -1, v51
	s_waitcnt lgkmcnt(0)
	v_add_nc_u32_e32 v11, v74, v11
	s_mov_b32 s25, 0
	s_mov_b32 s26, exec_lo
	v_cmp_gt_i32_e64 s24, 0, v73
	s_delay_alu instid0(VALU_DEP_1) | instskip(SKIP_1) | instid1(VALU_DEP_2)
	v_cndmask_b32_e64 v73, v73, v51, s24
	v_cmp_eq_u32_e64 s24, 0, v51
	v_lshlrev_b32_e32 v73, 2, v73
	ds_bpermute_b32 v11, v73, v11
	s_waitcnt lgkmcnt(0)
	v_cndmask_b32_e64 v11, v11, v74, s24
	v_cmp_ne_u32_e64 s24, 0, v1
	s_delay_alu instid0(VALU_DEP_1) | instskip(NEXT) | instid1(VALU_DEP_1)
	v_cndmask_b32_e64 v11, 0, v11, s24
	v_add_nc_u32_e32 v8, v11, v8
	s_delay_alu instid0(VALU_DEP_1) | instskip(NEXT) | instid1(VALU_DEP_1)
	v_add_nc_u32_e32 v9, v8, v9
	v_add_nc_u32_e32 v6, v9, v6
	s_delay_alu instid0(VALU_DEP_1) | instskip(NEXT) | instid1(VALU_DEP_1)
	v_add_nc_u32_e32 v7, v6, v7
	;; [unrolled: 3-line block ×3, first 2 shown]
	v_add_nc_u32_e32 v2, v5, v2
	s_delay_alu instid0(VALU_DEP_1)
	v_add_nc_u32_e32 v3, v2, v3
	ds_store_2addr_b32 v15, v11, v8 offset0:8 offset1:9
	ds_store_2addr_b32 v72, v9, v6 offset0:2 offset1:3
	ds_store_2addr_b32 v72, v7, v4 offset0:4 offset1:5
	ds_store_2addr_b32 v72, v5, v2 offset0:6 offset1:7
	ds_store_b32 v72, v3 offset:32
	v_mov_b32_e32 v2, 0x1600
	s_waitcnt lgkmcnt(0)
	s_barrier
	buffer_gl0_inv
	ds_load_b32 v4, v20 offset:32
	ds_load_b32 v5, v24 offset:32
	;; [unrolled: 1-line block ×23, first 2 shown]
	v_add_nc_u32_e32 v15, 1, v1
	s_delay_alu instid0(VALU_DEP_1)
	v_cmpx_ne_u32_e32 0x100, v15
	s_cbranch_execz .LBB171_97
; %bb.96:
	v_mul_u32_u24_e32 v2, 9, v15
	s_delay_alu instid0(VALU_DEP_1)
	v_lshlrev_b32_e32 v2, 2, v2
	ds_load_b32 v2, v2 offset:32
.LBB171_97:
	s_or_b32 exec_lo, exec_lo, s26
	s_waitcnt lgkmcnt(22)
	v_add3_u32 v74, v19, v17, v4
	s_waitcnt lgkmcnt(21)
	v_add3_u32 v73, v23, v21, v5
	v_lshl_add_u32 v4, s15, 8, v1
	v_mov_b32_e32 v5, 0
	s_waitcnt lgkmcnt(20)
	v_add3_u32 v72, v27, v25, v6
	s_waitcnt lgkmcnt(19)
	v_add3_u32 v71, v31, v29, v7
	;; [unrolled: 2-line block ×3, first 2 shown]
	s_waitcnt lgkmcnt(0)
	v_sub_nc_u32_e32 v52, v2, v3
	v_lshlrev_b64 v[6:7], 2, v[4:5]
	v_dual_mov_b32 v2, 0 :: v_dual_add_nc_u32 v75, v16, v13
	v_add3_u32 v70, v35, v33, v8
	v_add3_u32 v69, v39, v37, v9
	v_add3_u32 v68, v43, v41, v11
	v_add_co_u32 v6, s24, s66, v6
	v_add3_u32 v67, v47, v45, v20
	v_add3_u32 v65, v55, v54, v28
	;; [unrolled: 1-line block ×13, first 2 shown]
	v_add_co_ci_u32_e64 v7, s24, s67, v7, s24
	v_or_b32_e32 v4, 2.0, v52
	s_mov_b32 s26, s63
	s_barrier
	buffer_gl0_inv
	ds_store_b8 v75, v12 offset:2048
	ds_store_b8 v74, v14 offset:2048
	;; [unrolled: 1-line block ×22, first 2 shown]
	s_waitcnt lgkmcnt(0)
	s_barrier
	buffer_gl0_inv
	global_store_b32 v[6:7], v4, off
                                        ; implicit-def: $sgpr24
	s_branch .LBB171_99
	.p2align	6
.LBB171_98:                             ;   in Loop: Header=BB171_99 Depth=1
	s_or_b32 exec_lo, exec_lo, s27
	v_and_b32_e32 v8, 0x3fffffff, v11
	v_cmp_eq_u32_e64 s24, 0x80000000, v4
	s_delay_alu instid0(VALU_DEP_2) | instskip(NEXT) | instid1(VALU_DEP_2)
	v_add_nc_u32_e32 v2, v8, v2
	s_and_b32 s27, exec_lo, s24
	s_delay_alu instid0(SALU_CYCLE_1) | instskip(NEXT) | instid1(SALU_CYCLE_1)
	s_or_b32 s25, s27, s25
	s_and_not1_b32 exec_lo, exec_lo, s25
	s_cbranch_execz .LBB171_105
.LBB171_99:                             ; =>This Loop Header: Depth=1
                                        ;     Child Loop BB171_102 Depth 2
	s_or_b32 s24, s24, exec_lo
	s_cmp_eq_u32 s26, 0
	s_cbranch_scc1 .LBB171_104
; %bb.100:                              ;   in Loop: Header=BB171_99 Depth=1
	s_add_i32 s26, s26, -1
	s_mov_b32 s27, exec_lo
	v_lshl_add_u32 v4, s26, 8, v1
	s_delay_alu instid0(VALU_DEP_1) | instskip(NEXT) | instid1(VALU_DEP_1)
	v_lshlrev_b64 v[8:9], 2, v[4:5]
	v_add_co_u32 v8, s24, s66, v8
	s_delay_alu instid0(VALU_DEP_1) | instskip(SKIP_3) | instid1(VALU_DEP_1)
	v_add_co_ci_u32_e64 v9, s24, s67, v9, s24
	global_load_b32 v11, v[8:9], off glc
	s_waitcnt vmcnt(0)
	v_and_b32_e32 v4, -2.0, v11
	v_cmpx_eq_u32_e32 0, v4
	s_cbranch_execz .LBB171_98
; %bb.101:                              ;   in Loop: Header=BB171_99 Depth=1
	s_mov_b32 s28, 0
.LBB171_102:                            ;   Parent Loop BB171_99 Depth=1
                                        ; =>  This Inner Loop Header: Depth=2
	global_load_b32 v11, v[8:9], off glc
	s_waitcnt vmcnt(0)
	v_and_b32_e32 v4, -2.0, v11
	s_delay_alu instid0(VALU_DEP_1) | instskip(NEXT) | instid1(VALU_DEP_1)
	v_cmp_ne_u32_e64 s24, 0, v4
	s_or_b32 s28, s24, s28
	s_delay_alu instid0(SALU_CYCLE_1)
	s_and_not1_b32 exec_lo, exec_lo, s28
	s_cbranch_execnz .LBB171_102
; %bb.103:                              ;   in Loop: Header=BB171_99 Depth=1
	s_or_b32 exec_lo, exec_lo, s28
	s_branch .LBB171_98
.LBB171_104:                            ;   in Loop: Header=BB171_99 Depth=1
                                        ; implicit-def: $sgpr26
	s_and_b32 s27, exec_lo, s24
	s_delay_alu instid0(SALU_CYCLE_1) | instskip(NEXT) | instid1(SALU_CYCLE_1)
	s_or_b32 s25, s27, s25
	s_and_not1_b32 exec_lo, exec_lo, s25
	s_cbranch_execnz .LBB171_99
.LBB171_105:
	s_or_b32 exec_lo, exec_lo, s25
	v_add_nc_u32_e32 v4, v2, v52
	v_lshlrev_b32_e32 v53, 3, v1
	s_delay_alu instid0(VALU_DEP_2)
	v_or_b32_e32 v4, 0x80000000, v4
	global_store_b32 v[6:7], v4, off
	v_sub_co_u32 v6, s24, v2, v3
	v_mov_b32_e32 v2, 0
	global_load_b64 v[4:5], v53, s[56:57]
	v_sub_co_ci_u32_e64 v7, null, 0, 0, s24
	s_waitcnt vmcnt(0)
	v_add_co_u32 v6, s24, v6, v4
	s_delay_alu instid0(VALU_DEP_1)
	v_add_co_ci_u32_e64 v7, s24, v7, v5, s24
	v_cmp_gt_u32_e64 s24, s47, v1
	v_mov_b32_e32 v4, v2
	ds_store_b64 v53, v[6:7]
	s_waitcnt lgkmcnt(0)
	s_waitcnt_vscnt null, 0x0
	s_barrier
	buffer_gl0_inv
	s_and_saveexec_b32 s26, s24
	s_cbranch_execz .LBB171_107
; %bb.106:
	ds_load_u8 v7, v1 offset:2048
	s_waitcnt lgkmcnt(0)
	v_and_b32_e32 v5, 1, v7
	v_xor_b32_e32 v7, 1, v7
	s_delay_alu instid0(VALU_DEP_2) | instskip(NEXT) | instid1(VALU_DEP_1)
	v_lshrrev_b32_e32 v5, s60, v5
	v_and_b32_e32 v5, s68, v5
	s_delay_alu instid0(VALU_DEP_1) | instskip(SKIP_3) | instid1(VALU_DEP_1)
	v_lshlrev_b32_e32 v5, 3, v5
	ds_load_b64 v[5:6], v5
	s_waitcnt lgkmcnt(0)
	v_add_co_u32 v5, s25, s50, v5
	v_add_co_ci_u32_e64 v6, s25, s51, v6, s25
	s_delay_alu instid0(VALU_DEP_2) | instskip(NEXT) | instid1(VALU_DEP_1)
	v_add_co_u32 v5, s25, v5, v1
	v_add_co_ci_u32_e64 v6, s25, 0, v6, s25
	global_store_b8 v[5:6], v7, off
.LBB171_107:
	s_or_b32 exec_lo, exec_lo, s26
	v_add_nc_u32_e32 v5, 0x100, v1
	s_delay_alu instid0(VALU_DEP_1) | instskip(NEXT) | instid1(VALU_DEP_1)
	v_cmp_gt_u32_e64 s25, s47, v5
	s_and_saveexec_b32 s27, s25
	s_cbranch_execz .LBB171_109
; %bb.108:
	ds_load_u8 v7, v1 offset:2304
	s_waitcnt lgkmcnt(0)
	v_and_b32_e32 v5, 1, v7
	v_xor_b32_e32 v7, 1, v7
	s_delay_alu instid0(VALU_DEP_2) | instskip(NEXT) | instid1(VALU_DEP_1)
	v_lshrrev_b32_e32 v5, s60, v5
	v_and_b32_e32 v5, s68, v5
	s_delay_alu instid0(VALU_DEP_1) | instskip(SKIP_3) | instid1(VALU_DEP_1)
	v_lshlrev_b32_e32 v5, 3, v5
	ds_load_b64 v[5:6], v5
	s_waitcnt lgkmcnt(0)
	v_add_co_u32 v5, s26, s50, v5
	v_add_co_ci_u32_e64 v6, s26, s51, v6, s26
	s_delay_alu instid0(VALU_DEP_2) | instskip(NEXT) | instid1(VALU_DEP_1)
	v_add_co_u32 v5, s26, v5, v1
	v_add_co_ci_u32_e64 v6, s26, 0, v6, s26
	global_store_b8 v[5:6], v7, off offset:256
.LBB171_109:
	s_or_b32 exec_lo, exec_lo, s27
	v_add_nc_u32_e32 v76, 0x200, v1
	s_delay_alu instid0(VALU_DEP_1) | instskip(NEXT) | instid1(VALU_DEP_1)
	v_cmp_gt_u32_e64 s26, s47, v76
	s_and_saveexec_b32 s28, s26
	s_cbranch_execz .LBB171_111
; %bb.110:
	ds_load_u8 v7, v1 offset:2560
	s_waitcnt lgkmcnt(0)
	v_and_b32_e32 v5, 1, v7
	v_xor_b32_e32 v7, 1, v7
	s_delay_alu instid0(VALU_DEP_2) | instskip(NEXT) | instid1(VALU_DEP_1)
	v_lshrrev_b32_e32 v5, s60, v5
	v_and_b32_e32 v5, s68, v5
	s_delay_alu instid0(VALU_DEP_1) | instskip(SKIP_3) | instid1(VALU_DEP_1)
	v_lshlrev_b32_e32 v5, 3, v5
	ds_load_b64 v[5:6], v5
	s_waitcnt lgkmcnt(0)
	v_add_co_u32 v5, s27, s50, v5
	v_add_co_ci_u32_e64 v6, s27, s51, v6, s27
	s_delay_alu instid0(VALU_DEP_2) | instskip(NEXT) | instid1(VALU_DEP_1)
	v_add_co_u32 v5, s27, v5, v1
	v_add_co_ci_u32_e64 v6, s27, 0, v6, s27
	global_store_b8 v[5:6], v7, off offset:512
.LBB171_111:
	;; [unrolled: 25-line block ×3, first 2 shown]
	s_or_b32 exec_lo, exec_lo, s29
	v_or_b32_e32 v78, 0x400, v1
	s_delay_alu instid0(VALU_DEP_1) | instskip(NEXT) | instid1(VALU_DEP_1)
	v_cmp_gt_u32_e64 s28, s47, v78
	s_and_saveexec_b32 s30, s28
	s_cbranch_execz .LBB171_115
; %bb.114:
	ds_load_u8 v7, v1 offset:3072
	s_waitcnt lgkmcnt(0)
	v_and_b32_e32 v5, 1, v7
	v_xor_b32_e32 v7, 1, v7
	s_delay_alu instid0(VALU_DEP_2) | instskip(NEXT) | instid1(VALU_DEP_1)
	v_lshrrev_b32_e32 v5, s60, v5
	v_and_b32_e32 v5, s68, v5
	s_delay_alu instid0(VALU_DEP_1) | instskip(SKIP_3) | instid1(VALU_DEP_1)
	v_lshlrev_b32_e32 v5, 3, v5
	ds_load_b64 v[5:6], v5
	s_waitcnt lgkmcnt(0)
	v_add_co_u32 v5, s29, s50, v5
	v_add_co_ci_u32_e64 v6, s29, s51, v6, s29
	s_delay_alu instid0(VALU_DEP_2) | instskip(NEXT) | instid1(VALU_DEP_1)
	v_add_co_u32 v5, s29, v5, v1
	v_add_co_ci_u32_e64 v6, s29, 0, v6, s29
	global_store_b8 v[5:6], v7, off offset:1024
.LBB171_115:
	s_or_b32 exec_lo, exec_lo, s30
	v_add_nc_u32_e32 v79, 0x500, v1
	s_delay_alu instid0(VALU_DEP_1) | instskip(NEXT) | instid1(VALU_DEP_1)
	v_cmp_gt_u32_e64 s29, s47, v79
	s_and_saveexec_b32 s31, s29
	s_cbranch_execz .LBB171_117
; %bb.116:
	ds_load_u8 v7, v1 offset:3328
	s_waitcnt lgkmcnt(0)
	v_and_b32_e32 v5, 1, v7
	v_xor_b32_e32 v7, 1, v7
	s_delay_alu instid0(VALU_DEP_2) | instskip(NEXT) | instid1(VALU_DEP_1)
	v_lshrrev_b32_e32 v5, s60, v5
	v_and_b32_e32 v5, s68, v5
	s_delay_alu instid0(VALU_DEP_1) | instskip(SKIP_3) | instid1(VALU_DEP_1)
	v_lshlrev_b32_e32 v5, 3, v5
	ds_load_b64 v[5:6], v5
	s_waitcnt lgkmcnt(0)
	v_add_co_u32 v5, s30, s50, v5
	v_add_co_ci_u32_e64 v6, s30, s51, v6, s30
	s_delay_alu instid0(VALU_DEP_2) | instskip(NEXT) | instid1(VALU_DEP_1)
	v_add_co_u32 v5, s30, v5, v1
	v_add_co_ci_u32_e64 v6, s30, 0, v6, s30
	global_store_b8 v[5:6], v7, off offset:1280
.LBB171_117:
	s_or_b32 exec_lo, exec_lo, s31
	v_add_nc_u32_e32 v80, 0x600, v1
	;; [unrolled: 25-line block ×3, first 2 shown]
	s_delay_alu instid0(VALU_DEP_1) | instskip(NEXT) | instid1(VALU_DEP_1)
	v_cmp_gt_u32_e64 s31, s47, v81
	s_and_saveexec_b32 s34, s31
	s_cbranch_execz .LBB171_121
; %bb.120:
	ds_load_u8 v7, v1 offset:3840
	s_waitcnt lgkmcnt(0)
	v_and_b32_e32 v5, 1, v7
	v_xor_b32_e32 v7, 1, v7
	s_delay_alu instid0(VALU_DEP_2) | instskip(NEXT) | instid1(VALU_DEP_1)
	v_lshrrev_b32_e32 v5, s60, v5
	v_and_b32_e32 v5, s68, v5
	s_delay_alu instid0(VALU_DEP_1) | instskip(SKIP_3) | instid1(VALU_DEP_1)
	v_lshlrev_b32_e32 v5, 3, v5
	ds_load_b64 v[5:6], v5
	s_waitcnt lgkmcnt(0)
	v_add_co_u32 v5, s33, s50, v5
	v_add_co_ci_u32_e64 v6, s33, s51, v6, s33
	s_delay_alu instid0(VALU_DEP_2) | instskip(NEXT) | instid1(VALU_DEP_1)
	v_add_co_u32 v5, s33, v5, v1
	v_add_co_ci_u32_e64 v6, s33, 0, v6, s33
	global_store_b8 v[5:6], v7, off offset:1792
.LBB171_121:
	s_or_b32 exec_lo, exec_lo, s34
	v_or_b32_e32 v82, 0x800, v1
	s_delay_alu instid0(VALU_DEP_1) | instskip(NEXT) | instid1(VALU_DEP_1)
	v_cmp_gt_u32_e64 s33, s47, v82
	s_and_saveexec_b32 s35, s33
	s_cbranch_execz .LBB171_123
; %bb.122:
	ds_load_u8 v7, v1 offset:4096
	s_waitcnt lgkmcnt(0)
	v_and_b32_e32 v5, 1, v7
	v_xor_b32_e32 v7, 1, v7
	s_delay_alu instid0(VALU_DEP_2) | instskip(NEXT) | instid1(VALU_DEP_1)
	v_lshrrev_b32_e32 v5, s60, v5
	v_and_b32_e32 v5, s68, v5
	s_delay_alu instid0(VALU_DEP_1) | instskip(SKIP_3) | instid1(VALU_DEP_1)
	v_lshlrev_b32_e32 v5, 3, v5
	ds_load_b64 v[5:6], v5
	s_waitcnt lgkmcnt(0)
	v_add_co_u32 v5, s34, s50, v5
	v_add_co_ci_u32_e64 v6, s34, s51, v6, s34
	s_delay_alu instid0(VALU_DEP_2) | instskip(NEXT) | instid1(VALU_DEP_1)
	v_add_co_u32 v5, s34, v5, v1
	v_add_co_ci_u32_e64 v6, s34, 0, v6, s34
	global_store_b8 v[5:6], v7, off offset:2048
.LBB171_123:
	s_or_b32 exec_lo, exec_lo, s35
	v_add_nc_u32_e32 v83, 0x900, v1
	s_delay_alu instid0(VALU_DEP_1) | instskip(NEXT) | instid1(VALU_DEP_1)
	v_cmp_gt_u32_e64 s34, s47, v83
	s_and_saveexec_b32 s36, s34
	s_cbranch_execz .LBB171_125
; %bb.124:
	ds_load_u8 v7, v1 offset:4352
	s_waitcnt lgkmcnt(0)
	v_and_b32_e32 v5, 1, v7
	v_xor_b32_e32 v7, 1, v7
	s_delay_alu instid0(VALU_DEP_2) | instskip(NEXT) | instid1(VALU_DEP_1)
	v_lshrrev_b32_e32 v5, s60, v5
	v_and_b32_e32 v5, s68, v5
	s_delay_alu instid0(VALU_DEP_1) | instskip(SKIP_3) | instid1(VALU_DEP_1)
	v_lshlrev_b32_e32 v5, 3, v5
	ds_load_b64 v[5:6], v5
	s_waitcnt lgkmcnt(0)
	v_add_co_u32 v5, s35, s50, v5
	v_add_co_ci_u32_e64 v6, s35, s51, v6, s35
	s_delay_alu instid0(VALU_DEP_2) | instskip(NEXT) | instid1(VALU_DEP_1)
	v_add_co_u32 v5, s35, v5, v1
	v_add_co_ci_u32_e64 v6, s35, 0, v6, s35
	global_store_b8 v[5:6], v7, off offset:2304
.LBB171_125:
	s_or_b32 exec_lo, exec_lo, s36
	v_add_nc_u32_e32 v84, 0xa00, v1
	s_delay_alu instid0(VALU_DEP_1) | instskip(NEXT) | instid1(VALU_DEP_1)
	v_cmp_gt_u32_e64 s35, s47, v84
	s_and_saveexec_b32 s37, s35
	s_cbranch_execz .LBB171_127
; %bb.126:
	ds_load_u8 v7, v1 offset:4608
	s_waitcnt lgkmcnt(0)
	v_and_b32_e32 v5, 1, v7
	v_xor_b32_e32 v7, 1, v7
	s_delay_alu instid0(VALU_DEP_2) | instskip(NEXT) | instid1(VALU_DEP_1)
	v_lshrrev_b32_e32 v5, s60, v5
	v_and_b32_e32 v5, s68, v5
	s_delay_alu instid0(VALU_DEP_1) | instskip(SKIP_3) | instid1(VALU_DEP_1)
	v_lshlrev_b32_e32 v5, 3, v5
	ds_load_b64 v[5:6], v5
	s_waitcnt lgkmcnt(0)
	v_add_co_u32 v5, s36, s50, v5
	v_add_co_ci_u32_e64 v6, s36, s51, v6, s36
	s_delay_alu instid0(VALU_DEP_2) | instskip(NEXT) | instid1(VALU_DEP_1)
	v_add_co_u32 v5, s36, v5, v1
	v_add_co_ci_u32_e64 v6, s36, 0, v6, s36
	global_store_b8 v[5:6], v7, off offset:2560
.LBB171_127:
	s_or_b32 exec_lo, exec_lo, s37
	v_add_nc_u32_e32 v85, 0xb00, v1
	s_delay_alu instid0(VALU_DEP_1) | instskip(NEXT) | instid1(VALU_DEP_1)
	v_cmp_gt_u32_e64 s36, s47, v85
	s_and_saveexec_b32 s38, s36
	s_cbranch_execz .LBB171_129
; %bb.128:
	ds_load_u8 v7, v1 offset:4864
	s_waitcnt lgkmcnt(0)
	v_and_b32_e32 v5, 1, v7
	v_xor_b32_e32 v7, 1, v7
	s_delay_alu instid0(VALU_DEP_2) | instskip(NEXT) | instid1(VALU_DEP_1)
	v_lshrrev_b32_e32 v5, s60, v5
	v_and_b32_e32 v5, s68, v5
	s_delay_alu instid0(VALU_DEP_1) | instskip(SKIP_3) | instid1(VALU_DEP_1)
	v_lshlrev_b32_e32 v5, 3, v5
	ds_load_b64 v[5:6], v5
	s_waitcnt lgkmcnt(0)
	v_add_co_u32 v5, s37, s50, v5
	v_add_co_ci_u32_e64 v6, s37, s51, v6, s37
	s_delay_alu instid0(VALU_DEP_2) | instskip(NEXT) | instid1(VALU_DEP_1)
	v_add_co_u32 v5, s37, v5, v1
	v_add_co_ci_u32_e64 v6, s37, 0, v6, s37
	global_store_b8 v[5:6], v7, off offset:2816
.LBB171_129:
	s_or_b32 exec_lo, exec_lo, s38
	v_or_b32_e32 v86, 0xc00, v1
	s_delay_alu instid0(VALU_DEP_1) | instskip(NEXT) | instid1(VALU_DEP_1)
	v_cmp_gt_u32_e64 s37, s47, v86
	s_and_saveexec_b32 s39, s37
	s_cbranch_execz .LBB171_131
; %bb.130:
	ds_load_u8 v7, v1 offset:5120
	s_waitcnt lgkmcnt(0)
	v_and_b32_e32 v5, 1, v7
	v_xor_b32_e32 v7, 1, v7
	s_delay_alu instid0(VALU_DEP_2) | instskip(NEXT) | instid1(VALU_DEP_1)
	v_lshrrev_b32_e32 v5, s60, v5
	v_and_b32_e32 v5, s68, v5
	s_delay_alu instid0(VALU_DEP_1) | instskip(SKIP_3) | instid1(VALU_DEP_1)
	v_lshlrev_b32_e32 v5, 3, v5
	ds_load_b64 v[5:6], v5
	s_waitcnt lgkmcnt(0)
	v_add_co_u32 v5, s38, s50, v5
	v_add_co_ci_u32_e64 v6, s38, s51, v6, s38
	s_delay_alu instid0(VALU_DEP_2) | instskip(NEXT) | instid1(VALU_DEP_1)
	v_add_co_u32 v5, s38, v5, v1
	v_add_co_ci_u32_e64 v6, s38, 0, v6, s38
	global_store_b8 v[5:6], v7, off offset:3072
.LBB171_131:
	s_or_b32 exec_lo, exec_lo, s39
	v_add_nc_u32_e32 v87, 0xd00, v1
	s_delay_alu instid0(VALU_DEP_1) | instskip(NEXT) | instid1(VALU_DEP_1)
	v_cmp_gt_u32_e64 s38, s47, v87
	s_and_saveexec_b32 s40, s38
	s_cbranch_execz .LBB171_133
; %bb.132:
	ds_load_u8 v7, v1 offset:5376
	s_waitcnt lgkmcnt(0)
	v_and_b32_e32 v5, 1, v7
	v_xor_b32_e32 v7, 1, v7
	s_delay_alu instid0(VALU_DEP_2) | instskip(NEXT) | instid1(VALU_DEP_1)
	v_lshrrev_b32_e32 v5, s60, v5
	v_and_b32_e32 v5, s68, v5
	s_delay_alu instid0(VALU_DEP_1) | instskip(SKIP_3) | instid1(VALU_DEP_1)
	v_lshlrev_b32_e32 v5, 3, v5
	ds_load_b64 v[5:6], v5
	s_waitcnt lgkmcnt(0)
	v_add_co_u32 v5, s39, s50, v5
	v_add_co_ci_u32_e64 v6, s39, s51, v6, s39
	s_delay_alu instid0(VALU_DEP_2) | instskip(NEXT) | instid1(VALU_DEP_1)
	v_add_co_u32 v5, s39, v5, v1
	v_add_co_ci_u32_e64 v6, s39, 0, v6, s39
	global_store_b8 v[5:6], v7, off offset:3328
.LBB171_133:
	s_or_b32 exec_lo, exec_lo, s40
	v_add_nc_u32_e32 v88, 0xe00, v1
	;; [unrolled: 25-line block ×3, first 2 shown]
	s_delay_alu instid0(VALU_DEP_1) | instskip(NEXT) | instid1(VALU_DEP_1)
	v_cmp_gt_u32_e64 s40, s47, v89
	s_and_saveexec_b32 s42, s40
	s_cbranch_execz .LBB171_137
; %bb.136:
	ds_load_u8 v7, v1 offset:5888
	s_waitcnt lgkmcnt(0)
	v_and_b32_e32 v5, 1, v7
	v_xor_b32_e32 v7, 1, v7
	s_delay_alu instid0(VALU_DEP_2) | instskip(NEXT) | instid1(VALU_DEP_1)
	v_lshrrev_b32_e32 v5, s60, v5
	v_and_b32_e32 v5, s68, v5
	s_delay_alu instid0(VALU_DEP_1) | instskip(SKIP_3) | instid1(VALU_DEP_1)
	v_lshlrev_b32_e32 v5, 3, v5
	ds_load_b64 v[5:6], v5
	s_waitcnt lgkmcnt(0)
	v_add_co_u32 v5, s41, s50, v5
	v_add_co_ci_u32_e64 v6, s41, s51, v6, s41
	s_delay_alu instid0(VALU_DEP_2) | instskip(NEXT) | instid1(VALU_DEP_1)
	v_add_co_u32 v5, s41, v5, v1
	v_add_co_ci_u32_e64 v6, s41, 0, v6, s41
	global_store_b8 v[5:6], v7, off offset:3840
.LBB171_137:
	s_or_b32 exec_lo, exec_lo, s42
	v_or_b32_e32 v90, 0x1000, v1
	s_delay_alu instid0(VALU_DEP_1) | instskip(NEXT) | instid1(VALU_DEP_1)
	v_cmp_gt_u32_e64 s41, s47, v90
	s_and_saveexec_b32 s43, s41
	s_cbranch_execz .LBB171_139
; %bb.138:
	ds_load_u8 v7, v1 offset:6144
	s_waitcnt lgkmcnt(0)
	v_and_b32_e32 v5, 1, v7
	v_xor_b32_e32 v7, 1, v7
	s_delay_alu instid0(VALU_DEP_2) | instskip(NEXT) | instid1(VALU_DEP_1)
	v_lshrrev_b32_e32 v5, s60, v5
	v_and_b32_e32 v5, s68, v5
	s_delay_alu instid0(VALU_DEP_1) | instskip(SKIP_3) | instid1(VALU_DEP_1)
	v_lshlrev_b32_e32 v5, 3, v5
	ds_load_b64 v[5:6], v5
	s_waitcnt lgkmcnt(0)
	v_add_co_u32 v5, s42, s50, v5
	v_add_co_ci_u32_e64 v6, s42, s51, v6, s42
	s_delay_alu instid0(VALU_DEP_2) | instskip(NEXT) | instid1(VALU_DEP_1)
	v_add_co_u32 v5, s42, v5, v90
	v_add_co_ci_u32_e64 v6, s42, 0, v6, s42
	global_store_b8 v[5:6], v7, off
.LBB171_139:
	s_or_b32 exec_lo, exec_lo, s43
	v_add_nc_u32_e32 v91, 0x1100, v1
	s_delay_alu instid0(VALU_DEP_1) | instskip(NEXT) | instid1(VALU_DEP_1)
	v_cmp_gt_u32_e64 s42, s47, v91
	s_and_saveexec_b32 s44, s42
	s_cbranch_execz .LBB171_141
; %bb.140:
	ds_load_u8 v7, v1 offset:6400
	s_waitcnt lgkmcnt(0)
	v_and_b32_e32 v5, 1, v7
	v_xor_b32_e32 v7, 1, v7
	s_delay_alu instid0(VALU_DEP_2) | instskip(NEXT) | instid1(VALU_DEP_1)
	v_lshrrev_b32_e32 v5, s60, v5
	v_and_b32_e32 v5, s68, v5
	s_delay_alu instid0(VALU_DEP_1) | instskip(SKIP_3) | instid1(VALU_DEP_1)
	v_lshlrev_b32_e32 v5, 3, v5
	ds_load_b64 v[5:6], v5
	s_waitcnt lgkmcnt(0)
	v_add_co_u32 v5, s43, s50, v5
	v_add_co_ci_u32_e64 v6, s43, s51, v6, s43
	s_delay_alu instid0(VALU_DEP_2) | instskip(NEXT) | instid1(VALU_DEP_1)
	v_add_co_u32 v5, s43, v5, v91
	v_add_co_ci_u32_e64 v6, s43, 0, v6, s43
	global_store_b8 v[5:6], v7, off
.LBB171_141:
	s_or_b32 exec_lo, exec_lo, s44
	v_add_nc_u32_e32 v92, 0x1200, v1
	;; [unrolled: 25-line block ×3, first 2 shown]
	s_delay_alu instid0(VALU_DEP_1) | instskip(NEXT) | instid1(VALU_DEP_1)
	v_cmp_gt_u32_e64 s44, s47, v93
	s_and_saveexec_b32 s46, s44
	s_cbranch_execz .LBB171_145
; %bb.144:
	ds_load_u8 v7, v1 offset:6912
	s_waitcnt lgkmcnt(0)
	v_and_b32_e32 v5, 1, v7
	v_xor_b32_e32 v7, 1, v7
	s_delay_alu instid0(VALU_DEP_2) | instskip(NEXT) | instid1(VALU_DEP_1)
	v_lshrrev_b32_e32 v5, s60, v5
	v_and_b32_e32 v5, s68, v5
	s_delay_alu instid0(VALU_DEP_1) | instskip(SKIP_3) | instid1(VALU_DEP_1)
	v_lshlrev_b32_e32 v5, 3, v5
	ds_load_b64 v[5:6], v5
	s_waitcnt lgkmcnt(0)
	v_add_co_u32 v5, s45, s50, v5
	v_add_co_ci_u32_e64 v6, s45, s51, v6, s45
	s_delay_alu instid0(VALU_DEP_2) | instskip(NEXT) | instid1(VALU_DEP_1)
	v_add_co_u32 v5, s45, v5, v93
	v_add_co_ci_u32_e64 v6, s45, 0, v6, s45
	global_store_b8 v[5:6], v7, off
.LBB171_145:
	s_or_b32 exec_lo, exec_lo, s46
	v_or_b32_e32 v94, 0x1400, v1
	s_delay_alu instid0(VALU_DEP_1) | instskip(NEXT) | instid1(VALU_DEP_1)
	v_cmp_gt_u32_e64 s45, s47, v94
	s_and_saveexec_b32 s69, s45
	s_cbranch_execz .LBB171_147
; %bb.146:
	ds_load_u8 v7, v1 offset:7168
	s_waitcnt lgkmcnt(0)
	v_and_b32_e32 v5, 1, v7
	v_xor_b32_e32 v7, 1, v7
	s_delay_alu instid0(VALU_DEP_2) | instskip(NEXT) | instid1(VALU_DEP_1)
	v_lshrrev_b32_e32 v5, s60, v5
	v_and_b32_e32 v5, s68, v5
	s_delay_alu instid0(VALU_DEP_1) | instskip(SKIP_3) | instid1(VALU_DEP_1)
	v_lshlrev_b32_e32 v5, 3, v5
	ds_load_b64 v[5:6], v5
	s_waitcnt lgkmcnt(0)
	v_add_co_u32 v5, s46, s50, v5
	v_add_co_ci_u32_e64 v6, s46, s51, v6, s46
	s_delay_alu instid0(VALU_DEP_2) | instskip(NEXT) | instid1(VALU_DEP_1)
	v_add_co_u32 v5, s46, v5, v94
	v_add_co_ci_u32_e64 v6, s46, 0, v6, s46
	global_store_b8 v[5:6], v7, off
.LBB171_147:
	s_or_b32 exec_lo, exec_lo, s69
	v_add_nc_u32_e32 v95, 0x1500, v1
	s_delay_alu instid0(VALU_DEP_1) | instskip(NEXT) | instid1(VALU_DEP_1)
	v_cmp_gt_u32_e64 s46, s47, v95
	s_and_saveexec_b32 s69, s46
	s_cbranch_execz .LBB171_149
; %bb.148:
	ds_load_u8 v7, v1 offset:7424
	s_waitcnt lgkmcnt(0)
	v_and_b32_e32 v5, 1, v7
	v_xor_b32_e32 v7, 1, v7
	s_delay_alu instid0(VALU_DEP_2) | instskip(NEXT) | instid1(VALU_DEP_1)
	v_lshrrev_b32_e32 v5, s60, v5
	v_and_b32_e32 v5, s68, v5
	s_delay_alu instid0(VALU_DEP_1) | instskip(SKIP_3) | instid1(VALU_DEP_1)
	v_lshlrev_b32_e32 v5, 3, v5
	ds_load_b64 v[5:6], v5
	s_waitcnt lgkmcnt(0)
	v_add_co_u32 v5, s47, s50, v5
	v_add_co_ci_u32_e64 v6, s47, s51, v6, s47
	s_delay_alu instid0(VALU_DEP_2) | instskip(NEXT) | instid1(VALU_DEP_1)
	v_add_co_u32 v5, s47, v5, v95
	v_add_co_ci_u32_e64 v6, s47, 0, v6, s47
	global_store_b8 v[5:6], v7, off
.LBB171_149:
	s_or_b32 exec_lo, exec_lo, s69
	v_lshlrev_b32_e32 v5, 3, v51
	s_lshl_b64 s[70:71], s[64:65], 3
	v_lshlrev_b32_e32 v6, 3, v10
	s_add_u32 s47, s52, s70
	s_addc_u32 s65, s53, s71
	v_add_co_u32 v5, s47, s47, v5
	s_delay_alu instid0(VALU_DEP_1) | instskip(NEXT) | instid1(VALU_DEP_2)
	v_add_co_ci_u32_e64 v7, null, s65, 0, s47
	v_add_co_u32 v49, s47, v5, v6
	s_delay_alu instid0(VALU_DEP_1) | instskip(SKIP_1) | instid1(SALU_CYCLE_1)
	v_add_co_ci_u32_e64 v50, s47, 0, v7, s47
                                        ; implicit-def: $vgpr5_vgpr6
	s_and_saveexec_b32 s47, vcc_lo
	s_xor_b32 s47, exec_lo, s47
	s_cbranch_execnz .LBB171_283
; %bb.150:
	s_or_b32 exec_lo, exec_lo, s47
                                        ; implicit-def: $vgpr7_vgpr8
	s_and_saveexec_b32 s47, s2
	s_cbranch_execnz .LBB171_284
.LBB171_151:
	s_or_b32 exec_lo, exec_lo, s47
                                        ; implicit-def: $vgpr9_vgpr10
	s_and_saveexec_b32 s2, s3
	s_cbranch_execnz .LBB171_285
.LBB171_152:
	s_or_b32 exec_lo, exec_lo, s2
                                        ; implicit-def: $vgpr11_vgpr12
	s_and_saveexec_b32 s2, s4
	s_cbranch_execnz .LBB171_286
.LBB171_153:
	s_or_b32 exec_lo, exec_lo, s2
                                        ; implicit-def: $vgpr13_vgpr14
	s_and_saveexec_b32 s2, s5
	s_cbranch_execnz .LBB171_287
.LBB171_154:
	s_or_b32 exec_lo, exec_lo, s2
                                        ; implicit-def: $vgpr15_vgpr16
	s_and_saveexec_b32 s2, s6
	s_cbranch_execnz .LBB171_288
.LBB171_155:
	s_or_b32 exec_lo, exec_lo, s2
                                        ; implicit-def: $vgpr17_vgpr18
	s_and_saveexec_b32 s2, s7
	s_cbranch_execnz .LBB171_289
.LBB171_156:
	s_or_b32 exec_lo, exec_lo, s2
                                        ; implicit-def: $vgpr19_vgpr20
	s_and_saveexec_b32 s2, s8
	s_cbranch_execnz .LBB171_290
.LBB171_157:
	s_or_b32 exec_lo, exec_lo, s2
                                        ; implicit-def: $vgpr21_vgpr22
	s_and_saveexec_b32 s2, s9
	s_cbranch_execnz .LBB171_291
.LBB171_158:
	s_or_b32 exec_lo, exec_lo, s2
                                        ; implicit-def: $vgpr23_vgpr24
	s_and_saveexec_b32 s2, s10
	s_cbranch_execnz .LBB171_292
.LBB171_159:
	s_or_b32 exec_lo, exec_lo, s2
                                        ; implicit-def: $vgpr25_vgpr26
	s_and_saveexec_b32 s2, s11
	s_cbranch_execnz .LBB171_293
.LBB171_160:
	s_or_b32 exec_lo, exec_lo, s2
                                        ; implicit-def: $vgpr27_vgpr28
	s_and_saveexec_b32 s2, s12
	s_cbranch_execnz .LBB171_294
.LBB171_161:
	s_or_b32 exec_lo, exec_lo, s2
                                        ; implicit-def: $vgpr29_vgpr30
	s_and_saveexec_b32 s2, s13
	s_cbranch_execnz .LBB171_295
.LBB171_162:
	s_or_b32 exec_lo, exec_lo, s2
                                        ; implicit-def: $vgpr31_vgpr32
	s_and_saveexec_b32 s2, s14
	s_cbranch_execnz .LBB171_296
.LBB171_163:
	s_or_b32 exec_lo, exec_lo, s2
                                        ; implicit-def: $vgpr33_vgpr34
	s_and_saveexec_b32 s2, s16
	s_cbranch_execnz .LBB171_297
.LBB171_164:
	s_or_b32 exec_lo, exec_lo, s2
                                        ; implicit-def: $vgpr35_vgpr36
	s_and_saveexec_b32 s2, s17
	s_cbranch_execnz .LBB171_298
.LBB171_165:
	s_or_b32 exec_lo, exec_lo, s2
                                        ; implicit-def: $vgpr37_vgpr38
	s_and_saveexec_b32 s2, s18
	s_cbranch_execnz .LBB171_299
.LBB171_166:
	s_or_b32 exec_lo, exec_lo, s2
                                        ; implicit-def: $vgpr39_vgpr40
	s_and_saveexec_b32 s2, s19
	s_cbranch_execnz .LBB171_300
.LBB171_167:
	s_or_b32 exec_lo, exec_lo, s2
                                        ; implicit-def: $vgpr41_vgpr42
	s_and_saveexec_b32 s2, s20
	s_cbranch_execnz .LBB171_301
.LBB171_168:
	s_or_b32 exec_lo, exec_lo, s2
                                        ; implicit-def: $vgpr43_vgpr44
	s_and_saveexec_b32 s2, s21
	s_cbranch_execnz .LBB171_302
.LBB171_169:
	s_or_b32 exec_lo, exec_lo, s2
                                        ; implicit-def: $vgpr45_vgpr46
	s_and_saveexec_b32 s2, s22
	s_cbranch_execnz .LBB171_303
.LBB171_170:
	s_or_b32 exec_lo, exec_lo, s2
                                        ; implicit-def: $vgpr47_vgpr48
	s_and_saveexec_b32 s2, s23
	s_cbranch_execnz .LBB171_304
.LBB171_171:
	s_or_b32 exec_lo, exec_lo, s2
                                        ; implicit-def: $vgpr115
	s_and_saveexec_b32 s2, s24
	s_cbranch_execnz .LBB171_305
.LBB171_172:
	s_or_b32 exec_lo, exec_lo, s2
                                        ; implicit-def: $vgpr114
	s_and_saveexec_b32 s2, s25
	s_cbranch_execnz .LBB171_306
.LBB171_173:
	s_or_b32 exec_lo, exec_lo, s2
                                        ; implicit-def: $vgpr113
	s_and_saveexec_b32 s2, s26
	s_cbranch_execnz .LBB171_307
.LBB171_174:
	s_or_b32 exec_lo, exec_lo, s2
                                        ; implicit-def: $vgpr112
	s_and_saveexec_b32 s2, s27
	s_cbranch_execnz .LBB171_308
.LBB171_175:
	s_or_b32 exec_lo, exec_lo, s2
                                        ; implicit-def: $vgpr111
	s_and_saveexec_b32 s2, s28
	s_cbranch_execnz .LBB171_309
.LBB171_176:
	s_or_b32 exec_lo, exec_lo, s2
                                        ; implicit-def: $vgpr110
	s_and_saveexec_b32 s2, s29
	s_cbranch_execnz .LBB171_310
.LBB171_177:
	s_or_b32 exec_lo, exec_lo, s2
                                        ; implicit-def: $vgpr109
	s_and_saveexec_b32 s2, s30
	s_cbranch_execnz .LBB171_311
.LBB171_178:
	s_or_b32 exec_lo, exec_lo, s2
                                        ; implicit-def: $vgpr108
	s_and_saveexec_b32 s2, s31
	s_cbranch_execnz .LBB171_312
.LBB171_179:
	s_or_b32 exec_lo, exec_lo, s2
                                        ; implicit-def: $vgpr107
	s_and_saveexec_b32 s2, s33
	s_cbranch_execnz .LBB171_313
.LBB171_180:
	s_or_b32 exec_lo, exec_lo, s2
                                        ; implicit-def: $vgpr106
	s_and_saveexec_b32 s2, s34
	s_cbranch_execnz .LBB171_314
.LBB171_181:
	s_or_b32 exec_lo, exec_lo, s2
                                        ; implicit-def: $vgpr105
	s_and_saveexec_b32 s2, s35
	s_cbranch_execnz .LBB171_315
.LBB171_182:
	s_or_b32 exec_lo, exec_lo, s2
                                        ; implicit-def: $vgpr104
	s_and_saveexec_b32 s2, s36
	s_cbranch_execnz .LBB171_316
.LBB171_183:
	s_or_b32 exec_lo, exec_lo, s2
                                        ; implicit-def: $vgpr103
	s_and_saveexec_b32 s2, s37
	s_cbranch_execnz .LBB171_317
.LBB171_184:
	s_or_b32 exec_lo, exec_lo, s2
                                        ; implicit-def: $vgpr102
	s_and_saveexec_b32 s2, s38
	s_cbranch_execnz .LBB171_318
.LBB171_185:
	s_or_b32 exec_lo, exec_lo, s2
                                        ; implicit-def: $vgpr101
	s_and_saveexec_b32 s2, s39
	s_cbranch_execnz .LBB171_319
.LBB171_186:
	s_or_b32 exec_lo, exec_lo, s2
                                        ; implicit-def: $vgpr100
	s_and_saveexec_b32 s2, s40
	s_cbranch_execnz .LBB171_320
.LBB171_187:
	s_or_b32 exec_lo, exec_lo, s2
                                        ; implicit-def: $vgpr99
	s_and_saveexec_b32 s2, s41
	s_cbranch_execnz .LBB171_321
.LBB171_188:
	s_or_b32 exec_lo, exec_lo, s2
                                        ; implicit-def: $vgpr98
	s_and_saveexec_b32 s2, s42
	s_cbranch_execnz .LBB171_322
.LBB171_189:
	s_or_b32 exec_lo, exec_lo, s2
                                        ; implicit-def: $vgpr97
	s_and_saveexec_b32 s2, s43
	s_cbranch_execnz .LBB171_323
.LBB171_190:
	s_or_b32 exec_lo, exec_lo, s2
                                        ; implicit-def: $vgpr96
	s_and_saveexec_b32 s2, s44
	s_cbranch_execnz .LBB171_324
.LBB171_191:
	s_or_b32 exec_lo, exec_lo, s2
                                        ; implicit-def: $vgpr50
	s_and_saveexec_b32 s2, s45
	s_cbranch_execnz .LBB171_325
.LBB171_192:
	s_or_b32 exec_lo, exec_lo, s2
                                        ; implicit-def: $vgpr49
	s_and_saveexec_b32 s2, s46
	s_cbranch_execz .LBB171_194
.LBB171_193:
	ds_load_u8 v49, v1 offset:7424
	s_waitcnt lgkmcnt(0)
	v_lshrrev_b32_e32 v49, s60, v49
	s_delay_alu instid0(VALU_DEP_1)
	v_and_b32_e32 v49, s68, v49
.LBB171_194:
	s_or_b32 exec_lo, exec_lo, s2
	v_lshlrev_b32_e32 v75, 3, v75
	v_lshlrev_b32_e32 v74, 3, v74
	s_waitcnt vmcnt(0)
	s_waitcnt_vscnt null, 0x0
	s_barrier
	buffer_gl0_inv
	ds_store_b64 v75, v[5:6] offset:2048
	ds_store_b64 v74, v[7:8] offset:2048
	v_lshlrev_b32_e32 v5, 3, v73
	v_lshlrev_b32_e32 v6, 3, v72
	v_lshlrev_b32_e32 v7, 3, v71
	v_lshlrev_b32_e32 v8, 3, v70
	v_lshlrev_b32_e32 v69, 3, v69
	ds_store_b64 v5, v[9:10] offset:2048
	ds_store_b64 v6, v[11:12] offset:2048
	ds_store_b64 v7, v[13:14] offset:2048
	ds_store_b64 v8, v[15:16] offset:2048
	ds_store_b64 v69, v[17:18] offset:2048
	v_lshlrev_b32_e32 v5, 3, v68
	v_lshlrev_b32_e32 v6, 3, v67
	v_lshlrev_b32_e32 v7, 3, v66
	v_lshlrev_b32_e32 v8, 3, v65
	v_lshlrev_b32_e32 v9, 3, v64
	ds_store_b64 v5, v[19:20] offset:2048
	ds_store_b64 v6, v[21:22] offset:2048
	ds_store_b64 v7, v[23:24] offset:2048
	;; [unrolled: 10-line block ×4, first 2 shown]
	ds_store_b64 v8, v[45:46] offset:2048
	ds_store_b64 v9, v[47:48] offset:2048
	s_waitcnt lgkmcnt(0)
	s_barrier
	buffer_gl0_inv
	s_and_saveexec_b32 s2, s24
	s_cbranch_execnz .LBB171_326
; %bb.195:
	s_or_b32 exec_lo, exec_lo, s2
	s_and_saveexec_b32 s2, s25
	s_cbranch_execnz .LBB171_327
.LBB171_196:
	s_or_b32 exec_lo, exec_lo, s2
	s_and_saveexec_b32 s2, s26
	s_cbranch_execnz .LBB171_328
.LBB171_197:
	s_or_b32 exec_lo, exec_lo, s2
	s_and_saveexec_b32 s2, s27
	s_cbranch_execnz .LBB171_329
.LBB171_198:
	s_or_b32 exec_lo, exec_lo, s2
	s_and_saveexec_b32 s2, s28
	s_cbranch_execnz .LBB171_330
.LBB171_199:
	s_or_b32 exec_lo, exec_lo, s2
	s_and_saveexec_b32 s2, s29
	s_cbranch_execnz .LBB171_331
.LBB171_200:
	s_or_b32 exec_lo, exec_lo, s2
	s_and_saveexec_b32 s2, s30
	s_cbranch_execnz .LBB171_332
.LBB171_201:
	s_or_b32 exec_lo, exec_lo, s2
	s_and_saveexec_b32 s2, s31
	s_cbranch_execnz .LBB171_333
.LBB171_202:
	s_or_b32 exec_lo, exec_lo, s2
	s_and_saveexec_b32 s2, s33
	s_cbranch_execnz .LBB171_334
.LBB171_203:
	s_or_b32 exec_lo, exec_lo, s2
	s_and_saveexec_b32 s2, s34
	s_cbranch_execnz .LBB171_335
.LBB171_204:
	s_or_b32 exec_lo, exec_lo, s2
	s_and_saveexec_b32 s2, s35
	s_cbranch_execnz .LBB171_336
.LBB171_205:
	s_or_b32 exec_lo, exec_lo, s2
	s_and_saveexec_b32 s2, s36
	s_cbranch_execnz .LBB171_337
.LBB171_206:
	s_or_b32 exec_lo, exec_lo, s2
	s_and_saveexec_b32 s2, s37
	s_cbranch_execnz .LBB171_338
.LBB171_207:
	s_or_b32 exec_lo, exec_lo, s2
	s_and_saveexec_b32 s2, s38
	s_cbranch_execnz .LBB171_339
.LBB171_208:
	s_or_b32 exec_lo, exec_lo, s2
	s_and_saveexec_b32 s2, s39
	s_cbranch_execnz .LBB171_340
.LBB171_209:
	s_or_b32 exec_lo, exec_lo, s2
	s_and_saveexec_b32 s2, s40
	s_cbranch_execnz .LBB171_341
.LBB171_210:
	s_or_b32 exec_lo, exec_lo, s2
	s_and_saveexec_b32 s2, s41
	s_cbranch_execnz .LBB171_342
.LBB171_211:
	s_or_b32 exec_lo, exec_lo, s2
	s_and_saveexec_b32 s2, s42
	s_cbranch_execnz .LBB171_343
.LBB171_212:
	s_or_b32 exec_lo, exec_lo, s2
	s_and_saveexec_b32 s2, s43
	s_cbranch_execnz .LBB171_344
.LBB171_213:
	s_or_b32 exec_lo, exec_lo, s2
	s_and_saveexec_b32 s2, s44
	s_cbranch_execnz .LBB171_345
.LBB171_214:
	s_or_b32 exec_lo, exec_lo, s2
	s_and_saveexec_b32 s2, s45
	s_cbranch_execnz .LBB171_346
.LBB171_215:
	s_or_b32 exec_lo, exec_lo, s2
	s_and_saveexec_b32 s2, s46
	s_cbranch_execz .LBB171_217
.LBB171_216:
	v_lshlrev_b32_e32 v5, 3, v49
	v_lshlrev_b32_e32 v7, 3, v1
	;; [unrolled: 1-line block ×3, first 2 shown]
	ds_load_b64 v[5:6], v5
	ds_load_b64 v[7:8], v7 offset:45056
	s_waitcnt lgkmcnt(1)
	v_lshlrev_b64 v[5:6], 3, v[5:6]
	s_delay_alu instid0(VALU_DEP_1) | instskip(NEXT) | instid1(VALU_DEP_2)
	v_add_co_u32 v5, vcc_lo, s54, v5
	v_add_co_ci_u32_e32 v6, vcc_lo, s55, v6, vcc_lo
	s_delay_alu instid0(VALU_DEP_2) | instskip(NEXT) | instid1(VALU_DEP_2)
	v_add_co_u32 v5, vcc_lo, v5, v9
	v_add_co_ci_u32_e32 v6, vcc_lo, 0, v6, vcc_lo
	s_waitcnt lgkmcnt(0)
	global_store_b64 v[5:6], v[7:8], off
.LBB171_217:
	s_or_b32 exec_lo, exec_lo, s2
	s_add_i32 s62, s62, -1
	s_delay_alu instid0(SALU_CYCLE_1)
	s_cmp_eq_u32 s15, s62
	s_cselect_b32 s2, -1, 0
	s_branch .LBB171_280
.LBB171_218:
	s_mov_b32 s2, 0
                                        ; implicit-def: $vgpr53
                                        ; implicit-def: $vgpr3_vgpr4
                                        ; implicit-def: $vgpr52
	s_cbranch_execz .LBB171_280
; %bb.219:
	v_and_b32_e32 v14, 0xe0, v1
	s_add_u32 s2, s48, s64
	s_addc_u32 s3, s49, 0
	v_add_co_u32 v2, s2, s2, v51
	s_delay_alu instid0(VALU_DEP_2) | instskip(SKIP_3) | instid1(VALU_DEP_4)
	v_mul_u32_u24_e32 v10, 22, v14
	v_add_co_ci_u32_e64 v3, null, s3, 0, s2
	v_mov_b32_e32 v18, 0
	v_bfe_u32 v15, v0, 10, 10
	v_add_co_u32 v2, vcc_lo, v2, v10
	s_delay_alu instid0(VALU_DEP_4)
	v_add_co_ci_u32_e32 v3, vcc_lo, 0, v3, vcc_lo
	v_bfe_u32 v0, v0, 20, 10
	s_mov_b32 s65, 0
	global_load_u8 v4, v[2:3], off
	s_clause 0x1
	s_load_b32 s2, s[0:1], 0x50
	s_load_b32 s3, s[0:1], 0x5c
	s_clause 0x6
	global_load_u8 v12, v[2:3], off offset:32
	global_load_u8 v17, v[2:3], off offset:64
	global_load_u8 v21, v[2:3], off offset:96
	global_load_u8 v25, v[2:3], off offset:128
	global_load_u8 v29, v[2:3], off offset:160
	global_load_u8 v33, v[2:3], off offset:192
	global_load_u8 v37, v[2:3], off offset:224
	s_waitcnt vmcnt(7)
	v_and_b32_e32 v4, 1, v4
	s_delay_alu instid0(VALU_DEP_1)
	v_cmp_eq_u32_e32 vcc_lo, 1, v4
	s_xor_b32 s4, vcc_lo, -1
	s_add_u32 s0, s0, 0x50
	s_addc_u32 s1, s1, 0
	s_waitcnt lgkmcnt(0)
	s_lshr_b32 s3, s3, 16
	s_cmp_lt_u32 s15, s2
	v_cndmask_b32_e64 v11, 0, 1, s4
	s_cselect_b32 s5, 12, 18
	v_mad_u32_u24 v0, v0, s3, v15
	s_add_u32 s0, s0, s5
	s_addc_u32 s1, s1, 0
	global_load_u16 v19, v18, s[0:1]
	s_clause 0xd
	global_load_u8 v41, v[2:3], off offset:256
	global_load_u8 v45, v[2:3], off offset:288
	;; [unrolled: 1-line block ×14, first 2 shown]
	v_lshrrev_b32_e32 v3, s60, v11
	s_lshl_b32 s0, -1, s61
	s_delay_alu instid0(SALU_CYCLE_1)
	s_not_b32 s1, s0
	s_delay_alu instid0(VALU_DEP_1) | instid1(SALU_CYCLE_1)
	v_and_b32_e32 v20, s1, v3
	s_delay_alu instid0(VALU_DEP_1) | instskip(NEXT) | instid1(VALU_DEP_1)
	v_add_co_u32 v3, s0, v20, -1
	v_cndmask_b32_e64 v13, 0, 1, s0
	s_delay_alu instid0(VALU_DEP_1) | instskip(SKIP_1) | instid1(VALU_DEP_4)
	v_cmp_ne_u32_e32 vcc_lo, 0, v13
	v_mul_u32_u24_e32 v13, 9, v1
	v_xor_b32_e32 v3, vcc_lo, v3
	s_delay_alu instid0(VALU_DEP_2)
	v_lshlrev_b32_e32 v13, 2, v13
	ds_store_2addr_b32 v13, v18, v18 offset0:8 offset1:9
	ds_store_2addr_b32 v13, v18, v18 offset0:10 offset1:11
	;; [unrolled: 1-line block ×4, first 2 shown]
	ds_store_b32 v13, v18 offset:64
	s_waitcnt vmcnt(0) lgkmcnt(0)
	s_waitcnt_vscnt null, 0x0
	s_barrier
	buffer_gl0_inv
	; wave barrier
	v_mad_u64_u32 v[15:16], null, v0, v19, v[1:2]
	v_and_b32_e32 v16, exec_lo, v3
	s_delay_alu instid0(VALU_DEP_1) | instskip(NEXT) | instid1(VALU_DEP_3)
	v_mbcnt_lo_u32_b32 v0, v16, 0
	v_lshrrev_b32_e32 v3, 5, v15
	v_mul_u32_u24_e32 v15, 9, v20
	v_cmp_ne_u32_e64 s0, 0, v16
	s_delay_alu instid0(VALU_DEP_4) | instskip(NEXT) | instid1(VALU_DEP_3)
	v_cmp_eq_u32_e32 vcc_lo, 0, v0
	v_add_lshl_u32 v15, v3, v15, 2
	s_delay_alu instid0(VALU_DEP_3) | instskip(NEXT) | instid1(SALU_CYCLE_1)
	s_and_b32 s3, s0, vcc_lo
	s_and_saveexec_b32 s0, s3
	s_cbranch_execz .LBB171_221
; %bb.220:
	v_bcnt_u32_b32 v16, v16, 0
	ds_store_b32 v15, v16 offset:32
.LBB171_221:
	s_or_b32 exec_lo, exec_lo, s0
	v_and_b32_e32 v12, 1, v12
	; wave barrier
	s_delay_alu instid0(VALU_DEP_1) | instskip(SKIP_1) | instid1(SALU_CYCLE_1)
	v_cmp_eq_u32_e32 vcc_lo, 1, v12
	s_xor_b32 s0, vcc_lo, -1
	v_cndmask_b32_e64 v12, 0, 1, s0
	s_delay_alu instid0(VALU_DEP_1) | instskip(NEXT) | instid1(VALU_DEP_1)
	v_lshrrev_b32_e32 v16, s60, v12
	v_and_b32_e32 v16, s1, v16
	s_delay_alu instid0(VALU_DEP_1) | instskip(NEXT) | instid1(VALU_DEP_1)
	v_add_co_u32 v18, s0, v16, -1
	v_cndmask_b32_e64 v19, 0, 1, s0
	v_mul_u32_u24_e32 v16, 9, v16
	s_delay_alu instid0(VALU_DEP_2) | instskip(NEXT) | instid1(VALU_DEP_2)
	v_cmp_ne_u32_e32 vcc_lo, 0, v19
	v_add_lshl_u32 v19, v3, v16, 2
	v_xor_b32_e32 v18, vcc_lo, v18
	ds_load_b32 v16, v19 offset:32
	; wave barrier
	v_and_b32_e32 v20, exec_lo, v18
	s_delay_alu instid0(VALU_DEP_1) | instskip(SKIP_1) | instid1(VALU_DEP_2)
	v_mbcnt_lo_u32_b32 v18, v20, 0
	v_cmp_ne_u32_e64 s0, 0, v20
	v_cmp_eq_u32_e32 vcc_lo, 0, v18
	s_delay_alu instid0(VALU_DEP_2) | instskip(NEXT) | instid1(SALU_CYCLE_1)
	s_and_b32 s3, s0, vcc_lo
	s_and_saveexec_b32 s0, s3
	s_cbranch_execz .LBB171_223
; %bb.222:
	s_waitcnt lgkmcnt(0)
	v_bcnt_u32_b32 v20, v20, v16
	ds_store_b32 v19, v20 offset:32
.LBB171_223:
	s_or_b32 exec_lo, exec_lo, s0
	v_and_b32_e32 v17, 1, v17
	; wave barrier
	s_delay_alu instid0(VALU_DEP_1) | instskip(SKIP_1) | instid1(SALU_CYCLE_1)
	v_cmp_eq_u32_e32 vcc_lo, 1, v17
	s_xor_b32 s0, vcc_lo, -1
	v_cndmask_b32_e64 v17, 0, 1, s0
	s_delay_alu instid0(VALU_DEP_1) | instskip(NEXT) | instid1(VALU_DEP_1)
	v_lshrrev_b32_e32 v20, s60, v17
	v_and_b32_e32 v20, s1, v20
	s_delay_alu instid0(VALU_DEP_1) | instskip(NEXT) | instid1(VALU_DEP_1)
	v_add_co_u32 v22, s0, v20, -1
	v_cndmask_b32_e64 v23, 0, 1, s0
	v_mul_u32_u24_e32 v20, 9, v20
	s_delay_alu instid0(VALU_DEP_2) | instskip(NEXT) | instid1(VALU_DEP_2)
	v_cmp_ne_u32_e32 vcc_lo, 0, v23
	v_add_lshl_u32 v23, v3, v20, 2
	v_xor_b32_e32 v22, vcc_lo, v22
	ds_load_b32 v20, v23 offset:32
	; wave barrier
	v_and_b32_e32 v24, exec_lo, v22
	s_delay_alu instid0(VALU_DEP_1) | instskip(SKIP_1) | instid1(VALU_DEP_2)
	v_mbcnt_lo_u32_b32 v22, v24, 0
	v_cmp_ne_u32_e64 s0, 0, v24
	v_cmp_eq_u32_e32 vcc_lo, 0, v22
	s_delay_alu instid0(VALU_DEP_2) | instskip(NEXT) | instid1(SALU_CYCLE_1)
	s_and_b32 s3, s0, vcc_lo
	s_and_saveexec_b32 s0, s3
	s_cbranch_execz .LBB171_225
; %bb.224:
	s_waitcnt lgkmcnt(0)
	v_bcnt_u32_b32 v24, v24, v20
	ds_store_b32 v23, v24 offset:32
.LBB171_225:
	;; [unrolled: 34-line block ×20, first 2 shown]
	s_or_b32 exec_lo, exec_lo, s0
	v_and_b32_e32 v2, 1, v2
	; wave barrier
	v_add_nc_u32_e32 v100, 32, v13
	s_delay_alu instid0(VALU_DEP_2) | instskip(SKIP_1) | instid1(SALU_CYCLE_1)
	v_cmp_eq_u32_e32 vcc_lo, 1, v2
	s_xor_b32 s0, vcc_lo, -1
	v_cndmask_b32_e64 v92, 0, 1, s0
	s_delay_alu instid0(VALU_DEP_1) | instskip(NEXT) | instid1(VALU_DEP_1)
	v_lshrrev_b32_e32 v2, s60, v92
	v_and_b32_e32 v2, s1, v2
	s_delay_alu instid0(VALU_DEP_1) | instskip(NEXT) | instid1(VALU_DEP_1)
	v_add_co_u32 v4, s0, v2, -1
	v_cndmask_b32_e64 v5, 0, 1, s0
	v_mul_u32_u24_e32 v2, 9, v2
	s_delay_alu instid0(VALU_DEP_2) | instskip(NEXT) | instid1(VALU_DEP_2)
	v_cmp_ne_u32_e32 vcc_lo, 0, v5
	v_add_lshl_u32 v99, v3, v2, 2
	v_xor_b32_e32 v2, vcc_lo, v4
	ds_load_b32 v97, v99 offset:32
	; wave barrier
	v_and_b32_e32 v2, exec_lo, v2
	s_delay_alu instid0(VALU_DEP_1) | instskip(SKIP_1) | instid1(VALU_DEP_2)
	v_mbcnt_lo_u32_b32 v98, v2, 0
	v_cmp_ne_u32_e64 s0, 0, v2
	v_cmp_eq_u32_e32 vcc_lo, 0, v98
	s_delay_alu instid0(VALU_DEP_2) | instskip(NEXT) | instid1(SALU_CYCLE_1)
	s_and_b32 s3, s0, vcc_lo
	s_and_saveexec_b32 s0, s3
	s_cbranch_execz .LBB171_263
; %bb.262:
	s_waitcnt lgkmcnt(0)
	v_bcnt_u32_b32 v2, v2, v97
	ds_store_b32 v99, v2 offset:32
.LBB171_263:
	s_or_b32 exec_lo, exec_lo, s0
	; wave barrier
	s_waitcnt lgkmcnt(0)
	s_barrier
	buffer_gl0_inv
	ds_load_2addr_b32 v[8:9], v13 offset0:8 offset1:9
	ds_load_2addr_b32 v[6:7], v100 offset0:2 offset1:3
	;; [unrolled: 1-line block ×4, first 2 shown]
	ds_load_b32 v101, v100 offset:32
	v_min_u32_e32 v14, 0xe0, v14
	s_mov_b32 s0, exec_lo
	s_delay_alu instid0(VALU_DEP_1) | instskip(SKIP_3) | instid1(VALU_DEP_1)
	v_or_b32_e32 v104, 31, v14
	s_waitcnt lgkmcnt(3)
	v_add3_u32 v102, v9, v8, v6
	s_waitcnt lgkmcnt(2)
	v_add3_u32 v102, v102, v7, v4
	s_waitcnt lgkmcnt(1)
	s_delay_alu instid0(VALU_DEP_1) | instskip(SKIP_1) | instid1(VALU_DEP_1)
	v_add3_u32 v102, v102, v5, v2
	s_waitcnt lgkmcnt(0)
	v_add3_u32 v101, v102, v3, v101
	v_and_b32_e32 v102, 15, v51
	s_delay_alu instid0(VALU_DEP_2) | instskip(NEXT) | instid1(VALU_DEP_2)
	v_mov_b32_dpp v103, v101 row_shr:1 row_mask:0xf bank_mask:0xf
	v_cmp_ne_u32_e32 vcc_lo, 0, v102
	s_delay_alu instid0(VALU_DEP_2) | instskip(SKIP_1) | instid1(VALU_DEP_2)
	v_cndmask_b32_e32 v103, 0, v103, vcc_lo
	v_cmp_lt_u32_e32 vcc_lo, 1, v102
	v_add_nc_u32_e32 v101, v103, v101
	s_delay_alu instid0(VALU_DEP_1) | instskip(NEXT) | instid1(VALU_DEP_1)
	v_mov_b32_dpp v103, v101 row_shr:2 row_mask:0xf bank_mask:0xf
	v_cndmask_b32_e32 v103, 0, v103, vcc_lo
	v_cmp_lt_u32_e32 vcc_lo, 3, v102
	s_delay_alu instid0(VALU_DEP_2) | instskip(NEXT) | instid1(VALU_DEP_1)
	v_add_nc_u32_e32 v101, v101, v103
	v_mov_b32_dpp v103, v101 row_shr:4 row_mask:0xf bank_mask:0xf
	s_delay_alu instid0(VALU_DEP_1) | instskip(SKIP_1) | instid1(VALU_DEP_2)
	v_cndmask_b32_e32 v103, 0, v103, vcc_lo
	v_cmp_lt_u32_e32 vcc_lo, 7, v102
	v_add_nc_u32_e32 v101, v101, v103
	s_delay_alu instid0(VALU_DEP_1) | instskip(NEXT) | instid1(VALU_DEP_1)
	v_mov_b32_dpp v103, v101 row_shr:8 row_mask:0xf bank_mask:0xf
	v_cndmask_b32_e32 v102, 0, v103, vcc_lo
	v_bfe_i32 v103, v51, 4, 1
	s_delay_alu instid0(VALU_DEP_2) | instskip(SKIP_4) | instid1(VALU_DEP_2)
	v_add_nc_u32_e32 v102, v101, v102
	ds_swizzle_b32 v101, v102 offset:swizzle(BROADCAST,32,15)
	s_waitcnt lgkmcnt(0)
	v_and_b32_e32 v103, v103, v101
	v_lshrrev_b32_e32 v101, 5, v1
	v_add_nc_u32_e32 v14, v102, v103
	v_cmpx_eq_u32_e64 v104, v1
	s_cbranch_execz .LBB171_265
; %bb.264:
	s_delay_alu instid0(VALU_DEP_3)
	v_lshlrev_b32_e32 v102, 2, v101
	ds_store_b32 v102, v14
.LBB171_265:
	s_or_b32 exec_lo, exec_lo, s0
	s_delay_alu instid0(SALU_CYCLE_1)
	s_mov_b32 s0, exec_lo
	s_waitcnt lgkmcnt(0)
	s_barrier
	buffer_gl0_inv
	v_cmpx_gt_u32_e32 8, v1
	s_cbranch_execz .LBB171_267
; %bb.266:
	v_lshlrev_b32_e32 v102, 2, v1
	ds_load_b32 v103, v102
	s_waitcnt lgkmcnt(0)
	v_mov_b32_dpp v105, v103 row_shr:1 row_mask:0xf bank_mask:0xf
	v_and_b32_e32 v104, 7, v51
	s_delay_alu instid0(VALU_DEP_1) | instskip(NEXT) | instid1(VALU_DEP_3)
	v_cmp_ne_u32_e32 vcc_lo, 0, v104
	v_cndmask_b32_e32 v105, 0, v105, vcc_lo
	v_cmp_lt_u32_e32 vcc_lo, 1, v104
	s_delay_alu instid0(VALU_DEP_2) | instskip(NEXT) | instid1(VALU_DEP_1)
	v_add_nc_u32_e32 v103, v105, v103
	v_mov_b32_dpp v105, v103 row_shr:2 row_mask:0xf bank_mask:0xf
	s_delay_alu instid0(VALU_DEP_1) | instskip(SKIP_1) | instid1(VALU_DEP_2)
	v_cndmask_b32_e32 v105, 0, v105, vcc_lo
	v_cmp_lt_u32_e32 vcc_lo, 3, v104
	v_add_nc_u32_e32 v103, v103, v105
	s_delay_alu instid0(VALU_DEP_1) | instskip(NEXT) | instid1(VALU_DEP_1)
	v_mov_b32_dpp v105, v103 row_shr:4 row_mask:0xf bank_mask:0xf
	v_cndmask_b32_e32 v104, 0, v105, vcc_lo
	s_delay_alu instid0(VALU_DEP_1)
	v_add_nc_u32_e32 v103, v103, v104
	ds_store_b32 v102, v103
.LBB171_267:
	s_or_b32 exec_lo, exec_lo, s0
	v_mov_b32_e32 v102, 0
	s_mov_b32 s0, exec_lo
	s_waitcnt lgkmcnt(0)
	s_barrier
	buffer_gl0_inv
	v_cmpx_lt_u32_e32 31, v1
	s_cbranch_execz .LBB171_269
; %bb.268:
	v_lshl_add_u32 v101, v101, 2, -4
	ds_load_b32 v102, v101
.LBB171_269:
	s_or_b32 exec_lo, exec_lo, s0
	v_add_nc_u32_e32 v101, -1, v51
	s_mov_b32 s0, 0
	s_mov_b32 s3, exec_lo
	s_waitcnt lgkmcnt(0)
	v_add_nc_u32_e32 v14, v102, v14
	v_cmp_gt_i32_e32 vcc_lo, 0, v101
	v_cndmask_b32_e32 v101, v101, v51, vcc_lo
	v_cmp_eq_u32_e32 vcc_lo, 0, v51
	s_delay_alu instid0(VALU_DEP_2) | instskip(SKIP_4) | instid1(VALU_DEP_2)
	v_lshlrev_b32_e32 v101, 2, v101
	ds_bpermute_b32 v14, v101, v14
	s_waitcnt lgkmcnt(0)
	v_cndmask_b32_e32 v14, v14, v102, vcc_lo
	v_cmp_ne_u32_e32 vcc_lo, 0, v1
	v_cndmask_b32_e32 v14, 0, v14, vcc_lo
	s_delay_alu instid0(VALU_DEP_1) | instskip(NEXT) | instid1(VALU_DEP_1)
	v_add_nc_u32_e32 v8, v14, v8
	v_add_nc_u32_e32 v9, v8, v9
	s_delay_alu instid0(VALU_DEP_1) | instskip(NEXT) | instid1(VALU_DEP_1)
	v_add_nc_u32_e32 v6, v9, v6
	v_add_nc_u32_e32 v7, v6, v7
	;; [unrolled: 3-line block ×4, first 2 shown]
	ds_store_2addr_b32 v13, v14, v8 offset0:8 offset1:9
	ds_store_2addr_b32 v100, v9, v6 offset0:2 offset1:3
	;; [unrolled: 1-line block ×4, first 2 shown]
	ds_store_b32 v100, v3 offset:32
	v_mov_b32_e32 v2, 0x1600
	s_waitcnt lgkmcnt(0)
	s_barrier
	buffer_gl0_inv
	ds_load_b32 v4, v19 offset:32
	ds_load_b32 v5, v23 offset:32
	ds_load_b32 v6, v27 offset:32
	ds_load_b32 v7, v31 offset:32
	ds_load_b32 v8, v35 offset:32
	ds_load_b32 v9, v39 offset:32
	ds_load_b32 v14, v43 offset:32
	ds_load_b32 v19, v47 offset:32
	ds_load_b32 v23, v52 offset:32
	ds_load_b32 v27, v56 offset:32
	ds_load_b32 v52, v61 offset:32
	ds_load_b32 v100, v65 offset:32
	ds_load_b32 v69, v69 offset:32
	ds_load_b32 v73, v73 offset:32
	ds_load_b32 v77, v77 offset:32
	ds_load_b32 v81, v81 offset:32
	ds_load_b32 v85, v85 offset:32
	ds_load_b32 v89, v89 offset:32
	ds_load_b32 v93, v93 offset:32
	ds_load_b32 v96, v96 offset:32
	ds_load_b32 v99, v99 offset:32
	ds_load_b32 v15, v15 offset:32
	ds_load_b32 v3, v13 offset:32
	v_add_nc_u32_e32 v13, 1, v1
	s_delay_alu instid0(VALU_DEP_1)
	v_cmpx_ne_u32_e32 0x100, v13
	s_cbranch_execz .LBB171_271
; %bb.270:
	v_mul_u32_u24_e32 v2, 9, v13
	s_delay_alu instid0(VALU_DEP_1)
	v_lshlrev_b32_e32 v2, 2, v2
	ds_load_b32 v2, v2 offset:32
.LBB171_271:
	s_or_b32 exec_lo, exec_lo, s3
	s_waitcnt lgkmcnt(22)
	v_add3_u32 v61, v18, v16, v4
	s_waitcnt lgkmcnt(21)
	v_add3_u32 v56, v22, v20, v5
	v_lshl_add_u32 v4, s15, 8, v1
	v_mov_b32_e32 v5, 0
	s_waitcnt lgkmcnt(20)
	v_add3_u32 v47, v26, v24, v6
	s_waitcnt lgkmcnt(19)
	v_add3_u32 v43, v30, v28, v7
	;; [unrolled: 2-line block ×3, first 2 shown]
	s_waitcnt lgkmcnt(0)
	v_sub_nc_u32_e32 v52, v2, v3
	v_lshlrev_b64 v[6:7], 2, v[4:5]
	v_dual_mov_b32 v0, 0 :: v_dual_add_nc_u32 v65, v15, v0
	v_add3_u32 v39, v34, v32, v8
	v_add3_u32 v35, v38, v36, v9
	;; [unrolled: 1-line block ×3, first 2 shown]
	v_add_co_u32 v6, vcc_lo, s66, v6
	v_add3_u32 v32, v46, v44, v19
	v_add3_u32 v31, v50, v48, v23
	;; [unrolled: 1-line block ×13, first 2 shown]
	v_add_co_ci_u32_e32 v7, vcc_lo, s67, v7, vcc_lo
	v_or_b32_e32 v2, 2.0, v52
	s_barrier
	buffer_gl0_inv
	ds_store_b8 v65, v11 offset:2048
	ds_store_b8 v61, v12 offset:2048
	ds_store_b8 v56, v17 offset:2048
	ds_store_b8 v47, v21 offset:2048
	ds_store_b8 v43, v25 offset:2048
	ds_store_b8 v39, v29 offset:2048
	ds_store_b8 v35, v33 offset:2048
	ds_store_b8 v34, v37 offset:2048
	ds_store_b8 v32, v41 offset:2048
	ds_store_b8 v31, v45 offset:2048
	ds_store_b8 v30, v49 offset:2048
	ds_store_b8 v28, v54 offset:2048
	ds_store_b8 v27, v59 offset:2048
	ds_store_b8 v26, v62 offset:2048
	ds_store_b8 v24, v57 offset:2048
	ds_store_b8 v23, v68 offset:2048
	ds_store_b8 v22, v72 offset:2048
	ds_store_b8 v20, v76 offset:2048
	ds_store_b8 v19, v80 offset:2048
	ds_store_b8 v18, v84 offset:2048
	ds_store_b8 v16, v88 offset:2048
	ds_store_b8 v15, v92 offset:2048
	s_waitcnt lgkmcnt(0)
	s_barrier
	buffer_gl0_inv
	global_store_b32 v[6:7], v2, off
                                        ; implicit-def: $sgpr3
	s_branch .LBB171_274
	.p2align	6
.LBB171_272:                            ;   in Loop: Header=BB171_274 Depth=1
	s_or_b32 exec_lo, exec_lo, s4
.LBB171_273:                            ;   in Loop: Header=BB171_274 Depth=1
	s_delay_alu instid0(SALU_CYCLE_1) | instskip(SKIP_2) | instid1(VALU_DEP_2)
	s_or_b32 exec_lo, exec_lo, s3
	v_and_b32_e32 v4, 0x3fffffff, v4
	v_cmp_eq_u32_e64 s3, 0x80000000, v2
	v_add_nc_u32_e32 v0, v4, v0
	s_delay_alu instid0(VALU_DEP_2) | instskip(NEXT) | instid1(SALU_CYCLE_1)
	s_and_b32 s4, exec_lo, s3
	s_or_b32 s0, s4, s0
	s_delay_alu instid0(SALU_CYCLE_1)
	s_and_not1_b32 exec_lo, exec_lo, s0
	s_cbranch_execz .LBB171_279
.LBB171_274:                            ; =>This Loop Header: Depth=1
                                        ;     Child Loop BB171_277 Depth 2
	s_or_b32 s3, s3, exec_lo
	s_cmp_eq_u32 s63, 0
	s_cbranch_scc1 .LBB171_278
; %bb.275:                              ;   in Loop: Header=BB171_274 Depth=1
	s_add_i32 s63, s63, -1
	s_mov_b32 s3, exec_lo
	v_lshl_add_u32 v4, s63, 8, v1
	s_delay_alu instid0(VALU_DEP_1) | instskip(NEXT) | instid1(VALU_DEP_1)
	v_lshlrev_b64 v[8:9], 2, v[4:5]
	v_add_co_u32 v8, vcc_lo, s66, v8
	s_delay_alu instid0(VALU_DEP_2) | instskip(SKIP_3) | instid1(VALU_DEP_1)
	v_add_co_ci_u32_e32 v9, vcc_lo, s67, v9, vcc_lo
	global_load_b32 v4, v[8:9], off glc
	s_waitcnt vmcnt(0)
	v_and_b32_e32 v2, -2.0, v4
	v_cmpx_eq_u32_e32 0, v2
	s_cbranch_execz .LBB171_273
; %bb.276:                              ;   in Loop: Header=BB171_274 Depth=1
	s_mov_b32 s4, 0
.LBB171_277:                            ;   Parent Loop BB171_274 Depth=1
                                        ; =>  This Inner Loop Header: Depth=2
	global_load_b32 v4, v[8:9], off glc
	s_waitcnt vmcnt(0)
	v_and_b32_e32 v2, -2.0, v4
	s_delay_alu instid0(VALU_DEP_1) | instskip(SKIP_1) | instid1(SALU_CYCLE_1)
	v_cmp_ne_u32_e32 vcc_lo, 0, v2
	s_or_b32 s4, vcc_lo, s4
	s_and_not1_b32 exec_lo, exec_lo, s4
	s_cbranch_execnz .LBB171_277
	s_branch .LBB171_272
.LBB171_278:                            ;   in Loop: Header=BB171_274 Depth=1
                                        ; implicit-def: $sgpr63
	s_and_b32 s4, exec_lo, s3
	s_delay_alu instid0(SALU_CYCLE_1) | instskip(NEXT) | instid1(SALU_CYCLE_1)
	s_or_b32 s0, s4, s0
	s_and_not1_b32 exec_lo, exec_lo, s0
	s_cbranch_execnz .LBB171_274
.LBB171_279:
	s_or_b32 exec_lo, exec_lo, s0
	v_add_nc_u32_e32 v2, v0, v52
	v_lshlrev_b32_e32 v53, 3, v1
	v_lshlrev_b32_e32 v17, 3, v51
	v_sub_co_u32 v13, s0, v0, v3
	s_delay_alu instid0(VALU_DEP_4)
	v_or_b32_e32 v2, 0x80000000, v2
	s_lshl_b64 s[4:5], s[64:65], 3
	v_sub_co_ci_u32_e64 v14, null, 0, 0, s0
	s_add_u32 s0, s52, s4
	global_store_b32 v[6:7], v2, off
	v_mov_b32_e32 v2, 0
	global_load_b64 v[5:6], v53, s[56:57]
	v_lshlrev_b32_e32 v48, 3, v10
	v_lshlrev_b32_e32 v33, 3, v47
	s_addc_u32 s3, s53, s5
	v_add_co_u32 v47, s0, s0, v17
	s_delay_alu instid0(VALU_DEP_1) | instskip(SKIP_1) | instid1(VALU_DEP_3)
	v_add_co_ci_u32_e64 v49, null, s3, 0, s0
	v_lshlrev_b32_e32 v21, 3, v65
	v_add_co_u32 v47, vcc_lo, v47, v48
	s_delay_alu instid0(VALU_DEP_3)
	v_add_co_ci_u32_e32 v48, vcc_lo, 0, v49, vcc_lo
	v_lshlrev_b32_e32 v25, 3, v61
	v_lshlrev_b32_e32 v29, 3, v56
	v_or_b32_e32 v9, 0x1000, v1
	v_dual_mov_b32 v4, v2 :: v_dual_add_nc_u32 v11, 0x1100, v1
	v_add_nc_u32_e32 v12, 0x1200, v1
	v_add_nc_u32_e32 v0, 0x1300, v1
	v_or_b32_e32 v7, 0x1400, v1
	s_delay_alu instid0(VALU_DEP_4)
	v_lshlrev_b32_e32 v137, 3, v11
	v_add_nc_u32_e32 v8, 0x1500, v1
	v_lshlrev_b32_e32 v138, 3, v12
	v_lshlrev_b32_e32 v36, 3, v43
	;; [unrolled: 1-line block ×20, first 2 shown]
	v_add_nc_u32_e32 v10, 0x1000, v53
	v_add_nc_u32_e32 v15, 0x1800, v53
	v_or_b32_e32 v16, 0x2000, v53
	v_add_nc_u32_e32 v17, 0x2800, v53
	v_add_nc_u32_e32 v18, 0x3000, v53
	v_add_nc_u32_e32 v19, 0x3800, v53
	v_or_b32_e32 v20, 0x4000, v53
	v_add_nc_u32_e32 v22, 0x4800, v53
	;; [unrolled: 4-line block ×3, first 2 shown]
	v_add_nc_u32_e32 v134, 0x7000, v53
	v_add_nc_u32_e32 v135, 0x7800, v53
	s_add_i32 s2, s2, -1
	s_delay_alu instid0(SALU_CYCLE_1)
	s_cmp_eq_u32 s15, s2
	s_cselect_b32 s2, -1, 0
	s_waitcnt vmcnt(0)
	v_add_co_u32 v5, vcc_lo, v13, v5
	v_add_co_ci_u32_e32 v6, vcc_lo, v14, v6, vcc_lo
	v_add_co_u32 v13, vcc_lo, 0x1000, v47
	v_add_co_ci_u32_e32 v14, vcc_lo, 0, v48, vcc_lo
	ds_store_b64 v53, v[5:6]
	s_waitcnt lgkmcnt(0)
	s_waitcnt_vscnt null, 0x0
	s_barrier
	buffer_gl0_inv
	ds_load_u8 v90, v1 offset:2048
	ds_load_u8 v91, v1 offset:2304
	;; [unrolled: 1-line block ×22, first 2 shown]
	s_clause 0x15
	global_load_b64 v[5:6], v[47:48], off
	global_load_b64 v[49:50], v[47:48], off offset:256
	global_load_b64 v[54:55], v[47:48], off offset:512
	;; [unrolled: 1-line block ×15, first 2 shown]
	global_load_b64 v[80:81], v[13:14], off
	global_load_b64 v[82:83], v[13:14], off offset:256
	global_load_b64 v[84:85], v[13:14], off offset:512
	;; [unrolled: 1-line block ×5, first 2 shown]
	s_waitcnt lgkmcnt(21)
	v_and_b32_e32 v112, 1, v90
	v_xor_b32_e32 v139, 1, v90
	s_waitcnt lgkmcnt(20)
	v_and_b32_e32 v90, 1, v91
	v_xor_b32_e32 v140, 1, v91
	;; [unrolled: 3-line block ×22, first 2 shown]
	v_lshrrev_b32_e32 v111, s60, v112
	v_lshrrev_b32_e32 v90, s60, v90
	;; [unrolled: 1-line block ×22, first 2 shown]
	v_and_b32_e32 v111, s1, v111
	v_and_b32_e32 v90, s1, v90
	;; [unrolled: 1-line block ×22, first 2 shown]
	v_lshlrev_b32_e32 v161, 3, v111
	v_lshlrev_b32_e32 v162, 3, v90
	;; [unrolled: 1-line block ×22, first 2 shown]
	ds_load_b64 v[90:91], v161
	ds_load_b64 v[92:93], v162
	;; [unrolled: 1-line block ×22, first 2 shown]
	s_waitcnt lgkmcnt(21)
	v_add_co_u32 v90, vcc_lo, s50, v90
	v_add_co_ci_u32_e32 v91, vcc_lo, s51, v91, vcc_lo
	s_waitcnt lgkmcnt(20)
	v_add_co_u32 v92, vcc_lo, s50, v92
	v_add_co_ci_u32_e32 v93, vcc_lo, s51, v93, vcc_lo
	;; [unrolled: 3-line block ×22, first 2 shown]
	v_add_co_u32 v90, vcc_lo, v90, v1
	v_add_co_ci_u32_e32 v91, vcc_lo, 0, v91, vcc_lo
	v_add_co_u32 v92, vcc_lo, v92, v1
	v_add_co_ci_u32_e32 v93, vcc_lo, 0, v93, vcc_lo
	v_add_co_u32 v94, vcc_lo, v94, v1
	v_add_co_ci_u32_e32 v95, vcc_lo, 0, v95, vcc_lo
	v_add_co_u32 v96, vcc_lo, v96, v1
	v_add_co_ci_u32_e32 v97, vcc_lo, 0, v97, vcc_lo
	v_add_co_u32 v98, vcc_lo, v98, v1
	v_add_co_ci_u32_e32 v99, vcc_lo, 0, v99, vcc_lo
	v_add_co_u32 v100, vcc_lo, v100, v1
	v_add_co_ci_u32_e32 v101, vcc_lo, 0, v101, vcc_lo
	v_add_co_u32 v102, vcc_lo, v102, v1
	v_add_co_ci_u32_e32 v103, vcc_lo, 0, v103, vcc_lo
	v_add_co_u32 v104, vcc_lo, v104, v1
	v_add_co_ci_u32_e32 v105, vcc_lo, 0, v105, vcc_lo
	v_add_co_u32 v106, vcc_lo, v106, v1
	v_add_co_ci_u32_e32 v107, vcc_lo, 0, v107, vcc_lo
	v_add_co_u32 v108, vcc_lo, v108, v1
	v_add_co_ci_u32_e32 v109, vcc_lo, 0, v109, vcc_lo
	v_add_co_u32 v110, vcc_lo, v110, v1
	v_add_co_ci_u32_e32 v111, vcc_lo, 0, v111, vcc_lo
	v_add_co_u32 v112, vcc_lo, v112, v1
	v_add_co_ci_u32_e32 v113, vcc_lo, 0, v113, vcc_lo
	v_add_co_u32 v114, vcc_lo, v114, v1
	v_add_co_ci_u32_e32 v115, vcc_lo, 0, v115, vcc_lo
	v_add_co_u32 v116, vcc_lo, v116, v1
	v_add_co_ci_u32_e32 v117, vcc_lo, 0, v117, vcc_lo
	v_add_co_u32 v118, vcc_lo, v118, v1
	v_add_co_ci_u32_e32 v119, vcc_lo, 0, v119, vcc_lo
	v_add_co_u32 v120, vcc_lo, v120, v1
	v_add_co_ci_u32_e32 v121, vcc_lo, 0, v121, vcc_lo
	v_add_co_u32 v122, vcc_lo, v122, v9
	v_add_co_ci_u32_e32 v123, vcc_lo, 0, v123, vcc_lo
	v_add_co_u32 v124, vcc_lo, v124, v11
	v_add_co_ci_u32_e32 v125, vcc_lo, 0, v125, vcc_lo
	v_add_co_u32 v11, vcc_lo, v126, v12
	v_add_co_ci_u32_e32 v12, vcc_lo, 0, v127, vcc_lo
	v_add_co_u32 v126, vcc_lo, v128, v0
	v_add_co_ci_u32_e32 v127, vcc_lo, 0, v129, vcc_lo
	v_add_co_u32 v128, vcc_lo, v130, v7
	v_add_co_ci_u32_e32 v129, vcc_lo, 0, v131, vcc_lo
	v_add_co_u32 v130, vcc_lo, v132, v8
	v_add_co_ci_u32_e32 v131, vcc_lo, 0, v133, vcc_lo
	s_clause 0x15
	global_store_b8 v[90:91], v139, off
	global_store_b8 v[92:93], v140, off offset:256
	global_store_b8 v[94:95], v141, off offset:512
	;; [unrolled: 1-line block ×15, first 2 shown]
	global_store_b8 v[122:123], v155, off
	global_store_b8 v[124:125], v156, off
	;; [unrolled: 1-line block ×6, first 2 shown]
	s_waitcnt vmcnt(0)
	s_waitcnt_vscnt null, 0x0
	s_barrier
	buffer_gl0_inv
	v_lshlrev_b32_e32 v0, 3, v0
	v_lshlrev_b32_e32 v7, 3, v7
	;; [unrolled: 1-line block ×3, first 2 shown]
	ds_store_b64 v21, v[5:6] offset:2048
	ds_store_b64 v25, v[49:50] offset:2048
	;; [unrolled: 1-line block ×22, first 2 shown]
	s_waitcnt lgkmcnt(0)
	s_barrier
	buffer_gl0_inv
	ds_load_2addr_stride64_b64 v[11:14], v53 offset0:4 offset1:8
	ds_load_2addr_stride64_b64 v[24:27], v53 offset0:12 offset1:16
	ds_load_b64 v[5:6], v161
	ds_load_b64 v[66:67], v162
	ds_load_b64 v[68:69], v163
	ds_load_b64 v[70:71], v164
	ds_load_2addr_stride64_b64 v[28:31], v53 offset0:20 offset1:24
	ds_load_2addr_stride64_b64 v[32:35], v53 offset0:28 offset1:32
	ds_load_b64 v[72:73], v165
	ds_load_b64 v[74:75], v166
	ds_load_b64 v[76:77], v167
	ds_load_b64 v[78:79], v168
	;; [unrolled: 6-line block ×5, first 2 shown]
	ds_load_b64 v[104:105], v181
	s_waitcnt lgkmcnt(28)
	v_lshlrev_b64 v[5:6], 3, v[5:6]
	s_waitcnt lgkmcnt(27)
	v_lshlrev_b64 v[66:67], 3, v[66:67]
	;; [unrolled: 2-line block ×6, first 2 shown]
	v_add_co_u32 v5, vcc_lo, s54, v5
	v_add_co_ci_u32_e32 v6, vcc_lo, s55, v6, vcc_lo
	v_add_co_u32 v9, vcc_lo, s54, v66
	v_add_co_ci_u32_e32 v21, vcc_lo, s55, v67, vcc_lo
	;; [unrolled: 2-line block ×4, first 2 shown]
	s_waitcnt lgkmcnt(20)
	v_lshlrev_b64 v[76:77], 3, v[76:77]
	v_add_co_u32 v71, vcc_lo, s54, v72
	v_add_co_ci_u32_e32 v72, vcc_lo, s55, v73, vcc_lo
	s_waitcnt lgkmcnt(19)
	v_lshlrev_b64 v[78:79], 3, v[78:79]
	v_add_co_u32 v73, vcc_lo, s54, v74
	v_add_co_ci_u32_e32 v74, vcc_lo, s55, v75, vcc_lo
	s_waitcnt lgkmcnt(16)
	v_lshlrev_b64 v[80:81], 3, v[80:81]
	v_add_co_u32 v75, vcc_lo, s54, v76
	v_add_co_ci_u32_e32 v76, vcc_lo, s55, v77, vcc_lo
	s_waitcnt lgkmcnt(15)
	v_lshlrev_b64 v[82:83], 3, v[82:83]
	v_add_co_u32 v77, vcc_lo, s54, v78
	v_add_co_ci_u32_e32 v78, vcc_lo, s55, v79, vcc_lo
	s_waitcnt lgkmcnt(14)
	v_lshlrev_b64 v[84:85], 3, v[84:85]
	v_add_co_u32 v79, vcc_lo, s54, v80
	v_add_co_ci_u32_e32 v80, vcc_lo, s55, v81, vcc_lo
	s_waitcnt lgkmcnt(13)
	v_lshlrev_b64 v[86:87], 3, v[86:87]
	v_add_co_u32 v81, vcc_lo, s54, v82
	v_add_co_ci_u32_e32 v82, vcc_lo, s55, v83, vcc_lo
	s_waitcnt lgkmcnt(10)
	v_lshlrev_b64 v[88:89], 3, v[88:89]
	v_add_co_u32 v83, vcc_lo, s54, v84
	v_add_co_ci_u32_e32 v84, vcc_lo, s55, v85, vcc_lo
	s_waitcnt lgkmcnt(9)
	v_lshlrev_b64 v[90:91], 3, v[90:91]
	v_add_co_u32 v85, vcc_lo, s54, v86
	v_add_co_ci_u32_e32 v86, vcc_lo, s55, v87, vcc_lo
	s_waitcnt lgkmcnt(8)
	v_lshlrev_b64 v[92:93], 3, v[92:93]
	v_add_co_u32 v87, vcc_lo, s54, v88
	v_add_co_ci_u32_e32 v88, vcc_lo, s55, v89, vcc_lo
	s_waitcnt lgkmcnt(7)
	v_lshlrev_b64 v[94:95], 3, v[94:95]
	v_add_co_u32 v89, vcc_lo, s54, v90
	v_add_co_ci_u32_e32 v90, vcc_lo, s55, v91, vcc_lo
	s_waitcnt lgkmcnt(4)
	v_lshlrev_b64 v[96:97], 3, v[96:97]
	v_add_co_u32 v91, vcc_lo, s54, v92
	v_add_co_ci_u32_e32 v92, vcc_lo, s55, v93, vcc_lo
	s_waitcnt lgkmcnt(3)
	v_lshlrev_b64 v[98:99], 3, v[98:99]
	v_add_co_u32 v93, vcc_lo, s54, v94
	v_add_co_ci_u32_e32 v94, vcc_lo, s55, v95, vcc_lo
	v_add_co_u32 v95, vcc_lo, s54, v96
	v_add_co_ci_u32_e32 v96, vcc_lo, s55, v97, vcc_lo
	v_add_co_u32 v97, vcc_lo, s54, v98
	v_add_co_ci_u32_e32 v98, vcc_lo, s55, v99, vcc_lo
	;; [unrolled: 2-line block ×18, first 2 shown]
	s_waitcnt lgkmcnt(2)
	v_lshlrev_b64 v[100:101], 3, v[100:101]
	v_add_co_u32 v84, vcc_lo, v95, v136
	v_add_co_ci_u32_e32 v85, vcc_lo, 0, v96, vcc_lo
	v_add_co_u32 v86, vcc_lo, v97, v137
	s_clause 0xe
	global_store_b64 v[5:6], v[11:12], off
	global_store_b64 v[66:67], v[13:14], off offset:2048
	global_store_b64 v[9:10], v[24:25], off
	global_store_b64 v[68:69], v[26:27], off
	;; [unrolled: 1-line block ×13, first 2 shown]
	ds_load_b64 v[5:6], v182
	v_add_co_ci_u32_e32 v87, vcc_lo, 0, v98, vcc_lo
	v_add_co_u32 v9, vcc_lo, s54, v100
	v_add_co_ci_u32_e32 v10, vcc_lo, s55, v101, vcc_lo
	s_waitcnt lgkmcnt(2)
	v_lshlrev_b64 v[11:12], 3, v[102:103]
	s_delay_alu instid0(VALU_DEP_3) | instskip(NEXT) | instid1(VALU_DEP_3)
	v_add_co_u32 v9, vcc_lo, v9, v138
	v_add_co_ci_u32_e32 v10, vcc_lo, 0, v10, vcc_lo
	s_clause 0x3
	global_store_b64 v[82:83], v[56:57], off
	global_store_b64 v[84:85], v[58:59], off
	;; [unrolled: 1-line block ×4, first 2 shown]
	v_add_co_u32 v9, vcc_lo, s54, v11
	v_add_co_ci_u32_e32 v10, vcc_lo, s55, v12, vcc_lo
	s_waitcnt lgkmcnt(1)
	v_lshlrev_b64 v[13:14], 3, v[104:105]
	s_delay_alu instid0(VALU_DEP_3) | instskip(NEXT) | instid1(VALU_DEP_3)
	v_add_co_u32 v15, vcc_lo, v9, v0
	v_add_co_ci_u32_e32 v16, vcc_lo, 0, v10, vcc_lo
	ds_load_2addr_stride64_b64 v[9:12], v53 offset0:84 offset1:88
	s_waitcnt lgkmcnt(1)
	v_lshlrev_b64 v[5:6], 3, v[5:6]
	v_add_co_u32 v0, vcc_lo, s54, v13
	v_add_co_ci_u32_e32 v13, vcc_lo, s55, v14, vcc_lo
	global_store_b64 v[15:16], v[64:65], off
	v_add_co_u32 v14, vcc_lo, s54, v5
	v_add_co_ci_u32_e32 v17, vcc_lo, s55, v6, vcc_lo
	v_add_co_u32 v5, vcc_lo, v0, v7
	v_add_co_ci_u32_e32 v6, vcc_lo, 0, v13, vcc_lo
	s_delay_alu instid0(VALU_DEP_4) | instskip(NEXT) | instid1(VALU_DEP_4)
	v_add_co_u32 v7, vcc_lo, v14, v8
	v_add_co_ci_u32_e32 v8, vcc_lo, 0, v17, vcc_lo
	s_waitcnt lgkmcnt(0)
	s_clause 0x1
	global_store_b64 v[5:6], v[9:10], off
	global_store_b64 v[7:8], v[11:12], off
.LBB171_280:
	s_and_b32 vcc_lo, exec_lo, s2
	s_cbranch_vccnz .LBB171_282
; %bb.281:
	s_nop 0
	s_sendmsg sendmsg(MSG_DEALLOC_VGPRS)
	s_endpgm
.LBB171_282:
	ds_load_b64 v[5:6], v53
	v_lshlrev_b64 v[0:1], 3, v[1:2]
	v_add_co_u32 v2, vcc_lo, v3, v52
	v_add_co_ci_u32_e32 v3, vcc_lo, 0, v4, vcc_lo
	s_delay_alu instid0(VALU_DEP_3) | instskip(NEXT) | instid1(VALU_DEP_4)
	v_add_co_u32 v0, vcc_lo, s58, v0
	v_add_co_ci_u32_e32 v1, vcc_lo, s59, v1, vcc_lo
	s_waitcnt lgkmcnt(0)
	v_add_co_u32 v2, vcc_lo, v2, v5
	v_add_co_ci_u32_e32 v3, vcc_lo, v3, v6, vcc_lo
	global_store_b64 v[0:1], v[2:3], off
	s_nop 0
	s_sendmsg sendmsg(MSG_DEALLOC_VGPRS)
	s_endpgm
.LBB171_283:
	global_load_b64 v[5:6], v[49:50], off
	s_or_b32 exec_lo, exec_lo, s47
                                        ; implicit-def: $vgpr7_vgpr8
	s_and_saveexec_b32 s47, s2
	s_cbranch_execz .LBB171_151
.LBB171_284:
	global_load_b64 v[7:8], v[49:50], off offset:256
	s_or_b32 exec_lo, exec_lo, s47
                                        ; implicit-def: $vgpr9_vgpr10
	s_and_saveexec_b32 s2, s3
	s_cbranch_execz .LBB171_152
.LBB171_285:
	global_load_b64 v[9:10], v[49:50], off offset:512
	s_or_b32 exec_lo, exec_lo, s2
                                        ; implicit-def: $vgpr11_vgpr12
	s_and_saveexec_b32 s2, s4
	s_cbranch_execz .LBB171_153
.LBB171_286:
	global_load_b64 v[11:12], v[49:50], off offset:768
	s_or_b32 exec_lo, exec_lo, s2
                                        ; implicit-def: $vgpr13_vgpr14
	s_and_saveexec_b32 s2, s5
	s_cbranch_execz .LBB171_154
.LBB171_287:
	global_load_b64 v[13:14], v[49:50], off offset:1024
	s_or_b32 exec_lo, exec_lo, s2
                                        ; implicit-def: $vgpr15_vgpr16
	s_and_saveexec_b32 s2, s6
	s_cbranch_execz .LBB171_155
.LBB171_288:
	global_load_b64 v[15:16], v[49:50], off offset:1280
	s_or_b32 exec_lo, exec_lo, s2
                                        ; implicit-def: $vgpr17_vgpr18
	s_and_saveexec_b32 s2, s7
	s_cbranch_execz .LBB171_156
.LBB171_289:
	global_load_b64 v[17:18], v[49:50], off offset:1536
	s_or_b32 exec_lo, exec_lo, s2
                                        ; implicit-def: $vgpr19_vgpr20
	s_and_saveexec_b32 s2, s8
	s_cbranch_execz .LBB171_157
.LBB171_290:
	global_load_b64 v[19:20], v[49:50], off offset:1792
	s_or_b32 exec_lo, exec_lo, s2
                                        ; implicit-def: $vgpr21_vgpr22
	s_and_saveexec_b32 s2, s9
	s_cbranch_execz .LBB171_158
.LBB171_291:
	global_load_b64 v[21:22], v[49:50], off offset:2048
	s_or_b32 exec_lo, exec_lo, s2
                                        ; implicit-def: $vgpr23_vgpr24
	s_and_saveexec_b32 s2, s10
	s_cbranch_execz .LBB171_159
.LBB171_292:
	global_load_b64 v[23:24], v[49:50], off offset:2304
	s_or_b32 exec_lo, exec_lo, s2
                                        ; implicit-def: $vgpr25_vgpr26
	s_and_saveexec_b32 s2, s11
	s_cbranch_execz .LBB171_160
.LBB171_293:
	global_load_b64 v[25:26], v[49:50], off offset:2560
	s_or_b32 exec_lo, exec_lo, s2
                                        ; implicit-def: $vgpr27_vgpr28
	s_and_saveexec_b32 s2, s12
	s_cbranch_execz .LBB171_161
.LBB171_294:
	global_load_b64 v[27:28], v[49:50], off offset:2816
	s_or_b32 exec_lo, exec_lo, s2
                                        ; implicit-def: $vgpr29_vgpr30
	s_and_saveexec_b32 s2, s13
	s_cbranch_execz .LBB171_162
.LBB171_295:
	global_load_b64 v[29:30], v[49:50], off offset:3072
	s_or_b32 exec_lo, exec_lo, s2
                                        ; implicit-def: $vgpr31_vgpr32
	s_and_saveexec_b32 s2, s14
	s_cbranch_execz .LBB171_163
.LBB171_296:
	global_load_b64 v[31:32], v[49:50], off offset:3328
	s_or_b32 exec_lo, exec_lo, s2
                                        ; implicit-def: $vgpr33_vgpr34
	s_and_saveexec_b32 s2, s16
	s_cbranch_execz .LBB171_164
.LBB171_297:
	global_load_b64 v[33:34], v[49:50], off offset:3584
	s_or_b32 exec_lo, exec_lo, s2
                                        ; implicit-def: $vgpr35_vgpr36
	s_and_saveexec_b32 s2, s17
	s_cbranch_execz .LBB171_165
.LBB171_298:
	global_load_b64 v[35:36], v[49:50], off offset:3840
	s_or_b32 exec_lo, exec_lo, s2
                                        ; implicit-def: $vgpr37_vgpr38
	s_and_saveexec_b32 s2, s18
	s_cbranch_execz .LBB171_166
.LBB171_299:
	v_add_co_u32 v37, vcc_lo, 0x1000, v49
	v_add_co_ci_u32_e32 v38, vcc_lo, 0, v50, vcc_lo
	global_load_b64 v[37:38], v[37:38], off
	s_or_b32 exec_lo, exec_lo, s2
                                        ; implicit-def: $vgpr39_vgpr40
	s_and_saveexec_b32 s2, s19
	s_cbranch_execz .LBB171_167
.LBB171_300:
	v_add_co_u32 v39, vcc_lo, 0x1000, v49
	v_add_co_ci_u32_e32 v40, vcc_lo, 0, v50, vcc_lo
	global_load_b64 v[39:40], v[39:40], off offset:256
	s_or_b32 exec_lo, exec_lo, s2
                                        ; implicit-def: $vgpr41_vgpr42
	s_and_saveexec_b32 s2, s20
	s_cbranch_execz .LBB171_168
.LBB171_301:
	v_add_co_u32 v41, vcc_lo, 0x1000, v49
	v_add_co_ci_u32_e32 v42, vcc_lo, 0, v50, vcc_lo
	global_load_b64 v[41:42], v[41:42], off offset:512
	s_or_b32 exec_lo, exec_lo, s2
                                        ; implicit-def: $vgpr43_vgpr44
	s_and_saveexec_b32 s2, s21
	s_cbranch_execz .LBB171_169
.LBB171_302:
	v_add_co_u32 v43, vcc_lo, 0x1000, v49
	v_add_co_ci_u32_e32 v44, vcc_lo, 0, v50, vcc_lo
	global_load_b64 v[43:44], v[43:44], off offset:768
	s_or_b32 exec_lo, exec_lo, s2
                                        ; implicit-def: $vgpr45_vgpr46
	s_and_saveexec_b32 s2, s22
	s_cbranch_execz .LBB171_170
.LBB171_303:
	v_add_co_u32 v45, vcc_lo, 0x1000, v49
	v_add_co_ci_u32_e32 v46, vcc_lo, 0, v50, vcc_lo
	global_load_b64 v[45:46], v[45:46], off offset:1024
	s_or_b32 exec_lo, exec_lo, s2
                                        ; implicit-def: $vgpr47_vgpr48
	s_and_saveexec_b32 s2, s23
	s_cbranch_execz .LBB171_171
.LBB171_304:
	v_add_co_u32 v47, vcc_lo, 0x1000, v49
	v_add_co_ci_u32_e32 v48, vcc_lo, 0, v50, vcc_lo
	global_load_b64 v[47:48], v[47:48], off offset:1280
	s_or_b32 exec_lo, exec_lo, s2
                                        ; implicit-def: $vgpr115
	s_and_saveexec_b32 s2, s24
	s_cbranch_execz .LBB171_172
.LBB171_305:
	ds_load_u8 v49, v1 offset:2048
	s_waitcnt lgkmcnt(0)
	v_lshrrev_b32_e32 v49, s60, v49
	s_delay_alu instid0(VALU_DEP_1)
	v_and_b32_e32 v115, s68, v49
	s_or_b32 exec_lo, exec_lo, s2
                                        ; implicit-def: $vgpr114
	s_and_saveexec_b32 s2, s25
	s_cbranch_execz .LBB171_173
.LBB171_306:
	ds_load_u8 v49, v1 offset:2304
	s_waitcnt lgkmcnt(0)
	v_lshrrev_b32_e32 v49, s60, v49
	s_delay_alu instid0(VALU_DEP_1)
	v_and_b32_e32 v114, s68, v49
	s_or_b32 exec_lo, exec_lo, s2
                                        ; implicit-def: $vgpr113
	s_and_saveexec_b32 s2, s26
	s_cbranch_execz .LBB171_174
.LBB171_307:
	ds_load_u8 v49, v1 offset:2560
	s_waitcnt lgkmcnt(0)
	v_lshrrev_b32_e32 v49, s60, v49
	s_delay_alu instid0(VALU_DEP_1)
	v_and_b32_e32 v113, s68, v49
	s_or_b32 exec_lo, exec_lo, s2
                                        ; implicit-def: $vgpr112
	s_and_saveexec_b32 s2, s27
	s_cbranch_execz .LBB171_175
.LBB171_308:
	ds_load_u8 v49, v1 offset:2816
	s_waitcnt lgkmcnt(0)
	v_lshrrev_b32_e32 v49, s60, v49
	s_delay_alu instid0(VALU_DEP_1)
	v_and_b32_e32 v112, s68, v49
	s_or_b32 exec_lo, exec_lo, s2
                                        ; implicit-def: $vgpr111
	s_and_saveexec_b32 s2, s28
	s_cbranch_execz .LBB171_176
.LBB171_309:
	ds_load_u8 v49, v1 offset:3072
	s_waitcnt lgkmcnt(0)
	v_lshrrev_b32_e32 v49, s60, v49
	s_delay_alu instid0(VALU_DEP_1)
	v_and_b32_e32 v111, s68, v49
	s_or_b32 exec_lo, exec_lo, s2
                                        ; implicit-def: $vgpr110
	s_and_saveexec_b32 s2, s29
	s_cbranch_execz .LBB171_177
.LBB171_310:
	ds_load_u8 v49, v1 offset:3328
	s_waitcnt lgkmcnt(0)
	v_lshrrev_b32_e32 v49, s60, v49
	s_delay_alu instid0(VALU_DEP_1)
	v_and_b32_e32 v110, s68, v49
	s_or_b32 exec_lo, exec_lo, s2
                                        ; implicit-def: $vgpr109
	s_and_saveexec_b32 s2, s30
	s_cbranch_execz .LBB171_178
.LBB171_311:
	ds_load_u8 v49, v1 offset:3584
	s_waitcnt lgkmcnt(0)
	v_lshrrev_b32_e32 v49, s60, v49
	s_delay_alu instid0(VALU_DEP_1)
	v_and_b32_e32 v109, s68, v49
	s_or_b32 exec_lo, exec_lo, s2
                                        ; implicit-def: $vgpr108
	s_and_saveexec_b32 s2, s31
	s_cbranch_execz .LBB171_179
.LBB171_312:
	ds_load_u8 v49, v1 offset:3840
	s_waitcnt lgkmcnt(0)
	v_lshrrev_b32_e32 v49, s60, v49
	s_delay_alu instid0(VALU_DEP_1)
	v_and_b32_e32 v108, s68, v49
	s_or_b32 exec_lo, exec_lo, s2
                                        ; implicit-def: $vgpr107
	s_and_saveexec_b32 s2, s33
	s_cbranch_execz .LBB171_180
.LBB171_313:
	ds_load_u8 v49, v1 offset:4096
	s_waitcnt lgkmcnt(0)
	v_lshrrev_b32_e32 v49, s60, v49
	s_delay_alu instid0(VALU_DEP_1)
	v_and_b32_e32 v107, s68, v49
	s_or_b32 exec_lo, exec_lo, s2
                                        ; implicit-def: $vgpr106
	s_and_saveexec_b32 s2, s34
	s_cbranch_execz .LBB171_181
.LBB171_314:
	ds_load_u8 v49, v1 offset:4352
	s_waitcnt lgkmcnt(0)
	v_lshrrev_b32_e32 v49, s60, v49
	s_delay_alu instid0(VALU_DEP_1)
	v_and_b32_e32 v106, s68, v49
	s_or_b32 exec_lo, exec_lo, s2
                                        ; implicit-def: $vgpr105
	s_and_saveexec_b32 s2, s35
	s_cbranch_execz .LBB171_182
.LBB171_315:
	ds_load_u8 v49, v1 offset:4608
	s_waitcnt lgkmcnt(0)
	v_lshrrev_b32_e32 v49, s60, v49
	s_delay_alu instid0(VALU_DEP_1)
	v_and_b32_e32 v105, s68, v49
	s_or_b32 exec_lo, exec_lo, s2
                                        ; implicit-def: $vgpr104
	s_and_saveexec_b32 s2, s36
	s_cbranch_execz .LBB171_183
.LBB171_316:
	ds_load_u8 v49, v1 offset:4864
	s_waitcnt lgkmcnt(0)
	v_lshrrev_b32_e32 v49, s60, v49
	s_delay_alu instid0(VALU_DEP_1)
	v_and_b32_e32 v104, s68, v49
	s_or_b32 exec_lo, exec_lo, s2
                                        ; implicit-def: $vgpr103
	s_and_saveexec_b32 s2, s37
	s_cbranch_execz .LBB171_184
.LBB171_317:
	ds_load_u8 v49, v1 offset:5120
	s_waitcnt lgkmcnt(0)
	v_lshrrev_b32_e32 v49, s60, v49
	s_delay_alu instid0(VALU_DEP_1)
	v_and_b32_e32 v103, s68, v49
	s_or_b32 exec_lo, exec_lo, s2
                                        ; implicit-def: $vgpr102
	s_and_saveexec_b32 s2, s38
	s_cbranch_execz .LBB171_185
.LBB171_318:
	ds_load_u8 v49, v1 offset:5376
	s_waitcnt lgkmcnt(0)
	v_lshrrev_b32_e32 v49, s60, v49
	s_delay_alu instid0(VALU_DEP_1)
	v_and_b32_e32 v102, s68, v49
	s_or_b32 exec_lo, exec_lo, s2
                                        ; implicit-def: $vgpr101
	s_and_saveexec_b32 s2, s39
	s_cbranch_execz .LBB171_186
.LBB171_319:
	ds_load_u8 v49, v1 offset:5632
	s_waitcnt lgkmcnt(0)
	v_lshrrev_b32_e32 v49, s60, v49
	s_delay_alu instid0(VALU_DEP_1)
	v_and_b32_e32 v101, s68, v49
	s_or_b32 exec_lo, exec_lo, s2
                                        ; implicit-def: $vgpr100
	s_and_saveexec_b32 s2, s40
	s_cbranch_execz .LBB171_187
.LBB171_320:
	ds_load_u8 v49, v1 offset:5888
	s_waitcnt lgkmcnt(0)
	v_lshrrev_b32_e32 v49, s60, v49
	s_delay_alu instid0(VALU_DEP_1)
	v_and_b32_e32 v100, s68, v49
	s_or_b32 exec_lo, exec_lo, s2
                                        ; implicit-def: $vgpr99
	s_and_saveexec_b32 s2, s41
	s_cbranch_execz .LBB171_188
.LBB171_321:
	ds_load_u8 v49, v1 offset:6144
	s_waitcnt lgkmcnt(0)
	v_lshrrev_b32_e32 v49, s60, v49
	s_delay_alu instid0(VALU_DEP_1)
	v_and_b32_e32 v99, s68, v49
	s_or_b32 exec_lo, exec_lo, s2
                                        ; implicit-def: $vgpr98
	s_and_saveexec_b32 s2, s42
	s_cbranch_execz .LBB171_189
.LBB171_322:
	ds_load_u8 v49, v1 offset:6400
	s_waitcnt lgkmcnt(0)
	v_lshrrev_b32_e32 v49, s60, v49
	s_delay_alu instid0(VALU_DEP_1)
	v_and_b32_e32 v98, s68, v49
	s_or_b32 exec_lo, exec_lo, s2
                                        ; implicit-def: $vgpr97
	s_and_saveexec_b32 s2, s43
	s_cbranch_execz .LBB171_190
.LBB171_323:
	ds_load_u8 v49, v1 offset:6656
	s_waitcnt lgkmcnt(0)
	v_lshrrev_b32_e32 v49, s60, v49
	s_delay_alu instid0(VALU_DEP_1)
	v_and_b32_e32 v97, s68, v49
	s_or_b32 exec_lo, exec_lo, s2
                                        ; implicit-def: $vgpr96
	s_and_saveexec_b32 s2, s44
	s_cbranch_execz .LBB171_191
.LBB171_324:
	ds_load_u8 v49, v1 offset:6912
	s_waitcnt lgkmcnt(0)
	v_lshrrev_b32_e32 v49, s60, v49
	s_delay_alu instid0(VALU_DEP_1)
	v_and_b32_e32 v96, s68, v49
	s_or_b32 exec_lo, exec_lo, s2
                                        ; implicit-def: $vgpr50
	s_and_saveexec_b32 s2, s45
	s_cbranch_execz .LBB171_192
.LBB171_325:
	ds_load_u8 v49, v1 offset:7168
	s_waitcnt lgkmcnt(0)
	v_lshrrev_b32_e32 v49, s60, v49
	s_delay_alu instid0(VALU_DEP_1)
	v_and_b32_e32 v50, s68, v49
	s_or_b32 exec_lo, exec_lo, s2
                                        ; implicit-def: $vgpr49
	s_and_saveexec_b32 s2, s46
	s_cbranch_execnz .LBB171_193
	s_branch .LBB171_194
.LBB171_326:
	v_lshlrev_b32_e32 v5, 3, v115
	ds_load_b64 v[5:6], v5
	ds_load_b64 v[7:8], v53 offset:2048
	s_waitcnt lgkmcnt(1)
	v_lshlrev_b64 v[5:6], 3, v[5:6]
	s_delay_alu instid0(VALU_DEP_1) | instskip(NEXT) | instid1(VALU_DEP_2)
	v_add_co_u32 v5, vcc_lo, s54, v5
	v_add_co_ci_u32_e32 v6, vcc_lo, s55, v6, vcc_lo
	s_delay_alu instid0(VALU_DEP_2) | instskip(NEXT) | instid1(VALU_DEP_2)
	v_add_co_u32 v5, vcc_lo, v5, v53
	v_add_co_ci_u32_e32 v6, vcc_lo, 0, v6, vcc_lo
	s_waitcnt lgkmcnt(0)
	global_store_b64 v[5:6], v[7:8], off
	s_or_b32 exec_lo, exec_lo, s2
	s_and_saveexec_b32 s2, s25
	s_cbranch_execz .LBB171_196
.LBB171_327:
	v_lshlrev_b32_e32 v5, 3, v114
	v_lshlrev_b32_e32 v9, 3, v1
	ds_load_b64 v[5:6], v5
	ds_load_b64 v[7:8], v9 offset:4096
	s_waitcnt lgkmcnt(1)
	v_lshlrev_b64 v[5:6], 3, v[5:6]
	s_delay_alu instid0(VALU_DEP_1) | instskip(NEXT) | instid1(VALU_DEP_2)
	v_add_co_u32 v5, vcc_lo, s54, v5
	v_add_co_ci_u32_e32 v6, vcc_lo, s55, v6, vcc_lo
	s_delay_alu instid0(VALU_DEP_2) | instskip(NEXT) | instid1(VALU_DEP_2)
	v_add_co_u32 v5, vcc_lo, v5, v9
	v_add_co_ci_u32_e32 v6, vcc_lo, 0, v6, vcc_lo
	s_waitcnt lgkmcnt(0)
	global_store_b64 v[5:6], v[7:8], off offset:2048
	s_or_b32 exec_lo, exec_lo, s2
	s_and_saveexec_b32 s2, s26
	s_cbranch_execz .LBB171_197
.LBB171_328:
	v_lshlrev_b32_e32 v5, 3, v113
	v_lshlrev_b32_e32 v7, 3, v1
	;; [unrolled: 1-line block ×3, first 2 shown]
	ds_load_b64 v[5:6], v5
	ds_load_b64 v[7:8], v7 offset:6144
	s_waitcnt lgkmcnt(1)
	v_lshlrev_b64 v[5:6], 3, v[5:6]
	s_delay_alu instid0(VALU_DEP_1) | instskip(NEXT) | instid1(VALU_DEP_2)
	v_add_co_u32 v5, vcc_lo, s54, v5
	v_add_co_ci_u32_e32 v6, vcc_lo, s55, v6, vcc_lo
	s_delay_alu instid0(VALU_DEP_2) | instskip(NEXT) | instid1(VALU_DEP_2)
	v_add_co_u32 v5, vcc_lo, v5, v9
	v_add_co_ci_u32_e32 v6, vcc_lo, 0, v6, vcc_lo
	s_waitcnt lgkmcnt(0)
	global_store_b64 v[5:6], v[7:8], off
	s_or_b32 exec_lo, exec_lo, s2
	s_and_saveexec_b32 s2, s27
	s_cbranch_execz .LBB171_198
.LBB171_329:
	v_lshlrev_b32_e32 v5, 3, v112
	v_lshlrev_b32_e32 v7, 3, v1
	;; [unrolled: 1-line block ×3, first 2 shown]
	ds_load_b64 v[5:6], v5
	ds_load_b64 v[7:8], v7 offset:8192
	s_waitcnt lgkmcnt(1)
	v_lshlrev_b64 v[5:6], 3, v[5:6]
	s_delay_alu instid0(VALU_DEP_1) | instskip(NEXT) | instid1(VALU_DEP_2)
	v_add_co_u32 v5, vcc_lo, s54, v5
	v_add_co_ci_u32_e32 v6, vcc_lo, s55, v6, vcc_lo
	s_delay_alu instid0(VALU_DEP_2) | instskip(NEXT) | instid1(VALU_DEP_2)
	v_add_co_u32 v5, vcc_lo, v5, v9
	v_add_co_ci_u32_e32 v6, vcc_lo, 0, v6, vcc_lo
	s_waitcnt lgkmcnt(0)
	global_store_b64 v[5:6], v[7:8], off
	s_or_b32 exec_lo, exec_lo, s2
	s_and_saveexec_b32 s2, s28
	s_cbranch_execz .LBB171_199
.LBB171_330:
	v_lshlrev_b32_e32 v5, 3, v111
	v_lshlrev_b32_e32 v7, 3, v1
	;; [unrolled: 1-line block ×3, first 2 shown]
	ds_load_b64 v[5:6], v5
	ds_load_b64 v[7:8], v7 offset:10240
	s_waitcnt lgkmcnt(1)
	v_lshlrev_b64 v[5:6], 3, v[5:6]
	s_delay_alu instid0(VALU_DEP_1) | instskip(NEXT) | instid1(VALU_DEP_2)
	v_add_co_u32 v5, vcc_lo, s54, v5
	v_add_co_ci_u32_e32 v6, vcc_lo, s55, v6, vcc_lo
	s_delay_alu instid0(VALU_DEP_2) | instskip(NEXT) | instid1(VALU_DEP_2)
	v_add_co_u32 v5, vcc_lo, v5, v9
	v_add_co_ci_u32_e32 v6, vcc_lo, 0, v6, vcc_lo
	s_waitcnt lgkmcnt(0)
	global_store_b64 v[5:6], v[7:8], off
	s_or_b32 exec_lo, exec_lo, s2
	s_and_saveexec_b32 s2, s29
	s_cbranch_execz .LBB171_200
.LBB171_331:
	v_lshlrev_b32_e32 v5, 3, v110
	v_lshlrev_b32_e32 v7, 3, v1
	;; [unrolled: 1-line block ×3, first 2 shown]
	ds_load_b64 v[5:6], v5
	ds_load_b64 v[7:8], v7 offset:12288
	s_waitcnt lgkmcnt(1)
	v_lshlrev_b64 v[5:6], 3, v[5:6]
	s_delay_alu instid0(VALU_DEP_1) | instskip(NEXT) | instid1(VALU_DEP_2)
	v_add_co_u32 v5, vcc_lo, s54, v5
	v_add_co_ci_u32_e32 v6, vcc_lo, s55, v6, vcc_lo
	s_delay_alu instid0(VALU_DEP_2) | instskip(NEXT) | instid1(VALU_DEP_2)
	v_add_co_u32 v5, vcc_lo, v5, v9
	v_add_co_ci_u32_e32 v6, vcc_lo, 0, v6, vcc_lo
	s_waitcnt lgkmcnt(0)
	global_store_b64 v[5:6], v[7:8], off
	s_or_b32 exec_lo, exec_lo, s2
	s_and_saveexec_b32 s2, s30
	s_cbranch_execz .LBB171_201
.LBB171_332:
	v_lshlrev_b32_e32 v5, 3, v109
	v_lshlrev_b32_e32 v7, 3, v1
	;; [unrolled: 1-line block ×3, first 2 shown]
	ds_load_b64 v[5:6], v5
	ds_load_b64 v[7:8], v7 offset:14336
	s_waitcnt lgkmcnt(1)
	v_lshlrev_b64 v[5:6], 3, v[5:6]
	s_delay_alu instid0(VALU_DEP_1) | instskip(NEXT) | instid1(VALU_DEP_2)
	v_add_co_u32 v5, vcc_lo, s54, v5
	v_add_co_ci_u32_e32 v6, vcc_lo, s55, v6, vcc_lo
	s_delay_alu instid0(VALU_DEP_2) | instskip(NEXT) | instid1(VALU_DEP_2)
	v_add_co_u32 v5, vcc_lo, v5, v9
	v_add_co_ci_u32_e32 v6, vcc_lo, 0, v6, vcc_lo
	s_waitcnt lgkmcnt(0)
	global_store_b64 v[5:6], v[7:8], off
	s_or_b32 exec_lo, exec_lo, s2
	s_and_saveexec_b32 s2, s31
	s_cbranch_execz .LBB171_202
.LBB171_333:
	v_lshlrev_b32_e32 v5, 3, v108
	v_lshlrev_b32_e32 v7, 3, v1
	v_lshlrev_b32_e32 v9, 3, v81
	ds_load_b64 v[5:6], v5
	ds_load_b64 v[7:8], v7 offset:16384
	s_waitcnt lgkmcnt(1)
	v_lshlrev_b64 v[5:6], 3, v[5:6]
	s_delay_alu instid0(VALU_DEP_1) | instskip(NEXT) | instid1(VALU_DEP_2)
	v_add_co_u32 v5, vcc_lo, s54, v5
	v_add_co_ci_u32_e32 v6, vcc_lo, s55, v6, vcc_lo
	s_delay_alu instid0(VALU_DEP_2) | instskip(NEXT) | instid1(VALU_DEP_2)
	v_add_co_u32 v5, vcc_lo, v5, v9
	v_add_co_ci_u32_e32 v6, vcc_lo, 0, v6, vcc_lo
	s_waitcnt lgkmcnt(0)
	global_store_b64 v[5:6], v[7:8], off
	s_or_b32 exec_lo, exec_lo, s2
	s_and_saveexec_b32 s2, s33
	s_cbranch_execz .LBB171_203
.LBB171_334:
	v_lshlrev_b32_e32 v5, 3, v107
	v_lshlrev_b32_e32 v7, 3, v1
	;; [unrolled: 1-line block ×3, first 2 shown]
	ds_load_b64 v[5:6], v5
	ds_load_b64 v[7:8], v7 offset:18432
	s_waitcnt lgkmcnt(1)
	v_lshlrev_b64 v[5:6], 3, v[5:6]
	s_delay_alu instid0(VALU_DEP_1) | instskip(NEXT) | instid1(VALU_DEP_2)
	v_add_co_u32 v5, vcc_lo, s54, v5
	v_add_co_ci_u32_e32 v6, vcc_lo, s55, v6, vcc_lo
	s_delay_alu instid0(VALU_DEP_2) | instskip(NEXT) | instid1(VALU_DEP_2)
	v_add_co_u32 v5, vcc_lo, v5, v9
	v_add_co_ci_u32_e32 v6, vcc_lo, 0, v6, vcc_lo
	s_waitcnt lgkmcnt(0)
	global_store_b64 v[5:6], v[7:8], off
	s_or_b32 exec_lo, exec_lo, s2
	s_and_saveexec_b32 s2, s34
	s_cbranch_execz .LBB171_204
.LBB171_335:
	v_lshlrev_b32_e32 v5, 3, v106
	v_lshlrev_b32_e32 v7, 3, v1
	;; [unrolled: 1-line block ×3, first 2 shown]
	ds_load_b64 v[5:6], v5
	ds_load_b64 v[7:8], v7 offset:20480
	s_waitcnt lgkmcnt(1)
	v_lshlrev_b64 v[5:6], 3, v[5:6]
	s_delay_alu instid0(VALU_DEP_1) | instskip(NEXT) | instid1(VALU_DEP_2)
	v_add_co_u32 v5, vcc_lo, s54, v5
	v_add_co_ci_u32_e32 v6, vcc_lo, s55, v6, vcc_lo
	s_delay_alu instid0(VALU_DEP_2) | instskip(NEXT) | instid1(VALU_DEP_2)
	v_add_co_u32 v5, vcc_lo, v5, v9
	v_add_co_ci_u32_e32 v6, vcc_lo, 0, v6, vcc_lo
	s_waitcnt lgkmcnt(0)
	global_store_b64 v[5:6], v[7:8], off
	s_or_b32 exec_lo, exec_lo, s2
	s_and_saveexec_b32 s2, s35
	s_cbranch_execz .LBB171_205
.LBB171_336:
	v_lshlrev_b32_e32 v5, 3, v105
	v_lshlrev_b32_e32 v7, 3, v1
	;; [unrolled: 1-line block ×3, first 2 shown]
	ds_load_b64 v[5:6], v5
	ds_load_b64 v[7:8], v7 offset:22528
	s_waitcnt lgkmcnt(1)
	v_lshlrev_b64 v[5:6], 3, v[5:6]
	s_delay_alu instid0(VALU_DEP_1) | instskip(NEXT) | instid1(VALU_DEP_2)
	v_add_co_u32 v5, vcc_lo, s54, v5
	v_add_co_ci_u32_e32 v6, vcc_lo, s55, v6, vcc_lo
	s_delay_alu instid0(VALU_DEP_2) | instskip(NEXT) | instid1(VALU_DEP_2)
	v_add_co_u32 v5, vcc_lo, v5, v9
	v_add_co_ci_u32_e32 v6, vcc_lo, 0, v6, vcc_lo
	s_waitcnt lgkmcnt(0)
	global_store_b64 v[5:6], v[7:8], off
	s_or_b32 exec_lo, exec_lo, s2
	s_and_saveexec_b32 s2, s36
	s_cbranch_execz .LBB171_206
.LBB171_337:
	v_lshlrev_b32_e32 v5, 3, v104
	v_lshlrev_b32_e32 v7, 3, v1
	;; [unrolled: 1-line block ×3, first 2 shown]
	ds_load_b64 v[5:6], v5
	ds_load_b64 v[7:8], v7 offset:24576
	s_waitcnt lgkmcnt(1)
	v_lshlrev_b64 v[5:6], 3, v[5:6]
	s_delay_alu instid0(VALU_DEP_1) | instskip(NEXT) | instid1(VALU_DEP_2)
	v_add_co_u32 v5, vcc_lo, s54, v5
	v_add_co_ci_u32_e32 v6, vcc_lo, s55, v6, vcc_lo
	s_delay_alu instid0(VALU_DEP_2) | instskip(NEXT) | instid1(VALU_DEP_2)
	v_add_co_u32 v5, vcc_lo, v5, v9
	v_add_co_ci_u32_e32 v6, vcc_lo, 0, v6, vcc_lo
	s_waitcnt lgkmcnt(0)
	global_store_b64 v[5:6], v[7:8], off
	s_or_b32 exec_lo, exec_lo, s2
	s_and_saveexec_b32 s2, s37
	s_cbranch_execz .LBB171_207
.LBB171_338:
	v_lshlrev_b32_e32 v5, 3, v103
	v_lshlrev_b32_e32 v7, 3, v1
	;; [unrolled: 1-line block ×3, first 2 shown]
	ds_load_b64 v[5:6], v5
	ds_load_b64 v[7:8], v7 offset:26624
	s_waitcnt lgkmcnt(1)
	v_lshlrev_b64 v[5:6], 3, v[5:6]
	s_delay_alu instid0(VALU_DEP_1) | instskip(NEXT) | instid1(VALU_DEP_2)
	v_add_co_u32 v5, vcc_lo, s54, v5
	v_add_co_ci_u32_e32 v6, vcc_lo, s55, v6, vcc_lo
	s_delay_alu instid0(VALU_DEP_2) | instskip(NEXT) | instid1(VALU_DEP_2)
	v_add_co_u32 v5, vcc_lo, v5, v9
	v_add_co_ci_u32_e32 v6, vcc_lo, 0, v6, vcc_lo
	s_waitcnt lgkmcnt(0)
	global_store_b64 v[5:6], v[7:8], off
	s_or_b32 exec_lo, exec_lo, s2
	s_and_saveexec_b32 s2, s38
	s_cbranch_execz .LBB171_208
.LBB171_339:
	v_lshlrev_b32_e32 v5, 3, v102
	v_lshlrev_b32_e32 v7, 3, v1
	;; [unrolled: 1-line block ×3, first 2 shown]
	ds_load_b64 v[5:6], v5
	ds_load_b64 v[7:8], v7 offset:28672
	s_waitcnt lgkmcnt(1)
	v_lshlrev_b64 v[5:6], 3, v[5:6]
	s_delay_alu instid0(VALU_DEP_1) | instskip(NEXT) | instid1(VALU_DEP_2)
	v_add_co_u32 v5, vcc_lo, s54, v5
	v_add_co_ci_u32_e32 v6, vcc_lo, s55, v6, vcc_lo
	s_delay_alu instid0(VALU_DEP_2) | instskip(NEXT) | instid1(VALU_DEP_2)
	v_add_co_u32 v5, vcc_lo, v5, v9
	v_add_co_ci_u32_e32 v6, vcc_lo, 0, v6, vcc_lo
	s_waitcnt lgkmcnt(0)
	global_store_b64 v[5:6], v[7:8], off
	s_or_b32 exec_lo, exec_lo, s2
	s_and_saveexec_b32 s2, s39
	s_cbranch_execz .LBB171_209
.LBB171_340:
	v_lshlrev_b32_e32 v5, 3, v101
	v_lshlrev_b32_e32 v7, 3, v1
	;; [unrolled: 1-line block ×3, first 2 shown]
	ds_load_b64 v[5:6], v5
	ds_load_b64 v[7:8], v7 offset:30720
	s_waitcnt lgkmcnt(1)
	v_lshlrev_b64 v[5:6], 3, v[5:6]
	s_delay_alu instid0(VALU_DEP_1) | instskip(NEXT) | instid1(VALU_DEP_2)
	v_add_co_u32 v5, vcc_lo, s54, v5
	v_add_co_ci_u32_e32 v6, vcc_lo, s55, v6, vcc_lo
	s_delay_alu instid0(VALU_DEP_2) | instskip(NEXT) | instid1(VALU_DEP_2)
	v_add_co_u32 v5, vcc_lo, v5, v9
	v_add_co_ci_u32_e32 v6, vcc_lo, 0, v6, vcc_lo
	s_waitcnt lgkmcnt(0)
	global_store_b64 v[5:6], v[7:8], off
	s_or_b32 exec_lo, exec_lo, s2
	s_and_saveexec_b32 s2, s40
	s_cbranch_execz .LBB171_210
.LBB171_341:
	v_lshlrev_b32_e32 v5, 3, v100
	v_lshlrev_b32_e32 v7, 3, v1
	v_lshlrev_b32_e32 v9, 3, v89
	ds_load_b64 v[5:6], v5
	ds_load_b64 v[7:8], v7 offset:32768
	s_waitcnt lgkmcnt(1)
	v_lshlrev_b64 v[5:6], 3, v[5:6]
	s_delay_alu instid0(VALU_DEP_1) | instskip(NEXT) | instid1(VALU_DEP_2)
	v_add_co_u32 v5, vcc_lo, s54, v5
	v_add_co_ci_u32_e32 v6, vcc_lo, s55, v6, vcc_lo
	s_delay_alu instid0(VALU_DEP_2) | instskip(NEXT) | instid1(VALU_DEP_2)
	v_add_co_u32 v5, vcc_lo, v5, v9
	v_add_co_ci_u32_e32 v6, vcc_lo, 0, v6, vcc_lo
	s_waitcnt lgkmcnt(0)
	global_store_b64 v[5:6], v[7:8], off
	s_or_b32 exec_lo, exec_lo, s2
	s_and_saveexec_b32 s2, s41
	s_cbranch_execz .LBB171_211
.LBB171_342:
	v_lshlrev_b32_e32 v5, 3, v99
	v_lshlrev_b32_e32 v7, 3, v1
	;; [unrolled: 1-line block ×3, first 2 shown]
	ds_load_b64 v[5:6], v5
	ds_load_b64 v[7:8], v7 offset:34816
	s_waitcnt lgkmcnt(1)
	v_lshlrev_b64 v[5:6], 3, v[5:6]
	s_delay_alu instid0(VALU_DEP_1) | instskip(NEXT) | instid1(VALU_DEP_2)
	v_add_co_u32 v5, vcc_lo, s54, v5
	v_add_co_ci_u32_e32 v6, vcc_lo, s55, v6, vcc_lo
	s_delay_alu instid0(VALU_DEP_2) | instskip(NEXT) | instid1(VALU_DEP_2)
	v_add_co_u32 v5, vcc_lo, v5, v9
	v_add_co_ci_u32_e32 v6, vcc_lo, 0, v6, vcc_lo
	s_waitcnt lgkmcnt(0)
	global_store_b64 v[5:6], v[7:8], off
	s_or_b32 exec_lo, exec_lo, s2
	s_and_saveexec_b32 s2, s42
	s_cbranch_execz .LBB171_212
.LBB171_343:
	v_lshlrev_b32_e32 v5, 3, v98
	v_lshlrev_b32_e32 v7, 3, v1
	;; [unrolled: 1-line block ×3, first 2 shown]
	ds_load_b64 v[5:6], v5
	ds_load_b64 v[7:8], v7 offset:36864
	s_waitcnt lgkmcnt(1)
	v_lshlrev_b64 v[5:6], 3, v[5:6]
	s_delay_alu instid0(VALU_DEP_1) | instskip(NEXT) | instid1(VALU_DEP_2)
	v_add_co_u32 v5, vcc_lo, s54, v5
	v_add_co_ci_u32_e32 v6, vcc_lo, s55, v6, vcc_lo
	s_delay_alu instid0(VALU_DEP_2) | instskip(NEXT) | instid1(VALU_DEP_2)
	v_add_co_u32 v5, vcc_lo, v5, v9
	v_add_co_ci_u32_e32 v6, vcc_lo, 0, v6, vcc_lo
	s_waitcnt lgkmcnt(0)
	global_store_b64 v[5:6], v[7:8], off
	s_or_b32 exec_lo, exec_lo, s2
	s_and_saveexec_b32 s2, s43
	s_cbranch_execz .LBB171_213
.LBB171_344:
	v_lshlrev_b32_e32 v5, 3, v97
	v_lshlrev_b32_e32 v7, 3, v1
	;; [unrolled: 1-line block ×3, first 2 shown]
	ds_load_b64 v[5:6], v5
	ds_load_b64 v[7:8], v7 offset:38912
	s_waitcnt lgkmcnt(1)
	v_lshlrev_b64 v[5:6], 3, v[5:6]
	s_delay_alu instid0(VALU_DEP_1) | instskip(NEXT) | instid1(VALU_DEP_2)
	v_add_co_u32 v5, vcc_lo, s54, v5
	v_add_co_ci_u32_e32 v6, vcc_lo, s55, v6, vcc_lo
	s_delay_alu instid0(VALU_DEP_2) | instskip(NEXT) | instid1(VALU_DEP_2)
	v_add_co_u32 v5, vcc_lo, v5, v9
	v_add_co_ci_u32_e32 v6, vcc_lo, 0, v6, vcc_lo
	s_waitcnt lgkmcnt(0)
	global_store_b64 v[5:6], v[7:8], off
	s_or_b32 exec_lo, exec_lo, s2
	s_and_saveexec_b32 s2, s44
	s_cbranch_execz .LBB171_214
.LBB171_345:
	v_lshlrev_b32_e32 v5, 3, v96
	v_lshlrev_b32_e32 v7, 3, v1
	v_lshlrev_b32_e32 v9, 3, v93
	ds_load_b64 v[5:6], v5
	ds_load_b64 v[7:8], v7 offset:40960
	s_waitcnt lgkmcnt(1)
	v_lshlrev_b64 v[5:6], 3, v[5:6]
	s_delay_alu instid0(VALU_DEP_1) | instskip(NEXT) | instid1(VALU_DEP_2)
	v_add_co_u32 v5, vcc_lo, s54, v5
	v_add_co_ci_u32_e32 v6, vcc_lo, s55, v6, vcc_lo
	s_delay_alu instid0(VALU_DEP_2) | instskip(NEXT) | instid1(VALU_DEP_2)
	v_add_co_u32 v5, vcc_lo, v5, v9
	v_add_co_ci_u32_e32 v6, vcc_lo, 0, v6, vcc_lo
	s_waitcnt lgkmcnt(0)
	global_store_b64 v[5:6], v[7:8], off
	s_or_b32 exec_lo, exec_lo, s2
	s_and_saveexec_b32 s2, s45
	s_cbranch_execz .LBB171_215
.LBB171_346:
	v_lshlrev_b32_e32 v5, 3, v50
	v_lshlrev_b32_e32 v7, 3, v1
	;; [unrolled: 1-line block ×3, first 2 shown]
	ds_load_b64 v[5:6], v5
	ds_load_b64 v[7:8], v7 offset:43008
	s_waitcnt lgkmcnt(1)
	v_lshlrev_b64 v[5:6], 3, v[5:6]
	s_delay_alu instid0(VALU_DEP_1) | instskip(NEXT) | instid1(VALU_DEP_2)
	v_add_co_u32 v5, vcc_lo, s54, v5
	v_add_co_ci_u32_e32 v6, vcc_lo, s55, v6, vcc_lo
	s_delay_alu instid0(VALU_DEP_2) | instskip(NEXT) | instid1(VALU_DEP_2)
	v_add_co_u32 v5, vcc_lo, v5, v9
	v_add_co_ci_u32_e32 v6, vcc_lo, 0, v6, vcc_lo
	s_waitcnt lgkmcnt(0)
	global_store_b64 v[5:6], v[7:8], off
	s_or_b32 exec_lo, exec_lo, s2
	s_and_saveexec_b32 s2, s46
	s_cbranch_execnz .LBB171_216
	s_branch .LBB171_217
	.section	.rodata,"a",@progbits
	.p2align	6, 0x0
	.amdhsa_kernel _ZN7rocprim17ROCPRIM_304000_NS6detail25onesweep_iteration_kernelINS1_34wrapped_radix_sort_onesweep_configINS0_14default_configEbN2at4cuda3cub6detail10OpaqueTypeILi8EEEEELb1EPbSC_PSA_SD_mNS0_19identity_decomposerEEEvT1_T2_T3_T4_jPT5_SK_PNS1_23onesweep_lookback_stateET6_jjj
		.amdhsa_group_segment_fixed_size 47104
		.amdhsa_private_segment_fixed_size 0
		.amdhsa_kernarg_size 336
		.amdhsa_user_sgpr_count 15
		.amdhsa_user_sgpr_dispatch_ptr 0
		.amdhsa_user_sgpr_queue_ptr 0
		.amdhsa_user_sgpr_kernarg_segment_ptr 1
		.amdhsa_user_sgpr_dispatch_id 0
		.amdhsa_user_sgpr_private_segment_size 0
		.amdhsa_wavefront_size32 1
		.amdhsa_uses_dynamic_stack 0
		.amdhsa_enable_private_segment 0
		.amdhsa_system_sgpr_workgroup_id_x 1
		.amdhsa_system_sgpr_workgroup_id_y 0
		.amdhsa_system_sgpr_workgroup_id_z 0
		.amdhsa_system_sgpr_workgroup_info 0
		.amdhsa_system_vgpr_workitem_id 2
		.amdhsa_next_free_vgpr 183
		.amdhsa_next_free_sgpr 72
		.amdhsa_reserve_vcc 1
		.amdhsa_float_round_mode_32 0
		.amdhsa_float_round_mode_16_64 0
		.amdhsa_float_denorm_mode_32 3
		.amdhsa_float_denorm_mode_16_64 3
		.amdhsa_dx10_clamp 1
		.amdhsa_ieee_mode 1
		.amdhsa_fp16_overflow 0
		.amdhsa_workgroup_processor_mode 1
		.amdhsa_memory_ordered 1
		.amdhsa_forward_progress 0
		.amdhsa_shared_vgpr_count 0
		.amdhsa_exception_fp_ieee_invalid_op 0
		.amdhsa_exception_fp_denorm_src 0
		.amdhsa_exception_fp_ieee_div_zero 0
		.amdhsa_exception_fp_ieee_overflow 0
		.amdhsa_exception_fp_ieee_underflow 0
		.amdhsa_exception_fp_ieee_inexact 0
		.amdhsa_exception_int_div_zero 0
	.end_amdhsa_kernel
	.section	.text._ZN7rocprim17ROCPRIM_304000_NS6detail25onesweep_iteration_kernelINS1_34wrapped_radix_sort_onesweep_configINS0_14default_configEbN2at4cuda3cub6detail10OpaqueTypeILi8EEEEELb1EPbSC_PSA_SD_mNS0_19identity_decomposerEEEvT1_T2_T3_T4_jPT5_SK_PNS1_23onesweep_lookback_stateET6_jjj,"axG",@progbits,_ZN7rocprim17ROCPRIM_304000_NS6detail25onesweep_iteration_kernelINS1_34wrapped_radix_sort_onesweep_configINS0_14default_configEbN2at4cuda3cub6detail10OpaqueTypeILi8EEEEELb1EPbSC_PSA_SD_mNS0_19identity_decomposerEEEvT1_T2_T3_T4_jPT5_SK_PNS1_23onesweep_lookback_stateET6_jjj,comdat
.Lfunc_end171:
	.size	_ZN7rocprim17ROCPRIM_304000_NS6detail25onesweep_iteration_kernelINS1_34wrapped_radix_sort_onesweep_configINS0_14default_configEbN2at4cuda3cub6detail10OpaqueTypeILi8EEEEELb1EPbSC_PSA_SD_mNS0_19identity_decomposerEEEvT1_T2_T3_T4_jPT5_SK_PNS1_23onesweep_lookback_stateET6_jjj, .Lfunc_end171-_ZN7rocprim17ROCPRIM_304000_NS6detail25onesweep_iteration_kernelINS1_34wrapped_radix_sort_onesweep_configINS0_14default_configEbN2at4cuda3cub6detail10OpaqueTypeILi8EEEEELb1EPbSC_PSA_SD_mNS0_19identity_decomposerEEEvT1_T2_T3_T4_jPT5_SK_PNS1_23onesweep_lookback_stateET6_jjj
                                        ; -- End function
	.section	.AMDGPU.csdata,"",@progbits
; Kernel info:
; codeLenInByte = 23752
; NumSgprs: 74
; NumVgprs: 183
; ScratchSize: 0
; MemoryBound: 0
; FloatMode: 240
; IeeeMode: 1
; LDSByteSize: 47104 bytes/workgroup (compile time only)
; SGPRBlocks: 9
; VGPRBlocks: 22
; NumSGPRsForWavesPerEU: 74
; NumVGPRsForWavesPerEU: 183
; Occupancy: 4
; WaveLimiterHint : 1
; COMPUTE_PGM_RSRC2:SCRATCH_EN: 0
; COMPUTE_PGM_RSRC2:USER_SGPR: 15
; COMPUTE_PGM_RSRC2:TRAP_HANDLER: 0
; COMPUTE_PGM_RSRC2:TGID_X_EN: 1
; COMPUTE_PGM_RSRC2:TGID_Y_EN: 0
; COMPUTE_PGM_RSRC2:TGID_Z_EN: 0
; COMPUTE_PGM_RSRC2:TIDIG_COMP_CNT: 2
	.section	.text._ZN7rocprim17ROCPRIM_304000_NS6detail28radix_sort_block_sort_kernelINS1_36wrapped_radix_sort_block_sort_configINS0_13kernel_configILj256ELj4ELj4294967295EEEbN2at4cuda3cub6detail10OpaqueTypeILi8EEEEELb0EPKbPbPKSB_PSB_NS0_19identity_decomposerEEEvT1_T2_T3_T4_jT5_jj,"axG",@progbits,_ZN7rocprim17ROCPRIM_304000_NS6detail28radix_sort_block_sort_kernelINS1_36wrapped_radix_sort_block_sort_configINS0_13kernel_configILj256ELj4ELj4294967295EEEbN2at4cuda3cub6detail10OpaqueTypeILi8EEEEELb0EPKbPbPKSB_PSB_NS0_19identity_decomposerEEEvT1_T2_T3_T4_jT5_jj,comdat
	.protected	_ZN7rocprim17ROCPRIM_304000_NS6detail28radix_sort_block_sort_kernelINS1_36wrapped_radix_sort_block_sort_configINS0_13kernel_configILj256ELj4ELj4294967295EEEbN2at4cuda3cub6detail10OpaqueTypeILi8EEEEELb0EPKbPbPKSB_PSB_NS0_19identity_decomposerEEEvT1_T2_T3_T4_jT5_jj ; -- Begin function _ZN7rocprim17ROCPRIM_304000_NS6detail28radix_sort_block_sort_kernelINS1_36wrapped_radix_sort_block_sort_configINS0_13kernel_configILj256ELj4ELj4294967295EEEbN2at4cuda3cub6detail10OpaqueTypeILi8EEEEELb0EPKbPbPKSB_PSB_NS0_19identity_decomposerEEEvT1_T2_T3_T4_jT5_jj
	.globl	_ZN7rocprim17ROCPRIM_304000_NS6detail28radix_sort_block_sort_kernelINS1_36wrapped_radix_sort_block_sort_configINS0_13kernel_configILj256ELj4ELj4294967295EEEbN2at4cuda3cub6detail10OpaqueTypeILi8EEEEELb0EPKbPbPKSB_PSB_NS0_19identity_decomposerEEEvT1_T2_T3_T4_jT5_jj
	.p2align	8
	.type	_ZN7rocprim17ROCPRIM_304000_NS6detail28radix_sort_block_sort_kernelINS1_36wrapped_radix_sort_block_sort_configINS0_13kernel_configILj256ELj4ELj4294967295EEEbN2at4cuda3cub6detail10OpaqueTypeILi8EEEEELb0EPKbPbPKSB_PSB_NS0_19identity_decomposerEEEvT1_T2_T3_T4_jT5_jj,@function
_ZN7rocprim17ROCPRIM_304000_NS6detail28radix_sort_block_sort_kernelINS1_36wrapped_radix_sort_block_sort_configINS0_13kernel_configILj256ELj4ELj4294967295EEEbN2at4cuda3cub6detail10OpaqueTypeILi8EEEEELb0EPKbPbPKSB_PSB_NS0_19identity_decomposerEEEvT1_T2_T3_T4_jT5_jj: ; @_ZN7rocprim17ROCPRIM_304000_NS6detail28radix_sort_block_sort_kernelINS1_36wrapped_radix_sort_block_sort_configINS0_13kernel_configILj256ELj4ELj4294967295EEEbN2at4cuda3cub6detail10OpaqueTypeILi8EEEEELb0EPKbPbPKSB_PSB_NS0_19identity_decomposerEEEvT1_T2_T3_T4_jT5_jj
; %bb.0:
	s_clause 0x1
	s_load_b32 s2, s[0:1], 0x20
	s_load_b256 s[16:23], s[0:1], 0x0
	v_and_b32_e32 v8, 0x3ff, v0
	v_mbcnt_lo_u32_b32 v7, -1, 0
	s_lshl_b32 s24, s15, 10
	s_mov_b32 s25, 0
	s_delay_alu instid0(VALU_DEP_2) | instskip(NEXT) | instid1(VALU_DEP_2)
	v_lshlrev_b32_e32 v1, 2, v8
	v_lshlrev_b32_e32 v12, 3, v7
	s_delay_alu instid0(VALU_DEP_2) | instskip(NEXT) | instid1(VALU_DEP_1)
	v_and_b32_e32 v14, 0x380, v1
	v_lshlrev_b32_e32 v13, 3, v14
	v_add_nc_u32_e32 v11, v7, v14
	s_waitcnt lgkmcnt(0)
	s_lshr_b32 s3, s2, 10
	s_delay_alu instid0(SALU_CYCLE_1) | instskip(SKIP_4) | instid1(VALU_DEP_1)
	s_cmp_lg_u32 s15, s3
	s_cselect_b32 s26, -1, 0
	s_add_u32 s4, s16, s24
	s_addc_u32 s5, s17, 0
	v_add_co_u32 v1, s4, s4, v7
	v_add_co_ci_u32_e64 v2, null, s5, 0, s4
	s_cmp_eq_u32 s15, s3
	s_delay_alu instid0(VALU_DEP_2) | instskip(NEXT) | instid1(VALU_DEP_2)
	v_add_co_u32 v9, vcc_lo, v1, v14
	v_add_co_ci_u32_e32 v10, vcc_lo, 0, v2, vcc_lo
	s_mov_b32 s3, -1
	s_cbranch_scc1 .LBB172_2
; %bb.1:
	s_lshl_b64 s[4:5], s[24:25], 3
	v_add_nc_u32_e32 v32, v7, v14
	s_add_u32 s3, s20, s4
	s_addc_u32 s4, s21, s5
	v_add_co_u32 v1, s3, s3, v12
	s_delay_alu instid0(VALU_DEP_1) | instskip(SKIP_1) | instid1(VALU_DEP_3)
	v_add_co_ci_u32_e64 v2, null, s4, 0, s3
	v_add_nc_u32_e32 v29, 32, v32
	v_add_co_u32 v15, vcc_lo, v1, v13
	s_delay_alu instid0(VALU_DEP_3)
	v_add_co_ci_u32_e32 v16, vcc_lo, 0, v2, vcc_lo
	s_clause 0x3
	global_load_u8 v27, v[9:10], off offset:96
	global_load_u8 v28, v[9:10], off offset:64
	;; [unrolled: 1-line block ×3, first 2 shown]
	global_load_u8 v25, v[9:10], off
	s_clause 0x3
	global_load_b64 v[1:2], v[15:16], off
	global_load_b64 v[3:4], v[15:16], off offset:256
	global_load_b64 v[5:6], v[15:16], off offset:512
	;; [unrolled: 1-line block ×3, first 2 shown]
	v_add_nc_u32_e32 v30, 64, v32
	v_add_nc_u32_e32 v31, 0x60, v32
	s_mov_b32 s3, s25
	s_delay_alu instid0(SALU_CYCLE_1)
	s_and_not1_b32 vcc_lo, exec_lo, s3
	s_sub_i32 s16, s2, s24
	s_cbranch_vccz .LBB172_3
	s_branch .LBB172_17
.LBB172_2:
                                        ; implicit-def: $vgpr25
                                        ; implicit-def: $vgpr26
                                        ; implicit-def: $vgpr28
                                        ; implicit-def: $vgpr27
                                        ; implicit-def: $vgpr1_vgpr2
                                        ; implicit-def: $vgpr3_vgpr4
                                        ; implicit-def: $vgpr5_vgpr6
                                        ; implicit-def: $vgpr21_vgpr22
                                        ; implicit-def: $vgpr32
                                        ; implicit-def: $vgpr29
                                        ; implicit-def: $vgpr30
                                        ; implicit-def: $vgpr31
	s_and_not1_b32 vcc_lo, exec_lo, s3
	s_sub_i32 s16, s2, s24
	s_cbranch_vccnz .LBB172_17
.LBB172_3:
	v_cmp_gt_u32_e32 vcc_lo, s16, v11
	s_waitcnt vmcnt(4)
	v_dual_mov_b32 v25, 1 :: v_dual_mov_b32 v26, 1
	v_dual_mov_b32 v27, 1 :: v_dual_mov_b32 v28, 1
	s_and_saveexec_b32 s2, vcc_lo
	s_cbranch_execz .LBB172_5
; %bb.4:
	global_load_u8 v25, v[9:10], off
	v_dual_mov_b32 v26, 1 :: v_dual_mov_b32 v27, 1
	v_mov_b32_e32 v28, 1
.LBB172_5:
	s_or_b32 exec_lo, exec_lo, s2
	v_add_nc_u32_e32 v29, 32, v11
	s_delay_alu instid0(VALU_DEP_1) | instskip(NEXT) | instid1(VALU_DEP_1)
	v_cmp_gt_u32_e64 s2, s16, v29
	s_and_saveexec_b32 s3, s2
	s_cbranch_execz .LBB172_7
; %bb.6:
	global_load_u8 v26, v[9:10], off offset:32
.LBB172_7:
	s_or_b32 exec_lo, exec_lo, s3
	v_add_nc_u32_e32 v30, 64, v11
	s_delay_alu instid0(VALU_DEP_1) | instskip(NEXT) | instid1(VALU_DEP_1)
	v_cmp_gt_u32_e64 s3, s16, v30
	s_and_saveexec_b32 s4, s3
	s_cbranch_execz .LBB172_9
; %bb.8:
	global_load_u8 v28, v[9:10], off offset:64
.LBB172_9:
	;; [unrolled: 9-line block ×3, first 2 shown]
	s_or_b32 exec_lo, exec_lo, s5
	s_lshl_b64 s[6:7], s[24:25], 3
	s_delay_alu instid0(SALU_CYCLE_1) | instskip(SKIP_3) | instid1(VALU_DEP_1)
	s_add_u32 s5, s20, s6
	s_addc_u32 s6, s21, s7
	s_waitcnt vmcnt(3)
	v_add_co_u32 v1, s5, s5, v12
	v_add_co_ci_u32_e64 v2, null, s6, 0, s5
	s_delay_alu instid0(VALU_DEP_2) | instskip(NEXT) | instid1(VALU_DEP_1)
	v_add_co_u32 v9, s5, v1, v13
	v_add_co_ci_u32_e64 v10, s5, 0, v2, s5
                                        ; implicit-def: $vgpr1_vgpr2
	s_and_saveexec_b32 s5, vcc_lo
	s_cbranch_execnz .LBB172_54
; %bb.12:
	s_or_b32 exec_lo, exec_lo, s5
                                        ; implicit-def: $vgpr3_vgpr4
	s_and_saveexec_b32 s5, s2
	s_cbranch_execnz .LBB172_55
.LBB172_13:
	s_or_b32 exec_lo, exec_lo, s5
                                        ; implicit-def: $vgpr5_vgpr6
	s_and_saveexec_b32 s2, s3
	s_cbranch_execnz .LBB172_56
.LBB172_14:
	s_or_b32 exec_lo, exec_lo, s2
                                        ; implicit-def: $vgpr21_vgpr22
	s_and_saveexec_b32 s2, s4
	s_cbranch_execz .LBB172_16
.LBB172_15:
	global_load_b64 v[21:22], v[9:10], off offset:768
.LBB172_16:
	s_or_b32 exec_lo, exec_lo, s2
	v_mov_b32_e32 v32, v11
.LBB172_17:
	s_clause 0x1
	s_load_b32 s7, s[0:1], 0x3c
	s_load_b64 s[14:15], s[0:1], 0x28
	v_bfe_u32 v9, v0, 10, 10
	v_bfe_u32 v0, v0, 20, 10
	s_mov_b32 s20, 0
	v_cmp_eq_u32_e64 s2, 0, v7
	s_mov_b32 s28, s20
	s_mov_b32 s29, s20
	v_and_b32_e32 v10, 0x3e0, v8
	s_mov_b32 s21, s20
	v_and_b32_e32 v11, 15, v7
	v_and_b32_e32 v12, 16, v7
	v_add_nc_u32_e32 v13, -1, v7
	v_min_u32_e32 v17, 0xe0, v10
	v_lshrrev_b32_e32 v14, 3, v8
	v_and_b32_e32 v16, 7, v7
	v_mul_i32_i24_e32 v15, 0xffffffe4, v8
	v_cmp_gt_u32_e64 s0, 8, v8
	v_cmp_lt_u32_e64 s1, 31, v8
	v_and_b32_e32 v35, 0x7c, v14
	s_waitcnt lgkmcnt(0)
	s_lshr_b32 s6, s7, 16
	s_and_b32 s7, s7, 0xffff
	v_mad_u32_u24 v0, v0, s6, v9
	v_mul_lo_u32 v14, v31, 7
	v_cmp_eq_u32_e64 s3, 0, v8
	v_cmp_eq_u32_e64 s10, 0, v16
	v_cmp_lt_u32_e64 s11, 1, v16
	v_mad_u64_u32 v[9:10], null, v0, s7, v[8:9]
	v_cmp_lt_u32_e64 s12, 3, v16
	v_add_nc_u32_e32 v38, -4, v35
	v_add_nc_u32_e32 v43, v31, v14
	s_add_i32 s17, s15, s14
	s_delay_alu instid0(VALU_DEP_4)
	v_lshrrev_b32_e32 v37, 5, v9
	v_mov_b32_e32 v9, s20
	v_cmp_eq_u32_e64 s8, 0, v12
	v_mov_b32_e32 v10, s21
	v_cmp_eq_u32_e64 s4, 0, v11
	v_cmp_lt_u32_e64 s5, 1, v11
	v_cmp_lt_u32_e64 s6, 3, v11
	v_cmp_lt_u32_e64 s7, 7, v11
	v_dual_mov_b32 v11, s28 :: v_dual_mov_b32 v12, s29
	v_cmp_gt_i32_e32 vcc_lo, 0, v13
	v_dual_cndmask_b32 v0, v13, v7 :: v_dual_lshlrev_b32 v33, 5, v8
	v_or_b32_e32 v7, 31, v17
	v_mul_lo_u32 v13, v30, 7
	s_delay_alu instid0(VALU_DEP_3)
	v_add_nc_u32_e32 v34, 32, v33
	v_add_nc_u32_e32 v39, v33, v15
	v_lshlrev_b32_e32 v36, 2, v0
	v_cmp_eq_u32_e64 s9, v7, v8
	v_mul_lo_u32 v0, v32, 7
	v_mul_lo_u32 v7, v29, 7
	v_add_nc_u32_e32 v42, v30, v13
	s_delay_alu instid0(VALU_DEP_3) | instskip(NEXT) | instid1(VALU_DEP_3)
	v_add_nc_u32_e32 v40, v32, v0
	v_add_nc_u32_e32 v41, v29, v7
	s_branch .LBB172_19
.LBB172_18:                             ;   in Loop: Header=BB172_19 Depth=1
	v_mad_u64_u32 v[1:2], null, v24, 7, v[24:25]
	v_mad_u64_u32 v[2:3], null, v23, 7, v[23:24]
	v_mad_u64_u32 v[3:4], null, v7, 7, v[7:8]
	s_barrier
	buffer_gl0_inv
	v_mad_u64_u32 v[4:5], null, v0, 7, v[0:1]
	ds_store_b8 v24, v25
	ds_store_b8 v23, v26
	;; [unrolled: 1-line block ×4, first 2 shown]
	s_waitcnt lgkmcnt(0)
	s_barrier
	buffer_gl0_inv
	ds_load_u8 v27, v31
	ds_load_u8 v28, v30
	;; [unrolled: 1-line block ×4, first 2 shown]
	s_waitcnt lgkmcnt(0)
	s_barrier
	buffer_gl0_inv
	ds_store_b64 v1, v[19:20]
	ds_store_b64 v2, v[17:18]
	;; [unrolled: 1-line block ×4, first 2 shown]
	s_waitcnt lgkmcnt(0)
	s_barrier
	buffer_gl0_inv
	ds_load_b64 v[1:2], v40
	ds_load_b64 v[3:4], v41
	;; [unrolled: 1-line block ×4, first 2 shown]
	s_add_i32 s15, s15, -8
	s_waitcnt lgkmcnt(0)
	s_barrier
	buffer_gl0_inv
	s_cbranch_execz .LBB172_35
.LBB172_19:                             ; =>This Inner Loop Header: Depth=1
	s_waitcnt vmcnt(0)
	v_and_b32_e32 v0, 0xff, v25
	s_min_u32 s13, s15, 8
	v_dual_mov_b32 v20, v2 :: v_dual_mov_b32 v19, v1
	s_lshl_b32 s13, -1, s13
	s_delay_alu instid0(VALU_DEP_2)
	v_lshrrev_b32_e32 v0, s14, v0
	s_not_b32 s20, s13
	v_dual_mov_b32 v16, v6 :: v_dual_mov_b32 v15, v5
	ds_store_2addr_b64 v33, v[9:10], v[11:12] offset0:4 offset1:5
	ds_store_2addr_b64 v34, v[9:10], v[11:12] offset0:2 offset1:3
	v_dual_mov_b32 v18, v4 :: v_dual_and_b32 v7, s20, v0
	s_waitcnt lgkmcnt(0)
	s_barrier
	buffer_gl0_inv
	v_add_co_u32 v0, s13, v7, -1
	s_delay_alu instid0(VALU_DEP_1) | instskip(SKIP_2) | instid1(VALU_DEP_3)
	v_cndmask_b32_e64 v13, 0, 1, s13
	v_lshl_add_u32 v1, v7, 3, v37
	; wave barrier
	v_mov_b32_e32 v17, v3
	v_cmp_ne_u32_e32 vcc_lo, 0, v13
	v_dual_mov_b32 v13, v21 :: v_dual_mov_b32 v14, v22
	s_delay_alu instid0(VALU_DEP_4) | instskip(SKIP_1) | instid1(VALU_DEP_1)
	v_lshl_add_u32 v22, v1, 2, 32
	v_xor_b32_e32 v0, vcc_lo, v0
	v_and_b32_e32 v0, exec_lo, v0
	s_delay_alu instid0(VALU_DEP_1) | instskip(SKIP_1) | instid1(VALU_DEP_2)
	v_mbcnt_lo_u32_b32 v21, v0, 0
	v_cmp_ne_u32_e64 s13, 0, v0
	v_cmp_eq_u32_e32 vcc_lo, 0, v21
	s_delay_alu instid0(VALU_DEP_2) | instskip(NEXT) | instid1(SALU_CYCLE_1)
	s_and_b32 s21, s13, vcc_lo
	s_and_saveexec_b32 s13, s21
	s_cbranch_execz .LBB172_21
; %bb.20:                               ;   in Loop: Header=BB172_19 Depth=1
	v_bcnt_u32_b32 v0, v0, 0
	ds_store_b32 v22, v0
.LBB172_21:                             ;   in Loop: Header=BB172_19 Depth=1
	s_or_b32 exec_lo, exec_lo, s13
	v_and_b32_e32 v0, 0xff, v26
	; wave barrier
	s_delay_alu instid0(VALU_DEP_1) | instskip(NEXT) | instid1(VALU_DEP_1)
	v_lshrrev_b32_e32 v0, s14, v0
	v_and_b32_e32 v0, s20, v0
	s_delay_alu instid0(VALU_DEP_1) | instskip(NEXT) | instid1(VALU_DEP_1)
	v_add_co_u32 v1, s13, v0, -1
	v_cndmask_b32_e64 v2, 0, 1, s13
	v_lshlrev_b32_e32 v0, 3, v0
	s_delay_alu instid0(VALU_DEP_2) | instskip(NEXT) | instid1(VALU_DEP_2)
	v_cmp_ne_u32_e32 vcc_lo, 0, v2
	v_add_lshl_u32 v2, v0, v37, 2
	v_xor_b32_e32 v0, vcc_lo, v1
	ds_load_b32 v23, v2 offset:32
	v_add_nc_u32_e32 v24, 32, v2
	; wave barrier
	v_and_b32_e32 v0, exec_lo, v0
	s_delay_alu instid0(VALU_DEP_1) | instskip(SKIP_1) | instid1(VALU_DEP_2)
	v_mbcnt_lo_u32_b32 v44, v0, 0
	v_cmp_ne_u32_e64 s13, 0, v0
	v_cmp_eq_u32_e32 vcc_lo, 0, v44
	s_delay_alu instid0(VALU_DEP_2) | instskip(NEXT) | instid1(SALU_CYCLE_1)
	s_and_b32 s21, s13, vcc_lo
	s_and_saveexec_b32 s13, s21
	s_cbranch_execz .LBB172_23
; %bb.22:                               ;   in Loop: Header=BB172_19 Depth=1
	s_waitcnt lgkmcnt(0)
	v_bcnt_u32_b32 v0, v0, v23
	ds_store_b32 v24, v0
.LBB172_23:                             ;   in Loop: Header=BB172_19 Depth=1
	s_or_b32 exec_lo, exec_lo, s13
	v_and_b32_e32 v0, 0xff, v28
	; wave barrier
	s_delay_alu instid0(VALU_DEP_1) | instskip(NEXT) | instid1(VALU_DEP_1)
	v_lshrrev_b32_e32 v0, s14, v0
	v_and_b32_e32 v0, s20, v0
	s_delay_alu instid0(VALU_DEP_1) | instskip(NEXT) | instid1(VALU_DEP_1)
	v_add_co_u32 v1, s13, v0, -1
	v_cndmask_b32_e64 v2, 0, 1, s13
	v_lshlrev_b32_e32 v0, 3, v0
	s_delay_alu instid0(VALU_DEP_2) | instskip(NEXT) | instid1(VALU_DEP_2)
	v_cmp_ne_u32_e32 vcc_lo, 0, v2
	v_add_lshl_u32 v2, v0, v37, 2
	v_xor_b32_e32 v0, vcc_lo, v1
	ds_load_b32 v45, v2 offset:32
	v_add_nc_u32_e32 v47, 32, v2
	; wave barrier
	v_and_b32_e32 v0, exec_lo, v0
	s_delay_alu instid0(VALU_DEP_1) | instskip(SKIP_1) | instid1(VALU_DEP_2)
	v_mbcnt_lo_u32_b32 v46, v0, 0
	v_cmp_ne_u32_e64 s13, 0, v0
	v_cmp_eq_u32_e32 vcc_lo, 0, v46
	s_delay_alu instid0(VALU_DEP_2) | instskip(NEXT) | instid1(SALU_CYCLE_1)
	s_and_b32 s21, s13, vcc_lo
	s_and_saveexec_b32 s13, s21
	s_cbranch_execz .LBB172_25
; %bb.24:                               ;   in Loop: Header=BB172_19 Depth=1
	s_waitcnt lgkmcnt(0)
	v_bcnt_u32_b32 v0, v0, v45
	ds_store_b32 v47, v0
.LBB172_25:                             ;   in Loop: Header=BB172_19 Depth=1
	;; [unrolled: 31-line block ×3, first 2 shown]
	s_or_b32 exec_lo, exec_lo, s13
	; wave barrier
	s_waitcnt lgkmcnt(0)
	s_barrier
	buffer_gl0_inv
	ds_load_2addr_b64 v[4:7], v33 offset0:4 offset1:5
	ds_load_2addr_b64 v[0:3], v34 offset0:2 offset1:3
	s_waitcnt lgkmcnt(1)
	v_add_nc_u32_e32 v51, v5, v4
	s_delay_alu instid0(VALU_DEP_1) | instskip(SKIP_1) | instid1(VALU_DEP_1)
	v_add3_u32 v51, v51, v6, v7
	s_waitcnt lgkmcnt(0)
	v_add3_u32 v51, v51, v0, v1
	s_delay_alu instid0(VALU_DEP_1) | instskip(NEXT) | instid1(VALU_DEP_1)
	v_add3_u32 v3, v51, v2, v3
	v_mov_b32_dpp v51, v3 row_shr:1 row_mask:0xf bank_mask:0xf
	s_delay_alu instid0(VALU_DEP_1) | instskip(NEXT) | instid1(VALU_DEP_1)
	v_cndmask_b32_e64 v51, v51, 0, s4
	v_add_nc_u32_e32 v3, v51, v3
	s_delay_alu instid0(VALU_DEP_1) | instskip(NEXT) | instid1(VALU_DEP_1)
	v_mov_b32_dpp v51, v3 row_shr:2 row_mask:0xf bank_mask:0xf
	v_cndmask_b32_e64 v51, 0, v51, s5
	s_delay_alu instid0(VALU_DEP_1) | instskip(NEXT) | instid1(VALU_DEP_1)
	v_add_nc_u32_e32 v3, v3, v51
	v_mov_b32_dpp v51, v3 row_shr:4 row_mask:0xf bank_mask:0xf
	s_delay_alu instid0(VALU_DEP_1) | instskip(NEXT) | instid1(VALU_DEP_1)
	v_cndmask_b32_e64 v51, 0, v51, s6
	v_add_nc_u32_e32 v3, v3, v51
	s_delay_alu instid0(VALU_DEP_1) | instskip(NEXT) | instid1(VALU_DEP_1)
	v_mov_b32_dpp v51, v3 row_shr:8 row_mask:0xf bank_mask:0xf
	v_cndmask_b32_e64 v51, 0, v51, s7
	s_delay_alu instid0(VALU_DEP_1) | instskip(SKIP_3) | instid1(VALU_DEP_1)
	v_add_nc_u32_e32 v3, v3, v51
	ds_swizzle_b32 v51, v3 offset:swizzle(BROADCAST,32,15)
	s_waitcnt lgkmcnt(0)
	v_cndmask_b32_e64 v51, v51, 0, s8
	v_add_nc_u32_e32 v3, v3, v51
	s_and_saveexec_b32 s13, s9
	s_cbranch_execz .LBB172_29
; %bb.28:                               ;   in Loop: Header=BB172_19 Depth=1
	ds_store_b32 v35, v3
.LBB172_29:                             ;   in Loop: Header=BB172_19 Depth=1
	s_or_b32 exec_lo, exec_lo, s13
	s_waitcnt lgkmcnt(0)
	s_barrier
	buffer_gl0_inv
	s_and_saveexec_b32 s13, s0
	s_cbranch_execz .LBB172_31
; %bb.30:                               ;   in Loop: Header=BB172_19 Depth=1
	ds_load_b32 v51, v39
	s_waitcnt lgkmcnt(0)
	v_mov_b32_dpp v52, v51 row_shr:1 row_mask:0xf bank_mask:0xf
	s_delay_alu instid0(VALU_DEP_1) | instskip(NEXT) | instid1(VALU_DEP_1)
	v_cndmask_b32_e64 v52, v52, 0, s10
	v_add_nc_u32_e32 v51, v52, v51
	s_delay_alu instid0(VALU_DEP_1) | instskip(NEXT) | instid1(VALU_DEP_1)
	v_mov_b32_dpp v52, v51 row_shr:2 row_mask:0xf bank_mask:0xf
	v_cndmask_b32_e64 v52, 0, v52, s11
	s_delay_alu instid0(VALU_DEP_1) | instskip(NEXT) | instid1(VALU_DEP_1)
	v_add_nc_u32_e32 v51, v51, v52
	v_mov_b32_dpp v52, v51 row_shr:4 row_mask:0xf bank_mask:0xf
	s_delay_alu instid0(VALU_DEP_1) | instskip(NEXT) | instid1(VALU_DEP_1)
	v_cndmask_b32_e64 v52, 0, v52, s12
	v_add_nc_u32_e32 v51, v51, v52
	ds_store_b32 v39, v51
.LBB172_31:                             ;   in Loop: Header=BB172_19 Depth=1
	s_or_b32 exec_lo, exec_lo, s13
	v_mov_b32_e32 v51, 0
	s_waitcnt lgkmcnt(0)
	s_barrier
	buffer_gl0_inv
	s_and_saveexec_b32 s13, s1
	s_cbranch_execz .LBB172_33
; %bb.32:                               ;   in Loop: Header=BB172_19 Depth=1
	ds_load_b32 v51, v38
.LBB172_33:                             ;   in Loop: Header=BB172_19 Depth=1
	s_or_b32 exec_lo, exec_lo, s13
	s_waitcnt lgkmcnt(0)
	v_add_nc_u32_e32 v3, v51, v3
	s_add_i32 s14, s14, 8
	s_delay_alu instid0(SALU_CYCLE_1) | instskip(SKIP_3) | instid1(VALU_DEP_1)
	s_cmp_ge_u32 s14, s17
	ds_bpermute_b32 v3, v36, v3
	s_waitcnt lgkmcnt(0)
	v_cndmask_b32_e64 v3, v3, v51, s2
	v_cndmask_b32_e64 v3, v3, 0, s3
	s_delay_alu instid0(VALU_DEP_1) | instskip(NEXT) | instid1(VALU_DEP_1)
	v_add_nc_u32_e32 v4, v3, v4
	v_add_nc_u32_e32 v5, v4, v5
	s_delay_alu instid0(VALU_DEP_1) | instskip(NEXT) | instid1(VALU_DEP_1)
	v_add_nc_u32_e32 v6, v5, v6
	v_add_nc_u32_e32 v51, v6, v7
	;; [unrolled: 3-line block ×3, first 2 shown]
	s_delay_alu instid0(VALU_DEP_1)
	v_add_nc_u32_e32 v1, v0, v2
	ds_store_2addr_b64 v33, v[3:4], v[5:6] offset0:4 offset1:5
	ds_store_2addr_b64 v34, v[51:52], v[0:1] offset0:2 offset1:3
	v_mov_b32_e32 v51, v28
	s_waitcnt lgkmcnt(0)
	s_barrier
	buffer_gl0_inv
	ds_load_b32 v0, v22
	ds_load_b32 v1, v24
	;; [unrolled: 1-line block ×4, first 2 shown]
	v_dual_mov_b32 v47, v25 :: v_dual_mov_b32 v50, v26
	v_mov_b32_e32 v52, v27
	s_waitcnt lgkmcnt(0)
	v_add_nc_u32_e32 v24, v0, v21
	v_add3_u32 v23, v44, v23, v1
	v_add3_u32 v7, v46, v45, v2
	;; [unrolled: 1-line block ×3, first 2 shown]
	s_cbranch_scc0 .LBB172_18
; %bb.34:
                                        ; implicit-def: $sgpr14
                                        ; implicit-def: $vgpr25
                                        ; implicit-def: $vgpr26
                                        ; implicit-def: $vgpr28
                                        ; implicit-def: $vgpr27
                                        ; implicit-def: $vgpr1_vgpr2
                                        ; implicit-def: $vgpr3_vgpr4
                                        ; implicit-def: $vgpr5_vgpr6
                                        ; implicit-def: $vgpr21_vgpr22
.LBB172_35:
	s_barrier
	buffer_gl0_inv
	ds_store_b8 v24, v47
	ds_store_b8 v23, v50
	;; [unrolled: 1-line block ×4, first 2 shown]
	s_waitcnt lgkmcnt(0)
	s_barrier
	buffer_gl0_inv
	ds_load_u8 v25, v8
	ds_load_u8 v22, v8 offset:256
	ds_load_u8 v21, v8 offset:512
	;; [unrolled: 1-line block ×3, first 2 shown]
	s_waitcnt lgkmcnt(0)
	s_barrier
	buffer_gl0_inv
	s_add_u32 s0, s18, s24
	s_addc_u32 s1, s19, 0
	v_add_co_u32 v9, s0, s0, v8
	s_delay_alu instid0(VALU_DEP_1)
	v_add_co_ci_u32_e64 v10, null, s1, 0, s0
	v_lshlrev_b32_e32 v11, 3, v8
	s_mov_b32 s2, 0
	s_and_not1_b32 vcc_lo, exec_lo, s26
	s_mov_b32 s0, -1
	v_mad_u64_u32 v[1:2], null, v24, 7, v[24:25]
	v_mad_u64_u32 v[2:3], null, v23, 7, v[23:24]
	;; [unrolled: 1-line block ×3, first 2 shown]
	ds_store_b64 v1, v[19:20]
	ds_store_b64 v2, v[17:18]
	;; [unrolled: 1-line block ×3, first 2 shown]
	v_mad_u64_u32 v[4:5], null, v0, 7, v[0:1]
	v_mad_u32_u24 v0, v8, 7, v8
	ds_store_b64 v4, v[13:14]
	s_waitcnt lgkmcnt(0)
	s_barrier
	buffer_gl0_inv
	ds_load_2addr_stride64_b64 v[4:7], v0 offset1:4
	ds_load_2addr_stride64_b64 v[0:3], v0 offset0:8 offset1:12
	s_cbranch_vccz .LBB172_39
; %bb.36:
	s_and_not1_b32 vcc_lo, exec_lo, s0
	s_cbranch_vccz .LBB172_40
.LBB172_37:
	s_and_saveexec_b32 s0, s2
	s_cbranch_execnz .LBB172_53
.LBB172_38:
	s_nop 0
	s_sendmsg sendmsg(MSG_DEALLOC_VGPRS)
	s_endpgm
.LBB172_39:
	s_lshl_b64 s[0:1], s[24:25], 3
	s_mov_b32 s2, -1
	s_add_u32 s4, s22, s0
	s_addc_u32 s5, s23, s1
	v_add_co_u32 v13, s0, s4, v11
	s_delay_alu instid0(VALU_DEP_1) | instskip(NEXT) | instid1(VALU_DEP_2)
	v_add_co_ci_u32_e64 v14, null, s5, 0, s0
	v_add_co_u32 v13, vcc_lo, 0x1000, v13
	s_delay_alu instid0(VALU_DEP_2)
	v_add_co_ci_u32_e32 v14, vcc_lo, 0, v14, vcc_lo
	s_clause 0x3
	global_store_b8 v[9:10], v25, off
	global_store_b8 v[9:10], v22, off offset:256
	global_store_b8 v[9:10], v21, off offset:512
	;; [unrolled: 1-line block ×3, first 2 shown]
	s_waitcnt lgkmcnt(1)
	s_clause 0x1
	global_store_b64 v11, v[6:7], s[4:5] offset:2048
	global_store_b64 v11, v[4:5], s[4:5]
	s_waitcnt lgkmcnt(0)
	global_store_b64 v[13:14], v[0:1], off
	s_cbranch_execnz .LBB172_37
.LBB172_40:
	v_cmp_gt_u32_e32 vcc_lo, s16, v8
	s_and_saveexec_b32 s0, vcc_lo
	s_cbranch_execz .LBB172_42
; %bb.41:
	global_store_b8 v[9:10], v25, off
.LBB172_42:
	s_or_b32 exec_lo, exec_lo, s0
	v_add_nc_u32_e32 v13, 0x100, v8
	s_delay_alu instid0(VALU_DEP_1) | instskip(NEXT) | instid1(VALU_DEP_1)
	v_cmp_gt_u32_e64 s0, s16, v13
	s_and_saveexec_b32 s1, s0
	s_cbranch_execz .LBB172_44
; %bb.43:
	global_store_b8 v[9:10], v22, off offset:256
.LBB172_44:
	s_or_b32 exec_lo, exec_lo, s1
	v_add_nc_u32_e32 v13, 0x200, v8
	s_delay_alu instid0(VALU_DEP_1) | instskip(NEXT) | instid1(VALU_DEP_1)
	v_cmp_gt_u32_e64 s1, s16, v13
	s_and_saveexec_b32 s2, s1
	s_cbranch_execz .LBB172_46
; %bb.45:
	global_store_b8 v[9:10], v21, off offset:512
.LBB172_46:
	;; [unrolled: 9-line block ×3, first 2 shown]
	s_or_b32 exec_lo, exec_lo, s3
	s_lshl_b64 s[4:5], s[24:25], 3
	s_delay_alu instid0(SALU_CYCLE_1) | instskip(SKIP_2) | instid1(VALU_DEP_1)
	s_add_u32 s3, s22, s4
	s_addc_u32 s4, s23, s5
	v_add_co_u32 v8, s3, s3, v11
	v_add_co_ci_u32_e64 v9, null, s4, 0, s3
	s_and_saveexec_b32 s3, vcc_lo
	s_cbranch_execnz .LBB172_57
; %bb.49:
	s_or_b32 exec_lo, exec_lo, s3
	s_and_saveexec_b32 s3, s0
	s_cbranch_execnz .LBB172_58
.LBB172_50:
	s_or_b32 exec_lo, exec_lo, s3
	s_and_saveexec_b32 s0, s1
	s_cbranch_execz .LBB172_52
.LBB172_51:
	s_waitcnt lgkmcnt(1)
	v_add_co_u32 v4, vcc_lo, 0x1000, v8
	v_add_co_ci_u32_e32 v5, vcc_lo, 0, v9, vcc_lo
	s_waitcnt lgkmcnt(0)
	global_store_b64 v[4:5], v[0:1], off
.LBB172_52:
	s_or_b32 exec_lo, exec_lo, s0
	s_and_saveexec_b32 s0, s2
	s_cbranch_execz .LBB172_38
.LBB172_53:
	s_lshl_b64 s[0:1], s[24:25], 3
	s_delay_alu instid0(SALU_CYCLE_1) | instskip(SKIP_3) | instid1(VALU_DEP_1)
	s_add_u32 s0, s22, s0
	s_addc_u32 s1, s23, s1
	s_waitcnt lgkmcnt(0)
	v_add_co_u32 v0, s0, s0, v11
	v_add_co_ci_u32_e64 v1, null, s1, 0, s0
	s_delay_alu instid0(VALU_DEP_2) | instskip(NEXT) | instid1(VALU_DEP_2)
	v_add_co_u32 v0, vcc_lo, 0x1000, v0
	v_add_co_ci_u32_e32 v1, vcc_lo, 0, v1, vcc_lo
	global_store_b64 v[0:1], v[2:3], off offset:2048
	s_nop 0
	s_sendmsg sendmsg(MSG_DEALLOC_VGPRS)
	s_endpgm
.LBB172_54:
	global_load_b64 v[1:2], v[9:10], off
	s_or_b32 exec_lo, exec_lo, s5
                                        ; implicit-def: $vgpr3_vgpr4
	s_and_saveexec_b32 s5, s2
	s_cbranch_execz .LBB172_13
.LBB172_55:
	global_load_b64 v[3:4], v[9:10], off offset:256
	s_or_b32 exec_lo, exec_lo, s5
                                        ; implicit-def: $vgpr5_vgpr6
	s_and_saveexec_b32 s2, s3
	s_cbranch_execz .LBB172_14
.LBB172_56:
	global_load_b64 v[5:6], v[9:10], off offset:512
	s_or_b32 exec_lo, exec_lo, s2
                                        ; implicit-def: $vgpr21_vgpr22
	s_and_saveexec_b32 s2, s4
	s_cbranch_execnz .LBB172_15
	s_branch .LBB172_16
.LBB172_57:
	s_waitcnt lgkmcnt(1)
	global_store_b64 v[8:9], v[4:5], off
	s_or_b32 exec_lo, exec_lo, s3
	s_and_saveexec_b32 s3, s0
	s_cbranch_execz .LBB172_50
.LBB172_58:
	s_waitcnt lgkmcnt(1)
	global_store_b64 v[8:9], v[6:7], off offset:2048
	s_or_b32 exec_lo, exec_lo, s3
	s_and_saveexec_b32 s0, s1
	s_cbranch_execnz .LBB172_51
	s_branch .LBB172_52
	.section	.rodata,"a",@progbits
	.p2align	6, 0x0
	.amdhsa_kernel _ZN7rocprim17ROCPRIM_304000_NS6detail28radix_sort_block_sort_kernelINS1_36wrapped_radix_sort_block_sort_configINS0_13kernel_configILj256ELj4ELj4294967295EEEbN2at4cuda3cub6detail10OpaqueTypeILi8EEEEELb0EPKbPbPKSB_PSB_NS0_19identity_decomposerEEEvT1_T2_T3_T4_jT5_jj
		.amdhsa_group_segment_fixed_size 8224
		.amdhsa_private_segment_fixed_size 0
		.amdhsa_kernarg_size 304
		.amdhsa_user_sgpr_count 15
		.amdhsa_user_sgpr_dispatch_ptr 0
		.amdhsa_user_sgpr_queue_ptr 0
		.amdhsa_user_sgpr_kernarg_segment_ptr 1
		.amdhsa_user_sgpr_dispatch_id 0
		.amdhsa_user_sgpr_private_segment_size 0
		.amdhsa_wavefront_size32 1
		.amdhsa_uses_dynamic_stack 0
		.amdhsa_enable_private_segment 0
		.amdhsa_system_sgpr_workgroup_id_x 1
		.amdhsa_system_sgpr_workgroup_id_y 0
		.amdhsa_system_sgpr_workgroup_id_z 0
		.amdhsa_system_sgpr_workgroup_info 0
		.amdhsa_system_vgpr_workitem_id 2
		.amdhsa_next_free_vgpr 53
		.amdhsa_next_free_sgpr 30
		.amdhsa_reserve_vcc 1
		.amdhsa_float_round_mode_32 0
		.amdhsa_float_round_mode_16_64 0
		.amdhsa_float_denorm_mode_32 3
		.amdhsa_float_denorm_mode_16_64 3
		.amdhsa_dx10_clamp 1
		.amdhsa_ieee_mode 1
		.amdhsa_fp16_overflow 0
		.amdhsa_workgroup_processor_mode 1
		.amdhsa_memory_ordered 1
		.amdhsa_forward_progress 0
		.amdhsa_shared_vgpr_count 0
		.amdhsa_exception_fp_ieee_invalid_op 0
		.amdhsa_exception_fp_denorm_src 0
		.amdhsa_exception_fp_ieee_div_zero 0
		.amdhsa_exception_fp_ieee_overflow 0
		.amdhsa_exception_fp_ieee_underflow 0
		.amdhsa_exception_fp_ieee_inexact 0
		.amdhsa_exception_int_div_zero 0
	.end_amdhsa_kernel
	.section	.text._ZN7rocprim17ROCPRIM_304000_NS6detail28radix_sort_block_sort_kernelINS1_36wrapped_radix_sort_block_sort_configINS0_13kernel_configILj256ELj4ELj4294967295EEEbN2at4cuda3cub6detail10OpaqueTypeILi8EEEEELb0EPKbPbPKSB_PSB_NS0_19identity_decomposerEEEvT1_T2_T3_T4_jT5_jj,"axG",@progbits,_ZN7rocprim17ROCPRIM_304000_NS6detail28radix_sort_block_sort_kernelINS1_36wrapped_radix_sort_block_sort_configINS0_13kernel_configILj256ELj4ELj4294967295EEEbN2at4cuda3cub6detail10OpaqueTypeILi8EEEEELb0EPKbPbPKSB_PSB_NS0_19identity_decomposerEEEvT1_T2_T3_T4_jT5_jj,comdat
.Lfunc_end172:
	.size	_ZN7rocprim17ROCPRIM_304000_NS6detail28radix_sort_block_sort_kernelINS1_36wrapped_radix_sort_block_sort_configINS0_13kernel_configILj256ELj4ELj4294967295EEEbN2at4cuda3cub6detail10OpaqueTypeILi8EEEEELb0EPKbPbPKSB_PSB_NS0_19identity_decomposerEEEvT1_T2_T3_T4_jT5_jj, .Lfunc_end172-_ZN7rocprim17ROCPRIM_304000_NS6detail28radix_sort_block_sort_kernelINS1_36wrapped_radix_sort_block_sort_configINS0_13kernel_configILj256ELj4ELj4294967295EEEbN2at4cuda3cub6detail10OpaqueTypeILi8EEEEELb0EPKbPbPKSB_PSB_NS0_19identity_decomposerEEEvT1_T2_T3_T4_jT5_jj
                                        ; -- End function
	.section	.AMDGPU.csdata,"",@progbits
; Kernel info:
; codeLenInByte = 3316
; NumSgprs: 32
; NumVgprs: 53
; ScratchSize: 0
; MemoryBound: 0
; FloatMode: 240
; IeeeMode: 1
; LDSByteSize: 8224 bytes/workgroup (compile time only)
; SGPRBlocks: 3
; VGPRBlocks: 6
; NumSGPRsForWavesPerEU: 32
; NumVGPRsForWavesPerEU: 53
; Occupancy: 16
; WaveLimiterHint : 1
; COMPUTE_PGM_RSRC2:SCRATCH_EN: 0
; COMPUTE_PGM_RSRC2:USER_SGPR: 15
; COMPUTE_PGM_RSRC2:TRAP_HANDLER: 0
; COMPUTE_PGM_RSRC2:TGID_X_EN: 1
; COMPUTE_PGM_RSRC2:TGID_Y_EN: 0
; COMPUTE_PGM_RSRC2:TGID_Z_EN: 0
; COMPUTE_PGM_RSRC2:TIDIG_COMP_CNT: 2
	.section	.text._ZN7rocprim17ROCPRIM_304000_NS6detail45device_block_merge_mergepath_partition_kernelINS1_37wrapped_merge_sort_block_merge_configINS0_14default_configEbN2at4cuda3cub6detail10OpaqueTypeILi8EEEEEPbjNS1_19radix_merge_compareILb0ELb0EbNS0_19identity_decomposerEEEEEvT0_T1_jPSH_T2_SH_,"axG",@progbits,_ZN7rocprim17ROCPRIM_304000_NS6detail45device_block_merge_mergepath_partition_kernelINS1_37wrapped_merge_sort_block_merge_configINS0_14default_configEbN2at4cuda3cub6detail10OpaqueTypeILi8EEEEEPbjNS1_19radix_merge_compareILb0ELb0EbNS0_19identity_decomposerEEEEEvT0_T1_jPSH_T2_SH_,comdat
	.protected	_ZN7rocprim17ROCPRIM_304000_NS6detail45device_block_merge_mergepath_partition_kernelINS1_37wrapped_merge_sort_block_merge_configINS0_14default_configEbN2at4cuda3cub6detail10OpaqueTypeILi8EEEEEPbjNS1_19radix_merge_compareILb0ELb0EbNS0_19identity_decomposerEEEEEvT0_T1_jPSH_T2_SH_ ; -- Begin function _ZN7rocprim17ROCPRIM_304000_NS6detail45device_block_merge_mergepath_partition_kernelINS1_37wrapped_merge_sort_block_merge_configINS0_14default_configEbN2at4cuda3cub6detail10OpaqueTypeILi8EEEEEPbjNS1_19radix_merge_compareILb0ELb0EbNS0_19identity_decomposerEEEEEvT0_T1_jPSH_T2_SH_
	.globl	_ZN7rocprim17ROCPRIM_304000_NS6detail45device_block_merge_mergepath_partition_kernelINS1_37wrapped_merge_sort_block_merge_configINS0_14default_configEbN2at4cuda3cub6detail10OpaqueTypeILi8EEEEEPbjNS1_19radix_merge_compareILb0ELb0EbNS0_19identity_decomposerEEEEEvT0_T1_jPSH_T2_SH_
	.p2align	8
	.type	_ZN7rocprim17ROCPRIM_304000_NS6detail45device_block_merge_mergepath_partition_kernelINS1_37wrapped_merge_sort_block_merge_configINS0_14default_configEbN2at4cuda3cub6detail10OpaqueTypeILi8EEEEEPbjNS1_19radix_merge_compareILb0ELb0EbNS0_19identity_decomposerEEEEEvT0_T1_jPSH_T2_SH_,@function
_ZN7rocprim17ROCPRIM_304000_NS6detail45device_block_merge_mergepath_partition_kernelINS1_37wrapped_merge_sort_block_merge_configINS0_14default_configEbN2at4cuda3cub6detail10OpaqueTypeILi8EEEEEPbjNS1_19radix_merge_compareILb0ELb0EbNS0_19identity_decomposerEEEEEvT0_T1_jPSH_T2_SH_: ; @_ZN7rocprim17ROCPRIM_304000_NS6detail45device_block_merge_mergepath_partition_kernelINS1_37wrapped_merge_sort_block_merge_configINS0_14default_configEbN2at4cuda3cub6detail10OpaqueTypeILi8EEEEEPbjNS1_19radix_merge_compareILb0ELb0EbNS0_19identity_decomposerEEEEEvT0_T1_jPSH_T2_SH_
; %bb.0:
	s_load_b64 s[2:3], s[0:1], 0x8
	v_lshl_or_b32 v0, s15, 7, v0
	s_waitcnt lgkmcnt(0)
	s_delay_alu instid0(VALU_DEP_1)
	v_cmp_gt_u32_e32 vcc_lo, s3, v0
	s_and_saveexec_b32 s3, vcc_lo
	s_cbranch_execz .LBB173_6
; %bb.1:
	s_load_b32 s3, s[0:1], 0x1c
	s_waitcnt lgkmcnt(0)
	s_lshr_b32 s4, s3, 9
	s_delay_alu instid0(SALU_CYCLE_1) | instskip(NEXT) | instid1(SALU_CYCLE_1)
	s_and_b32 s4, s4, 0x7ffffe
	s_sub_i32 s5, 0, s4
	s_add_i32 s4, s4, -1
	v_and_b32_e32 v1, s5, v0
	v_and_b32_e32 v4, s4, v0
	s_delay_alu instid0(VALU_DEP_2) | instskip(NEXT) | instid1(VALU_DEP_1)
	v_lshlrev_b32_e32 v1, 10, v1
	v_add_nc_u32_e32 v2, s3, v1
	s_delay_alu instid0(VALU_DEP_1) | instskip(SKIP_1) | instid1(VALU_DEP_2)
	v_min_u32_e32 v7, s2, v2
	v_min_u32_e32 v2, s2, v1
	v_add_nc_u32_e32 v3, s3, v7
	s_delay_alu instid0(VALU_DEP_1) | instskip(SKIP_2) | instid1(VALU_DEP_2)
	v_min_u32_e32 v1, s2, v3
	v_lshlrev_b32_e32 v3, 10, v4
	s_mov_b32 s2, exec_lo
	v_sub_nc_u32_e32 v4, v1, v2
	v_sub_nc_u32_e32 v5, v1, v7
	s_delay_alu instid0(VALU_DEP_2) | instskip(SKIP_1) | instid1(VALU_DEP_2)
	v_min_u32_e32 v1, v4, v3
	v_sub_nc_u32_e32 v4, v7, v2
	v_sub_nc_u32_e64 v3, v1, v5 clamp
	s_delay_alu instid0(VALU_DEP_2) | instskip(NEXT) | instid1(VALU_DEP_1)
	v_min_u32_e32 v4, v1, v4
	v_cmpx_lt_u32_e64 v3, v4
	s_cbranch_execz .LBB173_5
; %bb.2:
	s_load_b64 s[4:5], s[0:1], 0x0
	s_waitcnt lgkmcnt(0)
	v_add_co_u32 v5, s3, s4, v2
	s_delay_alu instid0(VALU_DEP_1) | instskip(SKIP_1) | instid1(VALU_DEP_1)
	v_add_co_ci_u32_e64 v6, null, s5, 0, s3
	v_add_co_u32 v7, s3, s4, v7
	v_add_co_ci_u32_e64 v8, null, s5, 0, s3
	s_mov_b32 s3, 0
	.p2align	6
.LBB173_3:                              ; =>This Inner Loop Header: Depth=1
	v_add_nc_u32_e32 v9, v4, v3
	s_delay_alu instid0(VALU_DEP_1) | instskip(NEXT) | instid1(VALU_DEP_1)
	v_lshrrev_b32_e32 v13, 1, v9
	v_xad_u32 v11, v13, -1, v1
	v_add_co_u32 v9, vcc_lo, v5, v13
	v_add_co_ci_u32_e32 v10, vcc_lo, 0, v6, vcc_lo
	s_delay_alu instid0(VALU_DEP_3)
	v_add_co_u32 v11, vcc_lo, v7, v11
	v_add_co_ci_u32_e32 v12, vcc_lo, 0, v8, vcc_lo
	s_clause 0x1
	global_load_u8 v9, v[9:10], off
	global_load_u8 v10, v[11:12], off
	v_add_nc_u32_e32 v11, 1, v13
	s_waitcnt vmcnt(0)
	v_cmp_gt_u16_e32 vcc_lo, v9, v10
	s_delay_alu instid0(VALU_DEP_2) | instskip(NEXT) | instid1(VALU_DEP_1)
	v_dual_cndmask_b32 v4, v4, v13 :: v_dual_cndmask_b32 v3, v11, v3
	v_cmp_ge_u32_e32 vcc_lo, v3, v4
	s_or_b32 s3, vcc_lo, s3
	s_delay_alu instid0(SALU_CYCLE_1)
	s_and_not1_b32 exec_lo, exec_lo, s3
	s_cbranch_execnz .LBB173_3
; %bb.4:
	s_or_b32 exec_lo, exec_lo, s3
.LBB173_5:
	s_delay_alu instid0(SALU_CYCLE_1) | instskip(SKIP_2) | instid1(VALU_DEP_1)
	s_or_b32 exec_lo, exec_lo, s2
	s_load_b64 s[0:1], s[0:1], 0x10
	v_dual_mov_b32 v1, 0 :: v_dual_add_nc_u32 v2, v3, v2
	v_lshlrev_b64 v[0:1], 2, v[0:1]
	s_waitcnt lgkmcnt(0)
	s_delay_alu instid0(VALU_DEP_1) | instskip(NEXT) | instid1(VALU_DEP_2)
	v_add_co_u32 v0, vcc_lo, s0, v0
	v_add_co_ci_u32_e32 v1, vcc_lo, s1, v1, vcc_lo
	global_store_b32 v[0:1], v2, off
.LBB173_6:
	s_nop 0
	s_sendmsg sendmsg(MSG_DEALLOC_VGPRS)
	s_endpgm
	.section	.rodata,"a",@progbits
	.p2align	6, 0x0
	.amdhsa_kernel _ZN7rocprim17ROCPRIM_304000_NS6detail45device_block_merge_mergepath_partition_kernelINS1_37wrapped_merge_sort_block_merge_configINS0_14default_configEbN2at4cuda3cub6detail10OpaqueTypeILi8EEEEEPbjNS1_19radix_merge_compareILb0ELb0EbNS0_19identity_decomposerEEEEEvT0_T1_jPSH_T2_SH_
		.amdhsa_group_segment_fixed_size 0
		.amdhsa_private_segment_fixed_size 0
		.amdhsa_kernarg_size 32
		.amdhsa_user_sgpr_count 15
		.amdhsa_user_sgpr_dispatch_ptr 0
		.amdhsa_user_sgpr_queue_ptr 0
		.amdhsa_user_sgpr_kernarg_segment_ptr 1
		.amdhsa_user_sgpr_dispatch_id 0
		.amdhsa_user_sgpr_private_segment_size 0
		.amdhsa_wavefront_size32 1
		.amdhsa_uses_dynamic_stack 0
		.amdhsa_enable_private_segment 0
		.amdhsa_system_sgpr_workgroup_id_x 1
		.amdhsa_system_sgpr_workgroup_id_y 0
		.amdhsa_system_sgpr_workgroup_id_z 0
		.amdhsa_system_sgpr_workgroup_info 0
		.amdhsa_system_vgpr_workitem_id 0
		.amdhsa_next_free_vgpr 14
		.amdhsa_next_free_sgpr 16
		.amdhsa_reserve_vcc 1
		.amdhsa_float_round_mode_32 0
		.amdhsa_float_round_mode_16_64 0
		.amdhsa_float_denorm_mode_32 3
		.amdhsa_float_denorm_mode_16_64 3
		.amdhsa_dx10_clamp 1
		.amdhsa_ieee_mode 1
		.amdhsa_fp16_overflow 0
		.amdhsa_workgroup_processor_mode 1
		.amdhsa_memory_ordered 1
		.amdhsa_forward_progress 0
		.amdhsa_shared_vgpr_count 0
		.amdhsa_exception_fp_ieee_invalid_op 0
		.amdhsa_exception_fp_denorm_src 0
		.amdhsa_exception_fp_ieee_div_zero 0
		.amdhsa_exception_fp_ieee_overflow 0
		.amdhsa_exception_fp_ieee_underflow 0
		.amdhsa_exception_fp_ieee_inexact 0
		.amdhsa_exception_int_div_zero 0
	.end_amdhsa_kernel
	.section	.text._ZN7rocprim17ROCPRIM_304000_NS6detail45device_block_merge_mergepath_partition_kernelINS1_37wrapped_merge_sort_block_merge_configINS0_14default_configEbN2at4cuda3cub6detail10OpaqueTypeILi8EEEEEPbjNS1_19radix_merge_compareILb0ELb0EbNS0_19identity_decomposerEEEEEvT0_T1_jPSH_T2_SH_,"axG",@progbits,_ZN7rocprim17ROCPRIM_304000_NS6detail45device_block_merge_mergepath_partition_kernelINS1_37wrapped_merge_sort_block_merge_configINS0_14default_configEbN2at4cuda3cub6detail10OpaqueTypeILi8EEEEEPbjNS1_19radix_merge_compareILb0ELb0EbNS0_19identity_decomposerEEEEEvT0_T1_jPSH_T2_SH_,comdat
.Lfunc_end173:
	.size	_ZN7rocprim17ROCPRIM_304000_NS6detail45device_block_merge_mergepath_partition_kernelINS1_37wrapped_merge_sort_block_merge_configINS0_14default_configEbN2at4cuda3cub6detail10OpaqueTypeILi8EEEEEPbjNS1_19radix_merge_compareILb0ELb0EbNS0_19identity_decomposerEEEEEvT0_T1_jPSH_T2_SH_, .Lfunc_end173-_ZN7rocprim17ROCPRIM_304000_NS6detail45device_block_merge_mergepath_partition_kernelINS1_37wrapped_merge_sort_block_merge_configINS0_14default_configEbN2at4cuda3cub6detail10OpaqueTypeILi8EEEEEPbjNS1_19radix_merge_compareILb0ELb0EbNS0_19identity_decomposerEEEEEvT0_T1_jPSH_T2_SH_
                                        ; -- End function
	.section	.AMDGPU.csdata,"",@progbits
; Kernel info:
; codeLenInByte = 412
; NumSgprs: 18
; NumVgprs: 14
; ScratchSize: 0
; MemoryBound: 0
; FloatMode: 240
; IeeeMode: 1
; LDSByteSize: 0 bytes/workgroup (compile time only)
; SGPRBlocks: 2
; VGPRBlocks: 1
; NumSGPRsForWavesPerEU: 18
; NumVGPRsForWavesPerEU: 14
; Occupancy: 16
; WaveLimiterHint : 0
; COMPUTE_PGM_RSRC2:SCRATCH_EN: 0
; COMPUTE_PGM_RSRC2:USER_SGPR: 15
; COMPUTE_PGM_RSRC2:TRAP_HANDLER: 0
; COMPUTE_PGM_RSRC2:TGID_X_EN: 1
; COMPUTE_PGM_RSRC2:TGID_Y_EN: 0
; COMPUTE_PGM_RSRC2:TGID_Z_EN: 0
; COMPUTE_PGM_RSRC2:TIDIG_COMP_CNT: 0
	.section	.text._ZN7rocprim17ROCPRIM_304000_NS6detail35device_block_merge_mergepath_kernelINS1_37wrapped_merge_sort_block_merge_configINS0_14default_configEbN2at4cuda3cub6detail10OpaqueTypeILi8EEEEEPbSC_PSA_SD_jNS1_19radix_merge_compareILb0ELb0EbNS0_19identity_decomposerEEEEEvT0_T1_T2_T3_T4_SL_jT5_PKSL_NS1_7vsmem_tE,"axG",@progbits,_ZN7rocprim17ROCPRIM_304000_NS6detail35device_block_merge_mergepath_kernelINS1_37wrapped_merge_sort_block_merge_configINS0_14default_configEbN2at4cuda3cub6detail10OpaqueTypeILi8EEEEEPbSC_PSA_SD_jNS1_19radix_merge_compareILb0ELb0EbNS0_19identity_decomposerEEEEEvT0_T1_T2_T3_T4_SL_jT5_PKSL_NS1_7vsmem_tE,comdat
	.protected	_ZN7rocprim17ROCPRIM_304000_NS6detail35device_block_merge_mergepath_kernelINS1_37wrapped_merge_sort_block_merge_configINS0_14default_configEbN2at4cuda3cub6detail10OpaqueTypeILi8EEEEEPbSC_PSA_SD_jNS1_19radix_merge_compareILb0ELb0EbNS0_19identity_decomposerEEEEEvT0_T1_T2_T3_T4_SL_jT5_PKSL_NS1_7vsmem_tE ; -- Begin function _ZN7rocprim17ROCPRIM_304000_NS6detail35device_block_merge_mergepath_kernelINS1_37wrapped_merge_sort_block_merge_configINS0_14default_configEbN2at4cuda3cub6detail10OpaqueTypeILi8EEEEEPbSC_PSA_SD_jNS1_19radix_merge_compareILb0ELb0EbNS0_19identity_decomposerEEEEEvT0_T1_T2_T3_T4_SL_jT5_PKSL_NS1_7vsmem_tE
	.globl	_ZN7rocprim17ROCPRIM_304000_NS6detail35device_block_merge_mergepath_kernelINS1_37wrapped_merge_sort_block_merge_configINS0_14default_configEbN2at4cuda3cub6detail10OpaqueTypeILi8EEEEEPbSC_PSA_SD_jNS1_19radix_merge_compareILb0ELb0EbNS0_19identity_decomposerEEEEEvT0_T1_T2_T3_T4_SL_jT5_PKSL_NS1_7vsmem_tE
	.p2align	8
	.type	_ZN7rocprim17ROCPRIM_304000_NS6detail35device_block_merge_mergepath_kernelINS1_37wrapped_merge_sort_block_merge_configINS0_14default_configEbN2at4cuda3cub6detail10OpaqueTypeILi8EEEEEPbSC_PSA_SD_jNS1_19radix_merge_compareILb0ELb0EbNS0_19identity_decomposerEEEEEvT0_T1_T2_T3_T4_SL_jT5_PKSL_NS1_7vsmem_tE,@function
_ZN7rocprim17ROCPRIM_304000_NS6detail35device_block_merge_mergepath_kernelINS1_37wrapped_merge_sort_block_merge_configINS0_14default_configEbN2at4cuda3cub6detail10OpaqueTypeILi8EEEEEPbSC_PSA_SD_jNS1_19radix_merge_compareILb0ELb0EbNS0_19identity_decomposerEEEEEvT0_T1_T2_T3_T4_SL_jT5_PKSL_NS1_7vsmem_tE: ; @_ZN7rocprim17ROCPRIM_304000_NS6detail35device_block_merge_mergepath_kernelINS1_37wrapped_merge_sort_block_merge_configINS0_14default_configEbN2at4cuda3cub6detail10OpaqueTypeILi8EEEEEPbSC_PSA_SD_jNS1_19radix_merge_compareILb0ELb0EbNS0_19identity_decomposerEEEEEvT0_T1_T2_T3_T4_SL_jT5_PKSL_NS1_7vsmem_tE
; %bb.0:
	s_clause 0x1
	s_load_b64 s[22:23], s[0:1], 0x40
	s_load_b128 s[16:19], s[0:1], 0x20
	s_add_u32 s20, s0, 64
	s_addc_u32 s21, s1, 0
	s_waitcnt lgkmcnt(0)
	s_mul_i32 s2, s23, s15
	s_delay_alu instid0(SALU_CYCLE_1) | instskip(NEXT) | instid1(SALU_CYCLE_1)
	s_add_i32 s2, s2, s14
	s_mul_i32 s2, s2, s22
	s_delay_alu instid0(SALU_CYCLE_1) | instskip(NEXT) | instid1(SALU_CYCLE_1)
	s_add_i32 s2, s2, s13
	s_cmp_ge_u32 s2, s18
	s_cbranch_scc1 .LBB174_53
; %bb.1:
	v_mov_b32_e32 v1, 0
	s_load_b64 s[4:5], s[0:1], 0x30
	s_lshr_b32 s26, s16, 10
	s_mov_b32 s15, 0
	s_cmp_lg_u32 s2, s26
	global_load_b32 v2, v1, s[20:21] offset:14
	s_mov_b32 s3, s15
	s_cselect_b32 s18, -1, 0
	s_lshl_b64 s[6:7], s[2:3], 2
	s_waitcnt lgkmcnt(0)
	s_add_u32 s4, s4, s6
	s_addc_u32 s5, s5, s7
	s_lshr_b32 s3, s17, 9
	s_load_b64 s[24:25], s[4:5], 0x0
	s_and_b32 s3, s3, 0x7ffffe
	s_load_b256 s[4:11], s[0:1], 0x0
	s_sub_i32 s0, 0, s3
	s_lshl_b32 s3, s2, 10
	s_and_b32 s1, s2, s0
	s_or_b32 s0, s2, s0
	s_lshl_b32 s12, s1, 11
	s_lshl_b32 s1, s1, 10
	s_add_i32 s12, s12, s17
	s_sub_i32 s14, s3, s1
	s_sub_i32 s1, s12, s1
	s_add_i32 s12, s12, s14
	s_min_u32 s14, s16, s1
	s_add_i32 s1, s1, s17
	s_waitcnt lgkmcnt(0)
	s_sub_i32 s17, s12, s24
	s_sub_i32 s19, s12, s25
	s_min_u32 s12, s16, s17
	s_addk_i32 s19, 0x400
	s_cmp_eq_u32 s0, -1
	s_cselect_b32 s0, s1, s19
	s_cselect_b32 s1, s14, s25
	s_min_u32 s0, s0, s16
	s_sub_i32 s17, s1, s24
	s_sub_i32 s19, s0, s12
	s_add_u32 s23, s4, s24
	s_mov_b32 s14, s24
	s_addc_u32 s24, s5, 0
	s_add_u32 s0, s4, s12
	s_addc_u32 s1, s5, 0
	s_cmp_lt_u32 s13, s22
	v_cmp_gt_u32_e32 vcc_lo, s17, v0
	s_cselect_b32 s4, 12, 18
	s_mov_b32 s13, s15
	s_add_u32 s4, s20, s4
	s_addc_u32 s5, s21, 0
	s_cmp_eq_u32 s2, s26
	s_waitcnt vmcnt(0)
	v_lshrrev_b32_e32 v3, 16, v2
	v_and_b32_e32 v2, 0xffff, v2
	global_load_u16 v1, v1, s[4:5]
	s_mov_b32 s5, -1
	v_mul_lo_u32 v2, v2, v3
	s_waitcnt vmcnt(0)
	s_delay_alu instid0(VALU_DEP_1) | instskip(NEXT) | instid1(VALU_DEP_1)
	v_mul_lo_u32 v2, v2, v1
	v_add_nc_u32_e32 v1, v2, v0
	s_cbranch_scc1 .LBB174_4
; %bb.2:
	v_cndmask_b32_e64 v3, s17, 0, vcc_lo
	v_dual_mov_b32 v4, s23 :: v_dual_mov_b32 v5, s24
	s_add_i32 s2, s19, s17
	s_delay_alu instid0(VALU_DEP_2) | instskip(NEXT) | instid1(VALU_DEP_2)
	v_sub_nc_u32_e32 v3, v0, v3
	v_cndmask_b32_e32 v4, s0, v4, vcc_lo
	s_delay_alu instid0(VALU_DEP_3) | instskip(SKIP_1) | instid1(VALU_DEP_2)
	v_dual_cndmask_b32 v5, s1, v5 :: v_dual_add_nc_u32 v2, v2, v0
	s_mov_b32 s4, -1
	v_add_co_u32 v3, vcc_lo, v4, v3
	s_delay_alu instid0(VALU_DEP_2)
	v_add_co_ci_u32_e32 v4, vcc_lo, 0, v5, vcc_lo
	global_load_u8 v5, v[3:4], off
	s_cbranch_execz .LBB174_5
.LBB174_3:
	v_dual_mov_b32 v1, v2 :: v_dual_mov_b32 v8, s2
                                        ; implicit-def: $vgpr7
	s_and_saveexec_b32 s5, s4
	s_cbranch_execnz .LBB174_8
	s_branch .LBB174_9
.LBB174_4:
	s_mov_b32 s4, s15
                                        ; implicit-def: $vgpr2
                                        ; implicit-def: $vgpr5
                                        ; implicit-def: $sgpr2
	s_and_not1_b32 vcc_lo, exec_lo, s5
	s_cbranch_vccnz .LBB174_3
.LBB174_5:
	s_add_i32 s2, s19, s17
	s_mov_b32 s4, exec_lo
                                        ; implicit-def: $vgpr5
	v_cmpx_gt_u32_e64 s2, v0
	s_cbranch_execz .LBB174_7
; %bb.6:
	v_dual_mov_b32 v2, s24 :: v_dual_mov_b32 v3, s23
	v_cmp_gt_u32_e32 vcc_lo, s17, v0
	s_delay_alu instid0(VALU_DEP_2) | instskip(SKIP_1) | instid1(VALU_DEP_4)
	v_cndmask_b32_e32 v4, s1, v2, vcc_lo
	v_cndmask_b32_e64 v2, s17, 0, vcc_lo
	v_cndmask_b32_e32 v3, s0, v3, vcc_lo
	s_delay_alu instid0(VALU_DEP_2) | instskip(NEXT) | instid1(VALU_DEP_1)
	v_sub_nc_u32_e32 v2, v0, v2
	v_add_co_u32 v2, vcc_lo, v3, v2
	v_add_co_ci_u32_e32 v3, vcc_lo, 0, v4, vcc_lo
	global_load_u8 v5, v[2:3], off
.LBB174_7:
	s_or_b32 exec_lo, exec_lo, s4
	v_cmp_gt_u32_e64 s4, s2, v1
	v_mov_b32_e32 v8, s2
                                        ; implicit-def: $vgpr7
	s_delay_alu instid0(VALU_DEP_2)
	s_and_saveexec_b32 s5, s4
	s_cbranch_execz .LBB174_9
.LBB174_8:
	s_delay_alu instid0(VALU_DEP_1) | instskip(SKIP_3) | instid1(VALU_DEP_1)
	v_cmp_gt_u32_e32 vcc_lo, s17, v1
	v_dual_mov_b32 v3, s23 :: v_dual_mov_b32 v4, s24
	v_mov_b32_e32 v8, s2
	v_cndmask_b32_e64 v2, s17, 0, vcc_lo
	v_sub_nc_u32_e32 v1, v1, v2
	s_delay_alu instid0(VALU_DEP_4) | instskip(SKIP_1) | instid1(VALU_DEP_2)
	v_cndmask_b32_e32 v2, s0, v3, vcc_lo
	v_cndmask_b32_e32 v3, s1, v4, vcc_lo
	v_add_co_u32 v1, vcc_lo, v2, v1
	s_delay_alu instid0(VALU_DEP_2)
	v_add_co_ci_u32_e32 v2, vcc_lo, 0, v3, vcc_lo
	global_load_u8 v7, v[1:2], off
.LBB174_9:
	s_or_b32 exec_lo, exec_lo, s5
	v_lshlrev_b32_e32 v6, 1, v0
	s_mov_b32 s0, exec_lo
	s_waitcnt vmcnt(0)
	ds_store_b8 v0, v5
	ds_store_b8 v0, v7 offset:512
	s_waitcnt lgkmcnt(0)
	s_barrier
	v_min_u32_e32 v2, v8, v6
	buffer_gl0_inv
	v_sub_nc_u32_e64 v1, v2, s19 clamp
	v_min_u32_e32 v3, s17, v2
	s_delay_alu instid0(VALU_DEP_1)
	v_cmpx_lt_u32_e64 v1, v3
	s_cbranch_execz .LBB174_13
; %bb.10:
	v_add_nc_u32_e32 v4, s17, v2
	s_mov_b32 s1, 0
.LBB174_11:                             ; =>This Inner Loop Header: Depth=1
	v_add_nc_u32_e32 v9, v3, v1
	s_delay_alu instid0(VALU_DEP_1) | instskip(NEXT) | instid1(VALU_DEP_1)
	v_lshrrev_b32_e32 v9, 1, v9
	v_xad_u32 v10, v9, -1, v4
	v_add_nc_u32_e32 v12, 1, v9
	ds_load_u8 v11, v9
	ds_load_u8 v10, v10
	s_waitcnt lgkmcnt(0)
	v_cmp_gt_u16_e32 vcc_lo, v11, v10
	v_cndmask_b32_e32 v3, v3, v9, vcc_lo
	v_cndmask_b32_e32 v1, v12, v1, vcc_lo
	s_delay_alu instid0(VALU_DEP_1) | instskip(SKIP_1) | instid1(SALU_CYCLE_1)
	v_cmp_ge_u32_e32 vcc_lo, v1, v3
	s_or_b32 s1, vcc_lo, s1
	s_and_not1_b32 exec_lo, exec_lo, s1
	s_cbranch_execnz .LBB174_11
; %bb.12:
	s_or_b32 exec_lo, exec_lo, s1
.LBB174_13:
	s_delay_alu instid0(SALU_CYCLE_1) | instskip(SKIP_2) | instid1(VALU_DEP_2)
	s_or_b32 exec_lo, exec_lo, s0
	v_sub_nc_u32_e32 v2, v2, v1
	v_cmp_ge_u32_e32 vcc_lo, s17, v1
                                        ; implicit-def: $vgpr10
                                        ; implicit-def: $vgpr11
	v_add_nc_u32_e32 v2, s17, v2
	s_delay_alu instid0(VALU_DEP_1) | instskip(NEXT) | instid1(VALU_DEP_1)
	v_cmp_le_u32_e64 s0, v2, v8
	s_or_b32 s0, vcc_lo, s0
	s_delay_alu instid0(SALU_CYCLE_1)
	s_and_saveexec_b32 s4, s0
	s_cbranch_execz .LBB174_19
; %bb.14:
	v_cmp_gt_u32_e32 vcc_lo, s17, v1
                                        ; implicit-def: $vgpr3
	s_and_saveexec_b32 s0, vcc_lo
	s_cbranch_execz .LBB174_16
; %bb.15:
	ds_load_u8 v3, v1
.LBB174_16:
	s_or_b32 exec_lo, exec_lo, s0
	v_cmp_ge_u32_e64 s0, v2, v8
	s_mov_b32 s2, exec_lo
                                        ; implicit-def: $vgpr4
	v_cmpx_lt_u32_e64 v2, v8
	s_cbranch_execz .LBB174_18
; %bb.17:
	ds_load_u8 v4, v2
.LBB174_18:
	s_or_b32 exec_lo, exec_lo, s2
	s_waitcnt lgkmcnt(0)
	v_and_b32_e32 v5, 0xff, v4
	v_and_b32_e32 v7, 0xff, v3
	s_delay_alu instid0(VALU_DEP_1) | instskip(NEXT) | instid1(VALU_DEP_1)
	v_cmp_le_u16_e64 s1, v7, v5
	s_and_b32 s1, vcc_lo, s1
	s_delay_alu instid0(SALU_CYCLE_1) | instskip(SKIP_2) | instid1(VALU_DEP_2)
	s_or_b32 vcc_lo, s0, s1
	v_cndmask_b32_e32 v11, v2, v1, vcc_lo
	v_cndmask_b32_e64 v5, v8, s17, vcc_lo
	v_add_nc_u32_e32 v7, 1, v11
	s_delay_alu instid0(VALU_DEP_2) | instskip(NEXT) | instid1(VALU_DEP_2)
	v_add_nc_u32_e32 v5, -1, v5
	v_cndmask_b32_e32 v1, v1, v7, vcc_lo
	s_delay_alu instid0(VALU_DEP_2) | instskip(SKIP_1) | instid1(VALU_DEP_3)
	v_min_u32_e32 v5, v7, v5
	v_cndmask_b32_e32 v2, v7, v2, vcc_lo
	v_cmp_gt_u32_e64 s0, s17, v1
	ds_load_u8 v5, v5
	v_cmp_ge_u32_e64 s2, v2, v8
	s_waitcnt lgkmcnt(0)
	v_dual_cndmask_b32 v9, v5, v4 :: v_dual_cndmask_b32 v12, v3, v5
	s_delay_alu instid0(VALU_DEP_1) | instskip(NEXT) | instid1(VALU_DEP_2)
	v_and_b32_e32 v5, 0xff, v9
	v_and_b32_e32 v10, 0xff, v12
	s_delay_alu instid0(VALU_DEP_1) | instskip(SKIP_1) | instid1(VALU_DEP_2)
	v_cmp_le_u16_e64 s1, v10, v5
	v_cndmask_b32_e32 v5, v4, v3, vcc_lo
	s_and_b32 s0, s1, s0
	s_delay_alu instid0(SALU_CYCLE_1)
	s_or_b32 vcc_lo, s2, s0
	v_dual_cndmask_b32 v10, v2, v1 :: v_dual_cndmask_b32 v7, v9, v12
.LBB174_19:
	s_or_b32 exec_lo, exec_lo, s4
	s_lshl_b64 s[0:1], s[14:15], 3
	v_or_b32_e32 v9, 0x200, v0
	s_add_u32 s2, s8, s0
	s_addc_u32 s4, s9, s1
	s_lshl_b64 s[12:13], s[12:13], 3
	v_cmp_gt_u32_e64 s1, s17, v0
	v_cmp_le_u32_e64 s0, s17, v0
	s_add_u32 s8, s8, s12
	s_mov_b32 s5, 0
	s_addc_u32 s9, s9, s13
	s_and_not1_b32 vcc_lo, exec_lo, s18
	s_barrier
	buffer_gl0_inv
	s_cbranch_vccnz .LBB174_21
; %bb.20:
	v_subrev_nc_u32_e32 v1, s17, v0
	v_mov_b32_e32 v2, 0
	v_lshlrev_b32_e32 v14, 3, v0
	s_delay_alu instid0(VALU_DEP_2) | instskip(NEXT) | instid1(VALU_DEP_2)
	v_lshlrev_b64 v[3:4], 3, v[1:2]
	v_add_co_u32 v15, s5, s2, v14
	s_delay_alu instid0(VALU_DEP_1) | instskip(SKIP_1) | instid1(VALU_DEP_3)
	v_add_co_ci_u32_e64 v16, null, s4, 0, s5
	s_mov_b32 s5, -1
	v_add_co_u32 v1, vcc_lo, s8, v3
	s_delay_alu instid0(VALU_DEP_4) | instskip(NEXT) | instid1(VALU_DEP_1)
	v_add_co_ci_u32_e32 v3, vcc_lo, s9, v4, vcc_lo
	v_cndmask_b32_e64 v4, v3, v16, s1
	s_delay_alu instid0(VALU_DEP_3)
	v_cndmask_b32_e64 v3, v1, v15, s1
	v_subrev_nc_u32_e32 v1, s17, v9
	global_load_b64 v[12:13], v[3:4], off
	v_lshlrev_b64 v[1:2], 3, v[1:2]
	v_add_co_u32 v3, vcc_lo, 0x1000, v15
	v_add_co_ci_u32_e32 v4, vcc_lo, 0, v16, vcc_lo
	s_delay_alu instid0(VALU_DEP_3) | instskip(NEXT) | instid1(VALU_DEP_4)
	v_add_co_u32 v1, vcc_lo, s8, v1
	v_add_co_ci_u32_e32 v2, vcc_lo, s9, v2, vcc_lo
	v_cmp_gt_u32_e32 vcc_lo, s17, v9
	s_delay_alu instid0(VALU_DEP_2)
	v_dual_cndmask_b32 v1, v1, v3 :: v_dual_cndmask_b32 v2, v2, v4
	v_or_b32_e32 v4, 0x1000, v14
	s_waitcnt vmcnt(0)
	ds_store_b64 v14, v[12:13]
	s_cbranch_execz .LBB174_22
	s_branch .LBB174_33
.LBB174_21:
                                        ; implicit-def: $vgpr4
                                        ; implicit-def: $vgpr1_vgpr2
.LBB174_22:
	s_mov_b32 s1, 0
                                        ; implicit-def: $vgpr1_vgpr2
	s_and_saveexec_b32 s12, s0
	s_delay_alu instid0(SALU_CYCLE_1)
	s_xor_b32 s0, exec_lo, s12
	s_cbranch_execnz .LBB174_54
; %bb.23:
	s_and_not1_saveexec_b32 s0, s0
	s_cbranch_execnz .LBB174_57
.LBB174_24:
	s_or_b32 exec_lo, exec_lo, s0
	s_and_saveexec_b32 s0, s1
	s_cbranch_execz .LBB174_26
.LBB174_25:
	global_load_b64 v[1:2], v[1:2], off
	v_mad_u32_u24 v3, v0, 7, v0
	s_waitcnt vmcnt(0)
	ds_store_b64 v3, v[1:2]
.LBB174_26:
	s_or_b32 exec_lo, exec_lo, s0
	s_delay_alu instid0(SALU_CYCLE_1)
	s_mov_b32 s0, exec_lo
                                        ; implicit-def: $vgpr4
                                        ; implicit-def: $vgpr1_vgpr2
	v_cmpx_le_u32_e64 s17, v9
	s_xor_b32 s0, exec_lo, s0
	s_cbranch_execz .LBB174_30
; %bb.27:
	v_subrev_nc_u32_e32 v3, s17, v9
	s_mov_b32 s12, s5
	s_mov_b32 s1, exec_lo
                                        ; implicit-def: $vgpr4
                                        ; implicit-def: $vgpr1_vgpr2
	s_delay_alu instid0(VALU_DEP_1)
	v_cmpx_gt_u32_e64 s19, v3
; %bb.28:
	v_mov_b32_e32 v4, 0
	v_mul_u32_u24_e32 v12, 7, v0
	s_or_b32 s12, s5, exec_lo
	s_delay_alu instid0(VALU_DEP_2) | instskip(NEXT) | instid1(VALU_DEP_2)
	v_lshlrev_b64 v[1:2], 3, v[3:4]
	v_add3_u32 v4, v0, v12, 0x1000
	s_delay_alu instid0(VALU_DEP_2) | instskip(NEXT) | instid1(VALU_DEP_3)
	v_add_co_u32 v1, vcc_lo, s8, v1
	v_add_co_ci_u32_e32 v2, vcc_lo, s9, v2, vcc_lo
; %bb.29:
	s_or_b32 exec_lo, exec_lo, s1
	s_delay_alu instid0(SALU_CYCLE_1) | instskip(SKIP_1) | instid1(SALU_CYCLE_1)
	s_and_not1_b32 s1, s5, exec_lo
	s_and_b32 s5, s12, exec_lo
	s_or_b32 s5, s1, s5
.LBB174_30:
	s_and_not1_saveexec_b32 s0, s0
; %bb.31:
	v_lshlrev_b32_e32 v1, 3, v9
	v_mul_u32_u24_e32 v3, 7, v0
	s_or_b32 s5, s5, exec_lo
	s_delay_alu instid0(VALU_DEP_2) | instskip(NEXT) | instid1(VALU_DEP_1)
	v_add_co_u32 v1, s1, s2, v1
	v_add_co_ci_u32_e64 v2, null, s4, 0, s1
	s_delay_alu instid0(VALU_DEP_3)
	v_add3_u32 v4, v0, v3, 0x1000
; %bb.32:
	s_or_b32 exec_lo, exec_lo, s0
.LBB174_33:
	s_and_saveexec_b32 s0, s5
	s_cbranch_execz .LBB174_35
; %bb.34:
	global_load_b64 v[1:2], v[1:2], off
	s_waitcnt vmcnt(0)
	ds_store_b64 v4, v[1:2]
.LBB174_35:
	s_or_b32 exec_lo, exec_lo, s0
	v_add_nc_u32_e32 v1, s3, v6
	s_and_not1_b32 vcc_lo, exec_lo, s18
	s_waitcnt lgkmcnt(0)
	s_barrier
	buffer_gl0_inv
	s_cbranch_vccnz .LBB174_37
; %bb.36:
	v_lshlrev_b32_e32 v2, 3, v11
	s_mov_b32 s0, -1
	ds_load_b64 v[3:4], v2
	v_mov_b32_e32 v2, 0
	s_delay_alu instid0(VALU_DEP_1) | instskip(NEXT) | instid1(VALU_DEP_1)
	v_lshlrev_b64 v[12:13], 3, v[1:2]
	v_add_co_u32 v12, vcc_lo, s10, v12
	s_delay_alu instid0(VALU_DEP_2)
	v_add_co_ci_u32_e32 v13, vcc_lo, s11, v13, vcc_lo
	s_waitcnt lgkmcnt(0)
	global_store_b64 v[12:13], v[3:4], off
	s_cbranch_execz .LBB174_38
	s_branch .LBB174_43
.LBB174_37:
	s_mov_b32 s0, 0
.LBB174_38:
	s_mov_b32 s1, exec_lo
	v_cmpx_lt_u32_e64 v6, v8
	s_cbranch_execz .LBB174_40
; %bb.39:
	v_lshlrev_b32_e32 v2, 3, v11
	ds_load_b64 v[3:4], v2
	v_mov_b32_e32 v2, 0
	s_delay_alu instid0(VALU_DEP_1) | instskip(NEXT) | instid1(VALU_DEP_1)
	v_lshlrev_b64 v[11:12], 3, v[1:2]
	v_add_co_u32 v11, vcc_lo, s10, v11
	s_delay_alu instid0(VALU_DEP_2)
	v_add_co_ci_u32_e32 v12, vcc_lo, s11, v12, vcc_lo
	s_waitcnt lgkmcnt(0)
	global_store_b64 v[11:12], v[3:4], off
.LBB174_40:
	s_or_b32 exec_lo, exec_lo, s1
	v_or_b32_e32 v2, 1, v6
	s_mov_b32 s1, exec_lo
	s_delay_alu instid0(VALU_DEP_1)
	v_cmpx_lt_u32_e64 v2, v8
; %bb.41:
	v_mov_b32_e32 v2, 0
	s_or_b32 s0, s0, exec_lo
; %bb.42:
	s_or_b32 exec_lo, exec_lo, s1
.LBB174_43:
	s_and_saveexec_b32 s1, s0
	s_cbranch_execz .LBB174_45
; %bb.44:
	v_lshlrev_b32_e32 v3, 3, v10
	v_lshlrev_b64 v[1:2], 3, v[1:2]
	ds_load_b64 v[3:4], v3
	v_add_co_u32 v1, vcc_lo, s10, v1
	v_add_co_ci_u32_e32 v2, vcc_lo, s11, v2, vcc_lo
	s_waitcnt lgkmcnt(0)
	global_store_b64 v[1:2], v[3:4], off offset:8
.LBB174_45:
	s_or_b32 exec_lo, exec_lo, s1
	v_lshrrev_b32_e32 v1, 4, v0
	v_and_b32_e32 v2, 0xff, v5
	v_lshlrev_b16 v3, 8, v7
	v_lshrrev_b32_e32 v4, 5, v9
	s_add_u32 s1, s6, s3
	v_and_b32_e32 v1, 28, v1
	s_waitcnt_vscnt null, 0x0
	v_or_b32_e32 v2, v2, v3
	v_lshrrev_b32_e32 v3, 5, v0
	v_and_b32_e32 v4, 28, v4
	v_add_nc_u32_e32 v1, v1, v6
	s_barrier
	buffer_gl0_inv
	s_barrier
	buffer_gl0_inv
	s_addc_u32 s2, s7, 0
	ds_store_b16 v1, v2
	v_add_co_u32 v1, s1, s1, v0
	v_and_b32_e32 v3, 12, v3
	v_add_co_ci_u32_e64 v2, null, s2, 0, s1
	v_add_nc_u32_e32 v5, v0, v4
	s_mov_b32 s0, 0
	s_and_b32 vcc_lo, exec_lo, s18
	s_waitcnt lgkmcnt(0)
	s_cbranch_vccz .LBB174_47
; %bb.46:
	v_add_nc_u32_e32 v4, v0, v3
	s_barrier
	buffer_gl0_inv
	s_mov_b32 s0, -1
	ds_load_u8 v6, v4
	ds_load_u8 v4, v5 offset:512
	s_waitcnt lgkmcnt(1)
	global_store_b8 v[1:2], v6, off
	s_cbranch_execz .LBB174_48
	s_branch .LBB174_51
.LBB174_47:
                                        ; implicit-def: $vgpr4
.LBB174_48:
	s_waitcnt lgkmcnt(0)
	s_waitcnt_vscnt null, 0x0
	s_barrier
	buffer_gl0_inv
	ds_load_u8 v4, v5 offset:512
	s_sub_i32 s0, s16, s3
	s_mov_b32 s1, exec_lo
	v_cmpx_gt_u32_e64 s0, v0
	s_cbranch_execz .LBB174_50
; %bb.49:
	v_add_nc_u32_e32 v0, v0, v3
	ds_load_u8 v0, v0
	s_waitcnt lgkmcnt(0)
	global_store_b8 v[1:2], v0, off
.LBB174_50:
	s_or_b32 exec_lo, exec_lo, s1
	v_cmp_gt_u32_e64 s0, s0, v9
.LBB174_51:
	s_delay_alu instid0(VALU_DEP_1)
	s_and_saveexec_b32 s1, s0
	s_cbranch_execz .LBB174_53
; %bb.52:
	s_waitcnt lgkmcnt(0)
	global_store_b8 v[1:2], v4, off offset:512
.LBB174_53:
	s_nop 0
	s_sendmsg sendmsg(MSG_DEALLOC_VGPRS)
	s_endpgm
.LBB174_54:
	v_subrev_nc_u32_e32 v3, s17, v0
	s_mov_b32 s12, exec_lo
                                        ; implicit-def: $vgpr1_vgpr2
	s_delay_alu instid0(VALU_DEP_1)
	v_cmpx_gt_u32_e64 s19, v3
	s_xor_b32 s12, exec_lo, s12
; %bb.55:
	v_mov_b32_e32 v4, 0
	s_mov_b32 s1, exec_lo
	s_delay_alu instid0(VALU_DEP_1) | instskip(NEXT) | instid1(VALU_DEP_1)
	v_lshlrev_b64 v[1:2], 3, v[3:4]
	v_add_co_u32 v1, vcc_lo, s8, v1
	s_delay_alu instid0(VALU_DEP_2)
	v_add_co_ci_u32_e32 v2, vcc_lo, s9, v2, vcc_lo
; %bb.56:
	s_or_b32 exec_lo, exec_lo, s12
	s_delay_alu instid0(SALU_CYCLE_1)
	s_and_b32 s1, s1, exec_lo
	s_and_not1_saveexec_b32 s0, s0
	s_cbranch_execz .LBB174_24
.LBB174_57:
	v_lshlrev_b32_e32 v1, 3, v0
	s_or_b32 s1, s1, exec_lo
	s_delay_alu instid0(VALU_DEP_1) | instskip(NEXT) | instid1(VALU_DEP_1)
	v_add_co_u32 v1, s12, s2, v1
	v_add_co_ci_u32_e64 v2, null, s4, 0, s12
	s_or_b32 exec_lo, exec_lo, s0
	s_and_saveexec_b32 s0, s1
	s_cbranch_execnz .LBB174_25
	s_branch .LBB174_26
	.section	.rodata,"a",@progbits
	.p2align	6, 0x0
	.amdhsa_kernel _ZN7rocprim17ROCPRIM_304000_NS6detail35device_block_merge_mergepath_kernelINS1_37wrapped_merge_sort_block_merge_configINS0_14default_configEbN2at4cuda3cub6detail10OpaqueTypeILi8EEEEEPbSC_PSA_SD_jNS1_19radix_merge_compareILb0ELb0EbNS0_19identity_decomposerEEEEEvT0_T1_T2_T3_T4_SL_jT5_PKSL_NS1_7vsmem_tE
		.amdhsa_group_segment_fixed_size 8208
		.amdhsa_private_segment_fixed_size 0
		.amdhsa_kernarg_size 320
		.amdhsa_user_sgpr_count 13
		.amdhsa_user_sgpr_dispatch_ptr 0
		.amdhsa_user_sgpr_queue_ptr 0
		.amdhsa_user_sgpr_kernarg_segment_ptr 1
		.amdhsa_user_sgpr_dispatch_id 0
		.amdhsa_user_sgpr_private_segment_size 0
		.amdhsa_wavefront_size32 1
		.amdhsa_uses_dynamic_stack 0
		.amdhsa_enable_private_segment 0
		.amdhsa_system_sgpr_workgroup_id_x 1
		.amdhsa_system_sgpr_workgroup_id_y 1
		.amdhsa_system_sgpr_workgroup_id_z 1
		.amdhsa_system_sgpr_workgroup_info 0
		.amdhsa_system_vgpr_workitem_id 0
		.amdhsa_next_free_vgpr 17
		.amdhsa_next_free_sgpr 27
		.amdhsa_reserve_vcc 1
		.amdhsa_float_round_mode_32 0
		.amdhsa_float_round_mode_16_64 0
		.amdhsa_float_denorm_mode_32 3
		.amdhsa_float_denorm_mode_16_64 3
		.amdhsa_dx10_clamp 1
		.amdhsa_ieee_mode 1
		.amdhsa_fp16_overflow 0
		.amdhsa_workgroup_processor_mode 1
		.amdhsa_memory_ordered 1
		.amdhsa_forward_progress 0
		.amdhsa_shared_vgpr_count 0
		.amdhsa_exception_fp_ieee_invalid_op 0
		.amdhsa_exception_fp_denorm_src 0
		.amdhsa_exception_fp_ieee_div_zero 0
		.amdhsa_exception_fp_ieee_overflow 0
		.amdhsa_exception_fp_ieee_underflow 0
		.amdhsa_exception_fp_ieee_inexact 0
		.amdhsa_exception_int_div_zero 0
	.end_amdhsa_kernel
	.section	.text._ZN7rocprim17ROCPRIM_304000_NS6detail35device_block_merge_mergepath_kernelINS1_37wrapped_merge_sort_block_merge_configINS0_14default_configEbN2at4cuda3cub6detail10OpaqueTypeILi8EEEEEPbSC_PSA_SD_jNS1_19radix_merge_compareILb0ELb0EbNS0_19identity_decomposerEEEEEvT0_T1_T2_T3_T4_SL_jT5_PKSL_NS1_7vsmem_tE,"axG",@progbits,_ZN7rocprim17ROCPRIM_304000_NS6detail35device_block_merge_mergepath_kernelINS1_37wrapped_merge_sort_block_merge_configINS0_14default_configEbN2at4cuda3cub6detail10OpaqueTypeILi8EEEEEPbSC_PSA_SD_jNS1_19radix_merge_compareILb0ELb0EbNS0_19identity_decomposerEEEEEvT0_T1_T2_T3_T4_SL_jT5_PKSL_NS1_7vsmem_tE,comdat
.Lfunc_end174:
	.size	_ZN7rocprim17ROCPRIM_304000_NS6detail35device_block_merge_mergepath_kernelINS1_37wrapped_merge_sort_block_merge_configINS0_14default_configEbN2at4cuda3cub6detail10OpaqueTypeILi8EEEEEPbSC_PSA_SD_jNS1_19radix_merge_compareILb0ELb0EbNS0_19identity_decomposerEEEEEvT0_T1_T2_T3_T4_SL_jT5_PKSL_NS1_7vsmem_tE, .Lfunc_end174-_ZN7rocprim17ROCPRIM_304000_NS6detail35device_block_merge_mergepath_kernelINS1_37wrapped_merge_sort_block_merge_configINS0_14default_configEbN2at4cuda3cub6detail10OpaqueTypeILi8EEEEEPbSC_PSA_SD_jNS1_19radix_merge_compareILb0ELb0EbNS0_19identity_decomposerEEEEEvT0_T1_T2_T3_T4_SL_jT5_PKSL_NS1_7vsmem_tE
                                        ; -- End function
	.section	.AMDGPU.csdata,"",@progbits
; Kernel info:
; codeLenInByte = 2312
; NumSgprs: 29
; NumVgprs: 17
; ScratchSize: 0
; MemoryBound: 1
; FloatMode: 240
; IeeeMode: 1
; LDSByteSize: 8208 bytes/workgroup (compile time only)
; SGPRBlocks: 3
; VGPRBlocks: 2
; NumSGPRsForWavesPerEU: 29
; NumVGPRsForWavesPerEU: 17
; Occupancy: 16
; WaveLimiterHint : 1
; COMPUTE_PGM_RSRC2:SCRATCH_EN: 0
; COMPUTE_PGM_RSRC2:USER_SGPR: 13
; COMPUTE_PGM_RSRC2:TRAP_HANDLER: 0
; COMPUTE_PGM_RSRC2:TGID_X_EN: 1
; COMPUTE_PGM_RSRC2:TGID_Y_EN: 1
; COMPUTE_PGM_RSRC2:TGID_Z_EN: 1
; COMPUTE_PGM_RSRC2:TIDIG_COMP_CNT: 0
	.section	.text._ZN7rocprim17ROCPRIM_304000_NS6detail33device_block_merge_oddeven_kernelINS1_37wrapped_merge_sort_block_merge_configINS0_14default_configEbN2at4cuda3cub6detail10OpaqueTypeILi8EEEEEPbSC_PSA_SD_jNS1_19radix_merge_compareILb0ELb0EbNS0_19identity_decomposerEEEEEvT0_T1_T2_T3_T4_SL_T5_,"axG",@progbits,_ZN7rocprim17ROCPRIM_304000_NS6detail33device_block_merge_oddeven_kernelINS1_37wrapped_merge_sort_block_merge_configINS0_14default_configEbN2at4cuda3cub6detail10OpaqueTypeILi8EEEEEPbSC_PSA_SD_jNS1_19radix_merge_compareILb0ELb0EbNS0_19identity_decomposerEEEEEvT0_T1_T2_T3_T4_SL_T5_,comdat
	.protected	_ZN7rocprim17ROCPRIM_304000_NS6detail33device_block_merge_oddeven_kernelINS1_37wrapped_merge_sort_block_merge_configINS0_14default_configEbN2at4cuda3cub6detail10OpaqueTypeILi8EEEEEPbSC_PSA_SD_jNS1_19radix_merge_compareILb0ELb0EbNS0_19identity_decomposerEEEEEvT0_T1_T2_T3_T4_SL_T5_ ; -- Begin function _ZN7rocprim17ROCPRIM_304000_NS6detail33device_block_merge_oddeven_kernelINS1_37wrapped_merge_sort_block_merge_configINS0_14default_configEbN2at4cuda3cub6detail10OpaqueTypeILi8EEEEEPbSC_PSA_SD_jNS1_19radix_merge_compareILb0ELb0EbNS0_19identity_decomposerEEEEEvT0_T1_T2_T3_T4_SL_T5_
	.globl	_ZN7rocprim17ROCPRIM_304000_NS6detail33device_block_merge_oddeven_kernelINS1_37wrapped_merge_sort_block_merge_configINS0_14default_configEbN2at4cuda3cub6detail10OpaqueTypeILi8EEEEEPbSC_PSA_SD_jNS1_19radix_merge_compareILb0ELb0EbNS0_19identity_decomposerEEEEEvT0_T1_T2_T3_T4_SL_T5_
	.p2align	8
	.type	_ZN7rocprim17ROCPRIM_304000_NS6detail33device_block_merge_oddeven_kernelINS1_37wrapped_merge_sort_block_merge_configINS0_14default_configEbN2at4cuda3cub6detail10OpaqueTypeILi8EEEEEPbSC_PSA_SD_jNS1_19radix_merge_compareILb0ELb0EbNS0_19identity_decomposerEEEEEvT0_T1_T2_T3_T4_SL_T5_,@function
_ZN7rocprim17ROCPRIM_304000_NS6detail33device_block_merge_oddeven_kernelINS1_37wrapped_merge_sort_block_merge_configINS0_14default_configEbN2at4cuda3cub6detail10OpaqueTypeILi8EEEEEPbSC_PSA_SD_jNS1_19radix_merge_compareILb0ELb0EbNS0_19identity_decomposerEEEEEvT0_T1_T2_T3_T4_SL_T5_: ; @_ZN7rocprim17ROCPRIM_304000_NS6detail33device_block_merge_oddeven_kernelINS1_37wrapped_merge_sort_block_merge_configINS0_14default_configEbN2at4cuda3cub6detail10OpaqueTypeILi8EEEEEPbSC_PSA_SD_jNS1_19radix_merge_compareILb0ELb0EbNS0_19identity_decomposerEEEEEvT0_T1_T2_T3_T4_SL_T5_
; %bb.0:
	s_load_b64 s[16:17], s[0:1], 0x20
	s_waitcnt lgkmcnt(0)
	s_lshr_b32 s2, s16, 8
	s_delay_alu instid0(SALU_CYCLE_1) | instskip(SKIP_4) | instid1(SALU_CYCLE_1)
	s_cmp_lg_u32 s15, s2
	s_cselect_b32 s4, -1, 0
	s_cmp_eq_u32 s15, s2
	s_cselect_b32 s3, -1, 0
	s_lshl_b32 s12, s15, 8
	s_sub_i32 s2, s16, s12
	s_delay_alu instid0(SALU_CYCLE_1) | instskip(NEXT) | instid1(VALU_DEP_1)
	v_cmp_gt_u32_e64 s2, s2, v0
	s_or_b32 s4, s4, s2
	s_delay_alu instid0(SALU_CYCLE_1)
	s_and_saveexec_b32 s5, s4
	s_cbranch_execz .LBB175_26
; %bb.1:
	s_load_b256 s[4:11], s[0:1], 0x0
	s_mov_b32 s13, 0
	v_lshlrev_b32_e32 v1, 3, v0
	v_add_nc_u32_e32 v5, s12, v0
	s_waitcnt lgkmcnt(0)
	s_add_u32 s0, s4, s12
	s_addc_u32 s1, s5, 0
	s_lshl_b64 s[18:19], s[12:13], 3
	s_delay_alu instid0(SALU_CYCLE_1) | instskip(SKIP_4) | instid1(SALU_CYCLE_1)
	s_add_u32 s8, s8, s18
	s_addc_u32 s9, s9, s19
	global_load_b64 v[1:2], v1, s[8:9]
	global_load_u8 v7, v0, s[0:1]
	s_lshr_b32 s0, s17, 8
	s_sub_i32 s1, 0, s0
	s_delay_alu instid0(SALU_CYCLE_1) | instskip(NEXT) | instid1(SALU_CYCLE_1)
	s_and_b32 s1, s15, s1
	s_and_b32 s0, s1, s0
	s_lshl_b32 s9, s1, 8
	s_sub_i32 s1, 0, s17
	s_cmp_eq_u32 s0, 0
	s_cselect_b32 s0, -1, 0
	s_delay_alu instid0(SALU_CYCLE_1) | instskip(SKIP_1) | instid1(SALU_CYCLE_1)
	s_and_b32 s8, s0, exec_lo
	s_cselect_b32 s1, s17, s1
	s_add_i32 s1, s1, s9
	s_delay_alu instid0(SALU_CYCLE_1)
	s_cmp_lt_u32 s1, s16
	s_cbranch_scc1 .LBB175_6
; %bb.2:
	s_and_b32 vcc_lo, exec_lo, s3
	s_cbranch_vccz .LBB175_7
; %bb.3:
	s_mov_b32 s8, 0
	s_mov_b32 s12, exec_lo
                                        ; implicit-def: $vgpr3_vgpr4
	v_cmpx_gt_u32_e64 s16, v5
	s_cbranch_execz .LBB175_5
; %bb.4:
	v_mov_b32_e32 v6, 0
	s_mov_b32 s13, exec_lo
	s_waitcnt vmcnt(0)
	global_store_b8 v5, v7, s[6:7]
	v_lshlrev_b64 v[3:4], 3, v[5:6]
	s_delay_alu instid0(VALU_DEP_1) | instskip(NEXT) | instid1(VALU_DEP_2)
	v_add_co_u32 v3, vcc_lo, s10, v3
	v_add_co_ci_u32_e32 v4, vcc_lo, s11, v4, vcc_lo
.LBB175_5:
	s_or_b32 exec_lo, exec_lo, s12
	s_delay_alu instid0(SALU_CYCLE_1)
	s_and_b32 vcc_lo, exec_lo, s8
	s_cbranch_vccnz .LBB175_8
	s_branch .LBB175_9
.LBB175_6:
                                        ; implicit-def: $vgpr3_vgpr4
	s_cbranch_execnz .LBB175_10
	s_branch .LBB175_24
.LBB175_7:
                                        ; implicit-def: $vgpr3_vgpr4
	s_cbranch_execz .LBB175_9
.LBB175_8:
	v_mov_b32_e32 v6, 0
	s_or_b32 s13, s13, exec_lo
	s_waitcnt vmcnt(0)
	global_store_b8 v5, v7, s[6:7]
	v_lshlrev_b64 v[3:4], 3, v[5:6]
	s_delay_alu instid0(VALU_DEP_1) | instskip(NEXT) | instid1(VALU_DEP_2)
	v_add_co_u32 v3, vcc_lo, s10, v3
	v_add_co_ci_u32_e32 v4, vcc_lo, s11, v4, vcc_lo
.LBB175_9:
	s_branch .LBB175_24
.LBB175_10:
	s_min_u32 s8, s1, s16
	s_and_b32 vcc_lo, exec_lo, s3
	s_add_i32 s12, s9, s8
	s_min_u32 s9, s9, s8
	v_subrev_nc_u32_e32 v0, s12, v5
	s_add_i32 s12, s8, s17
	s_delay_alu instid0(SALU_CYCLE_1) | instskip(NEXT) | instid1(VALU_DEP_1)
	s_min_u32 s3, s12, s16
	v_add_nc_u32_e32 v0, s9, v0
	s_cbranch_vccz .LBB175_18
; %bb.11:
                                        ; implicit-def: $vgpr3_vgpr4
	s_and_saveexec_b32 s9, s2
	s_cbranch_execz .LBB175_17
; %bb.12:
	v_mov_b32_e32 v3, s8
	s_cmp_ge_u32 s1, s3
	s_cbranch_scc1 .LBB175_16
; %bb.13:
	v_dual_mov_b32 v4, s3 :: v_dual_mov_b32 v3, s8
	s_waitcnt vmcnt(0)
	v_and_b32_e32 v5, 0xff, v7
	s_mov_b32 s2, 0
	.p2align	6
.LBB175_14:                             ; =>This Inner Loop Header: Depth=1
	s_delay_alu instid0(VALU_DEP_2) | instskip(NEXT) | instid1(VALU_DEP_1)
	v_add_nc_u32_e32 v6, v3, v4
	v_lshrrev_b32_e32 v6, 1, v6
	global_load_u8 v8, v6, s[4:5]
	s_waitcnt vmcnt(0)
	v_cmp_gt_u16_e32 vcc_lo, v5, v8
	v_cndmask_b32_e64 v9, 0, 1, vcc_lo
	v_cmp_le_u16_e32 vcc_lo, v8, v5
	v_cndmask_b32_e64 v8, 0, 1, vcc_lo
	s_delay_alu instid0(VALU_DEP_1) | instskip(SKIP_1) | instid1(VALU_DEP_2)
	v_cndmask_b32_e64 v8, v8, v9, s0
	v_add_nc_u32_e32 v9, 1, v6
	v_and_b32_e32 v8, 1, v8
	s_delay_alu instid0(VALU_DEP_1) | instskip(NEXT) | instid1(VALU_DEP_3)
	v_cmp_eq_u32_e32 vcc_lo, 1, v8
	v_dual_cndmask_b32 v4, v6, v4 :: v_dual_cndmask_b32 v3, v3, v9
	s_delay_alu instid0(VALU_DEP_1) | instskip(SKIP_1) | instid1(SALU_CYCLE_1)
	v_cmp_ge_u32_e32 vcc_lo, v3, v4
	s_or_b32 s2, vcc_lo, s2
	s_and_not1_b32 exec_lo, exec_lo, s2
	s_cbranch_execnz .LBB175_14
; %bb.15:
	s_or_b32 exec_lo, exec_lo, s2
.LBB175_16:
	s_delay_alu instid0(VALU_DEP_1) | instskip(SKIP_4) | instid1(VALU_DEP_1)
	v_dual_mov_b32 v6, 0 :: v_dual_add_nc_u32 v5, v3, v0
	s_or_b32 s13, s13, exec_lo
	s_waitcnt vmcnt(0)
	global_store_b8 v5, v7, s[6:7]
	v_lshlrev_b64 v[3:4], 3, v[5:6]
	v_add_co_u32 v3, vcc_lo, s10, v3
	s_delay_alu instid0(VALU_DEP_2)
	v_add_co_ci_u32_e32 v4, vcc_lo, s11, v4, vcc_lo
.LBB175_17:
	s_or_b32 exec_lo, exec_lo, s9
	s_branch .LBB175_24
.LBB175_18:
                                        ; implicit-def: $vgpr3_vgpr4
	s_cbranch_execz .LBB175_24
; %bb.19:
	v_mov_b32_e32 v3, s8
	s_cmp_ge_u32 s1, s3
	s_cbranch_scc1 .LBB175_23
; %bb.20:
	v_dual_mov_b32 v4, s3 :: v_dual_mov_b32 v3, s8
	s_waitcnt vmcnt(0)
	v_and_b32_e32 v5, 0xff, v7
	s_mov_b32 s1, 0
	.p2align	6
.LBB175_21:                             ; =>This Inner Loop Header: Depth=1
	s_delay_alu instid0(VALU_DEP_2) | instskip(NEXT) | instid1(VALU_DEP_1)
	v_add_nc_u32_e32 v6, v3, v4
	v_lshrrev_b32_e32 v6, 1, v6
	global_load_u8 v8, v6, s[4:5]
	s_waitcnt vmcnt(0)
	v_cmp_gt_u16_e32 vcc_lo, v5, v8
	v_cndmask_b32_e64 v9, 0, 1, vcc_lo
	v_cmp_le_u16_e32 vcc_lo, v8, v5
	v_cndmask_b32_e64 v8, 0, 1, vcc_lo
	s_delay_alu instid0(VALU_DEP_1) | instskip(SKIP_1) | instid1(VALU_DEP_2)
	v_cndmask_b32_e64 v8, v8, v9, s0
	v_add_nc_u32_e32 v9, 1, v6
	v_and_b32_e32 v8, 1, v8
	s_delay_alu instid0(VALU_DEP_1) | instskip(NEXT) | instid1(VALU_DEP_3)
	v_cmp_eq_u32_e32 vcc_lo, 1, v8
	v_dual_cndmask_b32 v4, v6, v4 :: v_dual_cndmask_b32 v3, v3, v9
	s_delay_alu instid0(VALU_DEP_1) | instskip(SKIP_1) | instid1(SALU_CYCLE_1)
	v_cmp_ge_u32_e32 vcc_lo, v3, v4
	s_or_b32 s1, vcc_lo, s1
	s_and_not1_b32 exec_lo, exec_lo, s1
	s_cbranch_execnz .LBB175_21
; %bb.22:
	s_or_b32 exec_lo, exec_lo, s1
.LBB175_23:
	s_delay_alu instid0(VALU_DEP_1) | instskip(SKIP_4) | instid1(VALU_DEP_1)
	v_dual_mov_b32 v6, 0 :: v_dual_add_nc_u32 v5, v3, v0
	s_mov_b32 s13, -1
	s_waitcnt vmcnt(0)
	global_store_b8 v5, v7, s[6:7]
	v_lshlrev_b64 v[3:4], 3, v[5:6]
	v_add_co_u32 v3, vcc_lo, s10, v3
	s_delay_alu instid0(VALU_DEP_2)
	v_add_co_ci_u32_e32 v4, vcc_lo, s11, v4, vcc_lo
.LBB175_24:
	s_and_b32 exec_lo, exec_lo, s13
	s_cbranch_execz .LBB175_26
; %bb.25:
	s_waitcnt vmcnt(1)
	global_store_b64 v[3:4], v[1:2], off
.LBB175_26:
	s_nop 0
	s_sendmsg sendmsg(MSG_DEALLOC_VGPRS)
	s_endpgm
	.section	.rodata,"a",@progbits
	.p2align	6, 0x0
	.amdhsa_kernel _ZN7rocprim17ROCPRIM_304000_NS6detail33device_block_merge_oddeven_kernelINS1_37wrapped_merge_sort_block_merge_configINS0_14default_configEbN2at4cuda3cub6detail10OpaqueTypeILi8EEEEEPbSC_PSA_SD_jNS1_19radix_merge_compareILb0ELb0EbNS0_19identity_decomposerEEEEEvT0_T1_T2_T3_T4_SL_T5_
		.amdhsa_group_segment_fixed_size 0
		.amdhsa_private_segment_fixed_size 0
		.amdhsa_kernarg_size 44
		.amdhsa_user_sgpr_count 15
		.amdhsa_user_sgpr_dispatch_ptr 0
		.amdhsa_user_sgpr_queue_ptr 0
		.amdhsa_user_sgpr_kernarg_segment_ptr 1
		.amdhsa_user_sgpr_dispatch_id 0
		.amdhsa_user_sgpr_private_segment_size 0
		.amdhsa_wavefront_size32 1
		.amdhsa_uses_dynamic_stack 0
		.amdhsa_enable_private_segment 0
		.amdhsa_system_sgpr_workgroup_id_x 1
		.amdhsa_system_sgpr_workgroup_id_y 0
		.amdhsa_system_sgpr_workgroup_id_z 0
		.amdhsa_system_sgpr_workgroup_info 0
		.amdhsa_system_vgpr_workitem_id 0
		.amdhsa_next_free_vgpr 10
		.amdhsa_next_free_sgpr 20
		.amdhsa_reserve_vcc 1
		.amdhsa_float_round_mode_32 0
		.amdhsa_float_round_mode_16_64 0
		.amdhsa_float_denorm_mode_32 3
		.amdhsa_float_denorm_mode_16_64 3
		.amdhsa_dx10_clamp 1
		.amdhsa_ieee_mode 1
		.amdhsa_fp16_overflow 0
		.amdhsa_workgroup_processor_mode 1
		.amdhsa_memory_ordered 1
		.amdhsa_forward_progress 0
		.amdhsa_shared_vgpr_count 0
		.amdhsa_exception_fp_ieee_invalid_op 0
		.amdhsa_exception_fp_denorm_src 0
		.amdhsa_exception_fp_ieee_div_zero 0
		.amdhsa_exception_fp_ieee_overflow 0
		.amdhsa_exception_fp_ieee_underflow 0
		.amdhsa_exception_fp_ieee_inexact 0
		.amdhsa_exception_int_div_zero 0
	.end_amdhsa_kernel
	.section	.text._ZN7rocprim17ROCPRIM_304000_NS6detail33device_block_merge_oddeven_kernelINS1_37wrapped_merge_sort_block_merge_configINS0_14default_configEbN2at4cuda3cub6detail10OpaqueTypeILi8EEEEEPbSC_PSA_SD_jNS1_19radix_merge_compareILb0ELb0EbNS0_19identity_decomposerEEEEEvT0_T1_T2_T3_T4_SL_T5_,"axG",@progbits,_ZN7rocprim17ROCPRIM_304000_NS6detail33device_block_merge_oddeven_kernelINS1_37wrapped_merge_sort_block_merge_configINS0_14default_configEbN2at4cuda3cub6detail10OpaqueTypeILi8EEEEEPbSC_PSA_SD_jNS1_19radix_merge_compareILb0ELb0EbNS0_19identity_decomposerEEEEEvT0_T1_T2_T3_T4_SL_T5_,comdat
.Lfunc_end175:
	.size	_ZN7rocprim17ROCPRIM_304000_NS6detail33device_block_merge_oddeven_kernelINS1_37wrapped_merge_sort_block_merge_configINS0_14default_configEbN2at4cuda3cub6detail10OpaqueTypeILi8EEEEEPbSC_PSA_SD_jNS1_19radix_merge_compareILb0ELb0EbNS0_19identity_decomposerEEEEEvT0_T1_T2_T3_T4_SL_T5_, .Lfunc_end175-_ZN7rocprim17ROCPRIM_304000_NS6detail33device_block_merge_oddeven_kernelINS1_37wrapped_merge_sort_block_merge_configINS0_14default_configEbN2at4cuda3cub6detail10OpaqueTypeILi8EEEEEPbSC_PSA_SD_jNS1_19radix_merge_compareILb0ELb0EbNS0_19identity_decomposerEEEEEvT0_T1_T2_T3_T4_SL_T5_
                                        ; -- End function
	.section	.AMDGPU.csdata,"",@progbits
; Kernel info:
; codeLenInByte = 836
; NumSgprs: 22
; NumVgprs: 10
; ScratchSize: 0
; MemoryBound: 0
; FloatMode: 240
; IeeeMode: 1
; LDSByteSize: 0 bytes/workgroup (compile time only)
; SGPRBlocks: 2
; VGPRBlocks: 1
; NumSGPRsForWavesPerEU: 22
; NumVGPRsForWavesPerEU: 10
; Occupancy: 16
; WaveLimiterHint : 0
; COMPUTE_PGM_RSRC2:SCRATCH_EN: 0
; COMPUTE_PGM_RSRC2:USER_SGPR: 15
; COMPUTE_PGM_RSRC2:TRAP_HANDLER: 0
; COMPUTE_PGM_RSRC2:TGID_X_EN: 1
; COMPUTE_PGM_RSRC2:TGID_Y_EN: 0
; COMPUTE_PGM_RSRC2:TGID_Z_EN: 0
; COMPUTE_PGM_RSRC2:TIDIG_COMP_CNT: 0
	.section	.text._ZN7rocprim17ROCPRIM_304000_NS6detail45device_block_merge_mergepath_partition_kernelINS1_37wrapped_merge_sort_block_merge_configINS0_14default_configEbN2at4cuda3cub6detail10OpaqueTypeILi8EEEEEPbjNS1_19radix_merge_compareILb0ELb1EbNS0_19identity_decomposerEEEEEvT0_T1_jPSH_T2_SH_,"axG",@progbits,_ZN7rocprim17ROCPRIM_304000_NS6detail45device_block_merge_mergepath_partition_kernelINS1_37wrapped_merge_sort_block_merge_configINS0_14default_configEbN2at4cuda3cub6detail10OpaqueTypeILi8EEEEEPbjNS1_19radix_merge_compareILb0ELb1EbNS0_19identity_decomposerEEEEEvT0_T1_jPSH_T2_SH_,comdat
	.protected	_ZN7rocprim17ROCPRIM_304000_NS6detail45device_block_merge_mergepath_partition_kernelINS1_37wrapped_merge_sort_block_merge_configINS0_14default_configEbN2at4cuda3cub6detail10OpaqueTypeILi8EEEEEPbjNS1_19radix_merge_compareILb0ELb1EbNS0_19identity_decomposerEEEEEvT0_T1_jPSH_T2_SH_ ; -- Begin function _ZN7rocprim17ROCPRIM_304000_NS6detail45device_block_merge_mergepath_partition_kernelINS1_37wrapped_merge_sort_block_merge_configINS0_14default_configEbN2at4cuda3cub6detail10OpaqueTypeILi8EEEEEPbjNS1_19radix_merge_compareILb0ELb1EbNS0_19identity_decomposerEEEEEvT0_T1_jPSH_T2_SH_
	.globl	_ZN7rocprim17ROCPRIM_304000_NS6detail45device_block_merge_mergepath_partition_kernelINS1_37wrapped_merge_sort_block_merge_configINS0_14default_configEbN2at4cuda3cub6detail10OpaqueTypeILi8EEEEEPbjNS1_19radix_merge_compareILb0ELb1EbNS0_19identity_decomposerEEEEEvT0_T1_jPSH_T2_SH_
	.p2align	8
	.type	_ZN7rocprim17ROCPRIM_304000_NS6detail45device_block_merge_mergepath_partition_kernelINS1_37wrapped_merge_sort_block_merge_configINS0_14default_configEbN2at4cuda3cub6detail10OpaqueTypeILi8EEEEEPbjNS1_19radix_merge_compareILb0ELb1EbNS0_19identity_decomposerEEEEEvT0_T1_jPSH_T2_SH_,@function
_ZN7rocprim17ROCPRIM_304000_NS6detail45device_block_merge_mergepath_partition_kernelINS1_37wrapped_merge_sort_block_merge_configINS0_14default_configEbN2at4cuda3cub6detail10OpaqueTypeILi8EEEEEPbjNS1_19radix_merge_compareILb0ELb1EbNS0_19identity_decomposerEEEEEvT0_T1_jPSH_T2_SH_: ; @_ZN7rocprim17ROCPRIM_304000_NS6detail45device_block_merge_mergepath_partition_kernelINS1_37wrapped_merge_sort_block_merge_configINS0_14default_configEbN2at4cuda3cub6detail10OpaqueTypeILi8EEEEEPbjNS1_19radix_merge_compareILb0ELb1EbNS0_19identity_decomposerEEEEEvT0_T1_jPSH_T2_SH_
; %bb.0:
	s_load_b64 s[4:5], s[0:1], 0x8
	v_lshl_or_b32 v0, s15, 7, v0
	s_mov_b32 s2, exec_lo
	s_waitcnt lgkmcnt(0)
	s_delay_alu instid0(VALU_DEP_1)
	v_cmpx_gt_u32_e64 s5, v0
	s_cbranch_execz .LBB176_6
; %bb.1:
	s_load_b64 s[2:3], s[0:1], 0x18
	s_waitcnt lgkmcnt(0)
	s_lshr_b32 s5, s3, 9
	s_delay_alu instid0(SALU_CYCLE_1) | instskip(NEXT) | instid1(SALU_CYCLE_1)
	s_and_b32 s5, s5, 0x7ffffe
	s_sub_i32 s6, 0, s5
	s_add_i32 s5, s5, -1
	v_and_b32_e32 v1, s6, v0
	v_and_b32_e32 v4, s5, v0
	s_delay_alu instid0(VALU_DEP_2) | instskip(NEXT) | instid1(VALU_DEP_1)
	v_lshlrev_b32_e32 v1, 10, v1
	v_add_nc_u32_e32 v2, s3, v1
	s_delay_alu instid0(VALU_DEP_1) | instskip(SKIP_1) | instid1(VALU_DEP_2)
	v_min_u32_e32 v7, s4, v2
	v_min_u32_e32 v2, s4, v1
	v_add_nc_u32_e32 v3, s3, v7
	s_mov_b32 s3, exec_lo
	s_delay_alu instid0(VALU_DEP_1) | instskip(SKIP_1) | instid1(VALU_DEP_2)
	v_min_u32_e32 v1, s4, v3
	v_lshlrev_b32_e32 v3, 10, v4
	v_sub_nc_u32_e32 v4, v1, v2
	v_sub_nc_u32_e32 v5, v1, v7
	s_delay_alu instid0(VALU_DEP_2) | instskip(SKIP_1) | instid1(VALU_DEP_2)
	v_min_u32_e32 v1, v4, v3
	v_sub_nc_u32_e32 v4, v7, v2
	v_sub_nc_u32_e64 v3, v1, v5 clamp
	s_delay_alu instid0(VALU_DEP_2) | instskip(NEXT) | instid1(VALU_DEP_1)
	v_min_u32_e32 v4, v1, v4
	v_cmpx_lt_u32_e64 v3, v4
	s_cbranch_execz .LBB176_5
; %bb.2:
	s_load_b64 s[4:5], s[0:1], 0x0
	v_and_b32_e64 v9, s2, 1
	s_mov_b32 s2, 0
	s_waitcnt lgkmcnt(0)
	v_add_co_u32 v5, s6, s4, v2
	v_add_co_u32 v7, s4, s4, v7
	v_add_co_ci_u32_e64 v6, null, s5, 0, s6
	v_add_co_ci_u32_e64 v8, null, s5, 0, s4
	.p2align	6
.LBB176_3:                              ; =>This Inner Loop Header: Depth=1
	v_add_nc_u32_e32 v10, v4, v3
	s_delay_alu instid0(VALU_DEP_1) | instskip(NEXT) | instid1(VALU_DEP_1)
	v_lshrrev_b32_e32 v14, 1, v10
	v_xad_u32 v12, v14, -1, v1
	v_add_co_u32 v10, vcc_lo, v5, v14
	v_add_co_ci_u32_e32 v11, vcc_lo, 0, v6, vcc_lo
	s_delay_alu instid0(VALU_DEP_3)
	v_add_co_u32 v12, vcc_lo, v7, v12
	v_add_co_ci_u32_e32 v13, vcc_lo, 0, v8, vcc_lo
	s_clause 0x1
	global_load_u8 v10, v[10:11], off
	global_load_u8 v11, v[12:13], off
	v_add_nc_u32_e32 v12, 1, v14
	s_waitcnt vmcnt(1)
	v_and_b32_e32 v10, v10, v9
	s_waitcnt vmcnt(0)
	v_and_b32_e32 v11, v11, v9
	s_delay_alu instid0(VALU_DEP_1) | instskip(SKIP_2) | instid1(VALU_DEP_1)
	v_cmp_gt_u16_e32 vcc_lo, v10, v11
	v_cndmask_b32_e32 v4, v4, v14, vcc_lo
	v_cndmask_b32_e32 v3, v12, v3, vcc_lo
	v_cmp_ge_u32_e32 vcc_lo, v3, v4
	s_or_b32 s2, vcc_lo, s2
	s_delay_alu instid0(SALU_CYCLE_1)
	s_and_not1_b32 exec_lo, exec_lo, s2
	s_cbranch_execnz .LBB176_3
; %bb.4:
	s_or_b32 exec_lo, exec_lo, s2
.LBB176_5:
	s_delay_alu instid0(SALU_CYCLE_1) | instskip(SKIP_2) | instid1(VALU_DEP_1)
	s_or_b32 exec_lo, exec_lo, s3
	s_load_b64 s[0:1], s[0:1], 0x10
	v_dual_mov_b32 v1, 0 :: v_dual_add_nc_u32 v2, v3, v2
	v_lshlrev_b64 v[0:1], 2, v[0:1]
	s_waitcnt lgkmcnt(0)
	s_delay_alu instid0(VALU_DEP_1) | instskip(NEXT) | instid1(VALU_DEP_2)
	v_add_co_u32 v0, vcc_lo, s0, v0
	v_add_co_ci_u32_e32 v1, vcc_lo, s1, v1, vcc_lo
	global_store_b32 v[0:1], v2, off
.LBB176_6:
	s_nop 0
	s_sendmsg sendmsg(MSG_DEALLOC_VGPRS)
	s_endpgm
	.section	.rodata,"a",@progbits
	.p2align	6, 0x0
	.amdhsa_kernel _ZN7rocprim17ROCPRIM_304000_NS6detail45device_block_merge_mergepath_partition_kernelINS1_37wrapped_merge_sort_block_merge_configINS0_14default_configEbN2at4cuda3cub6detail10OpaqueTypeILi8EEEEEPbjNS1_19radix_merge_compareILb0ELb1EbNS0_19identity_decomposerEEEEEvT0_T1_jPSH_T2_SH_
		.amdhsa_group_segment_fixed_size 0
		.amdhsa_private_segment_fixed_size 0
		.amdhsa_kernarg_size 32
		.amdhsa_user_sgpr_count 15
		.amdhsa_user_sgpr_dispatch_ptr 0
		.amdhsa_user_sgpr_queue_ptr 0
		.amdhsa_user_sgpr_kernarg_segment_ptr 1
		.amdhsa_user_sgpr_dispatch_id 0
		.amdhsa_user_sgpr_private_segment_size 0
		.amdhsa_wavefront_size32 1
		.amdhsa_uses_dynamic_stack 0
		.amdhsa_enable_private_segment 0
		.amdhsa_system_sgpr_workgroup_id_x 1
		.amdhsa_system_sgpr_workgroup_id_y 0
		.amdhsa_system_sgpr_workgroup_id_z 0
		.amdhsa_system_sgpr_workgroup_info 0
		.amdhsa_system_vgpr_workitem_id 0
		.amdhsa_next_free_vgpr 15
		.amdhsa_next_free_sgpr 16
		.amdhsa_reserve_vcc 1
		.amdhsa_float_round_mode_32 0
		.amdhsa_float_round_mode_16_64 0
		.amdhsa_float_denorm_mode_32 3
		.amdhsa_float_denorm_mode_16_64 3
		.amdhsa_dx10_clamp 1
		.amdhsa_ieee_mode 1
		.amdhsa_fp16_overflow 0
		.amdhsa_workgroup_processor_mode 1
		.amdhsa_memory_ordered 1
		.amdhsa_forward_progress 0
		.amdhsa_shared_vgpr_count 0
		.amdhsa_exception_fp_ieee_invalid_op 0
		.amdhsa_exception_fp_denorm_src 0
		.amdhsa_exception_fp_ieee_div_zero 0
		.amdhsa_exception_fp_ieee_overflow 0
		.amdhsa_exception_fp_ieee_underflow 0
		.amdhsa_exception_fp_ieee_inexact 0
		.amdhsa_exception_int_div_zero 0
	.end_amdhsa_kernel
	.section	.text._ZN7rocprim17ROCPRIM_304000_NS6detail45device_block_merge_mergepath_partition_kernelINS1_37wrapped_merge_sort_block_merge_configINS0_14default_configEbN2at4cuda3cub6detail10OpaqueTypeILi8EEEEEPbjNS1_19radix_merge_compareILb0ELb1EbNS0_19identity_decomposerEEEEEvT0_T1_jPSH_T2_SH_,"axG",@progbits,_ZN7rocprim17ROCPRIM_304000_NS6detail45device_block_merge_mergepath_partition_kernelINS1_37wrapped_merge_sort_block_merge_configINS0_14default_configEbN2at4cuda3cub6detail10OpaqueTypeILi8EEEEEPbjNS1_19radix_merge_compareILb0ELb1EbNS0_19identity_decomposerEEEEEvT0_T1_jPSH_T2_SH_,comdat
.Lfunc_end176:
	.size	_ZN7rocprim17ROCPRIM_304000_NS6detail45device_block_merge_mergepath_partition_kernelINS1_37wrapped_merge_sort_block_merge_configINS0_14default_configEbN2at4cuda3cub6detail10OpaqueTypeILi8EEEEEPbjNS1_19radix_merge_compareILb0ELb1EbNS0_19identity_decomposerEEEEEvT0_T1_jPSH_T2_SH_, .Lfunc_end176-_ZN7rocprim17ROCPRIM_304000_NS6detail45device_block_merge_mergepath_partition_kernelINS1_37wrapped_merge_sort_block_merge_configINS0_14default_configEbN2at4cuda3cub6detail10OpaqueTypeILi8EEEEEPbjNS1_19radix_merge_compareILb0ELb1EbNS0_19identity_decomposerEEEEEvT0_T1_jPSH_T2_SH_
                                        ; -- End function
	.section	.AMDGPU.csdata,"",@progbits
; Kernel info:
; codeLenInByte = 432
; NumSgprs: 18
; NumVgprs: 15
; ScratchSize: 0
; MemoryBound: 0
; FloatMode: 240
; IeeeMode: 1
; LDSByteSize: 0 bytes/workgroup (compile time only)
; SGPRBlocks: 2
; VGPRBlocks: 1
; NumSGPRsForWavesPerEU: 18
; NumVGPRsForWavesPerEU: 15
; Occupancy: 16
; WaveLimiterHint : 0
; COMPUTE_PGM_RSRC2:SCRATCH_EN: 0
; COMPUTE_PGM_RSRC2:USER_SGPR: 15
; COMPUTE_PGM_RSRC2:TRAP_HANDLER: 0
; COMPUTE_PGM_RSRC2:TGID_X_EN: 1
; COMPUTE_PGM_RSRC2:TGID_Y_EN: 0
; COMPUTE_PGM_RSRC2:TGID_Z_EN: 0
; COMPUTE_PGM_RSRC2:TIDIG_COMP_CNT: 0
	.section	.text._ZN7rocprim17ROCPRIM_304000_NS6detail35device_block_merge_mergepath_kernelINS1_37wrapped_merge_sort_block_merge_configINS0_14default_configEbN2at4cuda3cub6detail10OpaqueTypeILi8EEEEEPbSC_PSA_SD_jNS1_19radix_merge_compareILb0ELb1EbNS0_19identity_decomposerEEEEEvT0_T1_T2_T3_T4_SL_jT5_PKSL_NS1_7vsmem_tE,"axG",@progbits,_ZN7rocprim17ROCPRIM_304000_NS6detail35device_block_merge_mergepath_kernelINS1_37wrapped_merge_sort_block_merge_configINS0_14default_configEbN2at4cuda3cub6detail10OpaqueTypeILi8EEEEEPbSC_PSA_SD_jNS1_19radix_merge_compareILb0ELb1EbNS0_19identity_decomposerEEEEEvT0_T1_T2_T3_T4_SL_jT5_PKSL_NS1_7vsmem_tE,comdat
	.protected	_ZN7rocprim17ROCPRIM_304000_NS6detail35device_block_merge_mergepath_kernelINS1_37wrapped_merge_sort_block_merge_configINS0_14default_configEbN2at4cuda3cub6detail10OpaqueTypeILi8EEEEEPbSC_PSA_SD_jNS1_19radix_merge_compareILb0ELb1EbNS0_19identity_decomposerEEEEEvT0_T1_T2_T3_T4_SL_jT5_PKSL_NS1_7vsmem_tE ; -- Begin function _ZN7rocprim17ROCPRIM_304000_NS6detail35device_block_merge_mergepath_kernelINS1_37wrapped_merge_sort_block_merge_configINS0_14default_configEbN2at4cuda3cub6detail10OpaqueTypeILi8EEEEEPbSC_PSA_SD_jNS1_19radix_merge_compareILb0ELb1EbNS0_19identity_decomposerEEEEEvT0_T1_T2_T3_T4_SL_jT5_PKSL_NS1_7vsmem_tE
	.globl	_ZN7rocprim17ROCPRIM_304000_NS6detail35device_block_merge_mergepath_kernelINS1_37wrapped_merge_sort_block_merge_configINS0_14default_configEbN2at4cuda3cub6detail10OpaqueTypeILi8EEEEEPbSC_PSA_SD_jNS1_19radix_merge_compareILb0ELb1EbNS0_19identity_decomposerEEEEEvT0_T1_T2_T3_T4_SL_jT5_PKSL_NS1_7vsmem_tE
	.p2align	8
	.type	_ZN7rocprim17ROCPRIM_304000_NS6detail35device_block_merge_mergepath_kernelINS1_37wrapped_merge_sort_block_merge_configINS0_14default_configEbN2at4cuda3cub6detail10OpaqueTypeILi8EEEEEPbSC_PSA_SD_jNS1_19radix_merge_compareILb0ELb1EbNS0_19identity_decomposerEEEEEvT0_T1_T2_T3_T4_SL_jT5_PKSL_NS1_7vsmem_tE,@function
_ZN7rocprim17ROCPRIM_304000_NS6detail35device_block_merge_mergepath_kernelINS1_37wrapped_merge_sort_block_merge_configINS0_14default_configEbN2at4cuda3cub6detail10OpaqueTypeILi8EEEEEPbSC_PSA_SD_jNS1_19radix_merge_compareILb0ELb1EbNS0_19identity_decomposerEEEEEvT0_T1_T2_T3_T4_SL_jT5_PKSL_NS1_7vsmem_tE: ; @_ZN7rocprim17ROCPRIM_304000_NS6detail35device_block_merge_mergepath_kernelINS1_37wrapped_merge_sort_block_merge_configINS0_14default_configEbN2at4cuda3cub6detail10OpaqueTypeILi8EEEEEPbSC_PSA_SD_jNS1_19radix_merge_compareILb0ELb1EbNS0_19identity_decomposerEEEEEvT0_T1_T2_T3_T4_SL_jT5_PKSL_NS1_7vsmem_tE
; %bb.0:
	s_clause 0x1
	s_load_b64 s[22:23], s[0:1], 0x40
	s_load_b128 s[16:19], s[0:1], 0x20
	s_add_u32 s20, s0, 64
	s_addc_u32 s21, s1, 0
	s_waitcnt lgkmcnt(0)
	s_mul_i32 s2, s23, s15
	s_delay_alu instid0(SALU_CYCLE_1) | instskip(NEXT) | instid1(SALU_CYCLE_1)
	s_add_i32 s2, s2, s14
	s_mul_i32 s2, s2, s22
	s_delay_alu instid0(SALU_CYCLE_1) | instskip(NEXT) | instid1(SALU_CYCLE_1)
	s_add_i32 s2, s2, s13
	s_cmp_ge_u32 s2, s18
	s_cbranch_scc1 .LBB177_53
; %bb.1:
	v_mov_b32_e32 v1, 0
	s_load_b64 s[4:5], s[0:1], 0x30
	s_lshr_b32 s26, s16, 10
	s_mov_b32 s15, 0
	s_cmp_lg_u32 s2, s26
	global_load_b32 v2, v1, s[20:21] offset:14
	s_mov_b32 s3, s15
	s_cselect_b32 s18, -1, 0
	s_lshl_b64 s[6:7], s[2:3], 2
	s_waitcnt lgkmcnt(0)
	s_add_u32 s4, s4, s6
	s_addc_u32 s5, s5, s7
	s_lshr_b32 s3, s17, 9
	s_load_b64 s[24:25], s[4:5], 0x0
	s_and_b32 s3, s3, 0x7ffffe
	s_load_b256 s[4:11], s[0:1], 0x0
	s_sub_i32 s0, 0, s3
	s_lshl_b32 s3, s2, 10
	s_and_b32 s1, s2, s0
	s_or_b32 s0, s2, s0
	s_lshl_b32 s12, s1, 11
	s_lshl_b32 s1, s1, 10
	s_add_i32 s12, s12, s17
	s_sub_i32 s14, s3, s1
	s_sub_i32 s1, s12, s1
	s_add_i32 s12, s12, s14
	s_min_u32 s14, s16, s1
	s_add_i32 s1, s1, s17
	s_waitcnt lgkmcnt(0)
	s_sub_i32 s17, s12, s24
	s_sub_i32 s23, s12, s25
	s_min_u32 s12, s16, s17
	s_addk_i32 s23, 0x400
	s_cmp_eq_u32 s0, -1
	s_cselect_b32 s0, s1, s23
	s_cselect_b32 s1, s14, s25
	s_min_u32 s0, s0, s16
	s_sub_i32 s17, s1, s24
	s_sub_i32 s23, s0, s12
	s_mov_b32 s14, s24
	s_add_u32 s24, s4, s24
	s_addc_u32 s25, s5, 0
	s_add_u32 s0, s4, s12
	s_addc_u32 s1, s5, 0
	s_cmp_lt_u32 s13, s22
	v_cmp_gt_u32_e32 vcc_lo, s17, v0
	s_cselect_b32 s4, 12, 18
	s_mov_b32 s13, s15
	s_add_u32 s4, s20, s4
	s_addc_u32 s5, s21, 0
	s_cmp_eq_u32 s2, s26
	s_waitcnt vmcnt(0)
	v_lshrrev_b32_e32 v3, 16, v2
	v_and_b32_e32 v2, 0xffff, v2
	global_load_u16 v1, v1, s[4:5]
	s_mov_b32 s5, -1
	v_mul_lo_u32 v2, v2, v3
	s_waitcnt vmcnt(0)
	s_delay_alu instid0(VALU_DEP_1) | instskip(NEXT) | instid1(VALU_DEP_1)
	v_mul_lo_u32 v2, v2, v1
	v_add_nc_u32_e32 v1, v2, v0
	s_cbranch_scc1 .LBB177_4
; %bb.2:
	v_cndmask_b32_e64 v3, s17, 0, vcc_lo
	v_dual_mov_b32 v4, s24 :: v_dual_mov_b32 v5, s25
	s_add_i32 s2, s23, s17
	s_delay_alu instid0(VALU_DEP_2) | instskip(NEXT) | instid1(VALU_DEP_2)
	v_sub_nc_u32_e32 v3, v0, v3
	v_cndmask_b32_e32 v4, s0, v4, vcc_lo
	s_delay_alu instid0(VALU_DEP_3) | instskip(SKIP_1) | instid1(VALU_DEP_2)
	v_dual_cndmask_b32 v5, s1, v5 :: v_dual_add_nc_u32 v2, v2, v0
	s_mov_b32 s4, -1
	v_add_co_u32 v3, vcc_lo, v4, v3
	s_delay_alu instid0(VALU_DEP_2)
	v_add_co_ci_u32_e32 v4, vcc_lo, 0, v5, vcc_lo
	global_load_u8 v5, v[3:4], off
	s_cbranch_execz .LBB177_5
.LBB177_3:
	v_dual_mov_b32 v1, v2 :: v_dual_mov_b32 v8, s2
                                        ; implicit-def: $vgpr7
	s_and_saveexec_b32 s5, s4
	s_cbranch_execnz .LBB177_8
	s_branch .LBB177_9
.LBB177_4:
	s_mov_b32 s4, s15
                                        ; implicit-def: $vgpr2
                                        ; implicit-def: $vgpr5
                                        ; implicit-def: $sgpr2
	s_and_not1_b32 vcc_lo, exec_lo, s5
	s_cbranch_vccnz .LBB177_3
.LBB177_5:
	s_add_i32 s2, s23, s17
	s_mov_b32 s4, exec_lo
                                        ; implicit-def: $vgpr5
	v_cmpx_gt_u32_e64 s2, v0
	s_cbranch_execz .LBB177_7
; %bb.6:
	v_dual_mov_b32 v2, s25 :: v_dual_mov_b32 v3, s24
	v_cmp_gt_u32_e32 vcc_lo, s17, v0
	s_delay_alu instid0(VALU_DEP_2) | instskip(SKIP_1) | instid1(VALU_DEP_4)
	v_cndmask_b32_e32 v4, s1, v2, vcc_lo
	v_cndmask_b32_e64 v2, s17, 0, vcc_lo
	v_cndmask_b32_e32 v3, s0, v3, vcc_lo
	s_delay_alu instid0(VALU_DEP_2) | instskip(NEXT) | instid1(VALU_DEP_1)
	v_sub_nc_u32_e32 v2, v0, v2
	v_add_co_u32 v2, vcc_lo, v3, v2
	v_add_co_ci_u32_e32 v3, vcc_lo, 0, v4, vcc_lo
	global_load_u8 v5, v[2:3], off
.LBB177_7:
	s_or_b32 exec_lo, exec_lo, s4
	v_cmp_gt_u32_e64 s4, s2, v1
	v_mov_b32_e32 v8, s2
                                        ; implicit-def: $vgpr7
	s_delay_alu instid0(VALU_DEP_2)
	s_and_saveexec_b32 s5, s4
	s_cbranch_execz .LBB177_9
.LBB177_8:
	s_delay_alu instid0(VALU_DEP_1) | instskip(SKIP_3) | instid1(VALU_DEP_1)
	v_cmp_gt_u32_e32 vcc_lo, s17, v1
	v_dual_mov_b32 v3, s24 :: v_dual_mov_b32 v4, s25
	v_mov_b32_e32 v8, s2
	v_cndmask_b32_e64 v2, s17, 0, vcc_lo
	v_sub_nc_u32_e32 v1, v1, v2
	s_delay_alu instid0(VALU_DEP_4) | instskip(SKIP_1) | instid1(VALU_DEP_2)
	v_cndmask_b32_e32 v2, s0, v3, vcc_lo
	v_cndmask_b32_e32 v3, s1, v4, vcc_lo
	v_add_co_u32 v1, vcc_lo, v2, v1
	s_delay_alu instid0(VALU_DEP_2)
	v_add_co_ci_u32_e32 v2, vcc_lo, 0, v3, vcc_lo
	global_load_u8 v7, v[1:2], off
.LBB177_9:
	s_or_b32 exec_lo, exec_lo, s5
	v_lshlrev_b32_e32 v6, 1, v0
	v_and_b32_e64 v2, s19, 1
	s_mov_b32 s0, exec_lo
	s_waitcnt vmcnt(0)
	ds_store_b8 v0, v5
	ds_store_b8 v0, v7 offset:512
	s_waitcnt lgkmcnt(0)
	v_min_u32_e32 v3, v8, v6
	s_barrier
	buffer_gl0_inv
	v_sub_nc_u32_e64 v1, v3, s23 clamp
	v_min_u32_e32 v4, s17, v3
	s_delay_alu instid0(VALU_DEP_1)
	v_cmpx_lt_u32_e64 v1, v4
	s_cbranch_execz .LBB177_13
; %bb.10:
	v_add_nc_u32_e32 v9, s17, v3
	s_mov_b32 s1, 0
	.p2align	6
.LBB177_11:                             ; =>This Inner Loop Header: Depth=1
	v_add_nc_u32_e32 v10, v4, v1
	s_delay_alu instid0(VALU_DEP_1) | instskip(NEXT) | instid1(VALU_DEP_1)
	v_lshrrev_b32_e32 v10, 1, v10
	v_xad_u32 v11, v10, -1, v9
	v_add_nc_u32_e32 v13, 1, v10
	ds_load_u8 v12, v10
	ds_load_u8 v11, v11
	s_waitcnt lgkmcnt(1)
	v_and_b32_e32 v12, v12, v2
	s_waitcnt lgkmcnt(0)
	v_and_b32_e32 v11, v11, v2
	s_delay_alu instid0(VALU_DEP_1) | instskip(SKIP_1) | instid1(VALU_DEP_1)
	v_cmp_gt_u16_e32 vcc_lo, v12, v11
	v_dual_cndmask_b32 v1, v13, v1 :: v_dual_cndmask_b32 v4, v4, v10
	v_cmp_ge_u32_e32 vcc_lo, v1, v4
	s_or_b32 s1, vcc_lo, s1
	s_delay_alu instid0(SALU_CYCLE_1)
	s_and_not1_b32 exec_lo, exec_lo, s1
	s_cbranch_execnz .LBB177_11
; %bb.12:
	s_or_b32 exec_lo, exec_lo, s1
.LBB177_13:
	s_delay_alu instid0(SALU_CYCLE_1) | instskip(SKIP_2) | instid1(VALU_DEP_2)
	s_or_b32 exec_lo, exec_lo, s0
	v_sub_nc_u32_e32 v3, v3, v1
	v_cmp_ge_u32_e32 vcc_lo, s17, v1
                                        ; implicit-def: $vgpr10
                                        ; implicit-def: $vgpr11
	v_add_nc_u32_e32 v3, s17, v3
	s_delay_alu instid0(VALU_DEP_1) | instskip(NEXT) | instid1(VALU_DEP_1)
	v_cmp_le_u32_e64 s0, v3, v8
	s_or_b32 s0, vcc_lo, s0
	s_delay_alu instid0(SALU_CYCLE_1)
	s_and_saveexec_b32 s4, s0
	s_cbranch_execz .LBB177_19
; %bb.14:
	v_cmp_gt_u32_e32 vcc_lo, s17, v1
                                        ; implicit-def: $vgpr4
	s_and_saveexec_b32 s0, vcc_lo
	s_cbranch_execz .LBB177_16
; %bb.15:
	ds_load_u8 v4, v1
.LBB177_16:
	s_or_b32 exec_lo, exec_lo, s0
	v_cmp_ge_u32_e64 s0, v3, v8
	s_mov_b32 s2, exec_lo
                                        ; implicit-def: $vgpr5
	v_cmpx_lt_u32_e64 v3, v8
	s_cbranch_execz .LBB177_18
; %bb.17:
	ds_load_u8 v5, v3
.LBB177_18:
	s_or_b32 exec_lo, exec_lo, s2
	s_waitcnt lgkmcnt(0)
	v_and_b32_e32 v7, v5, v2
	v_and_b32_e32 v9, v4, v2
	s_delay_alu instid0(VALU_DEP_2) | instskip(NEXT) | instid1(VALU_DEP_2)
	v_and_b32_e32 v7, 0xff, v7
	v_and_b32_e32 v9, 0xff, v9
	s_delay_alu instid0(VALU_DEP_1) | instskip(NEXT) | instid1(VALU_DEP_1)
	v_cmp_le_u16_e64 s1, v9, v7
	s_and_b32 s1, vcc_lo, s1
	s_delay_alu instid0(SALU_CYCLE_1) | instskip(SKIP_2) | instid1(VALU_DEP_2)
	s_or_b32 vcc_lo, s0, s1
	v_cndmask_b32_e32 v11, v3, v1, vcc_lo
	v_cndmask_b32_e64 v7, v8, s17, vcc_lo
	v_add_nc_u32_e32 v9, 1, v11
	s_delay_alu instid0(VALU_DEP_2) | instskip(NEXT) | instid1(VALU_DEP_2)
	v_add_nc_u32_e32 v7, -1, v7
	v_cndmask_b32_e32 v1, v1, v9, vcc_lo
	s_delay_alu instid0(VALU_DEP_2) | instskip(SKIP_1) | instid1(VALU_DEP_3)
	v_min_u32_e32 v7, v9, v7
	v_cndmask_b32_e32 v3, v9, v3, vcc_lo
	v_cmp_gt_u32_e64 s0, s17, v1
	ds_load_u8 v7, v7
	v_cmp_ge_u32_e64 s2, v3, v8
	s_waitcnt lgkmcnt(0)
	v_dual_cndmask_b32 v12, v7, v5 :: v_dual_cndmask_b32 v5, v5, v4
	s_delay_alu instid0(VALU_DEP_1) | instskip(NEXT) | instid1(VALU_DEP_1)
	v_and_b32_e32 v10, v12, v2
	v_dual_cndmask_b32 v7, v4, v7 :: v_dual_and_b32 v10, 0xff, v10
	s_delay_alu instid0(VALU_DEP_1) | instskip(NEXT) | instid1(VALU_DEP_1)
	v_and_b32_e32 v2, v7, v2
	v_and_b32_e32 v2, 0xff, v2
	s_delay_alu instid0(VALU_DEP_1) | instskip(NEXT) | instid1(VALU_DEP_1)
	v_cmp_le_u16_e64 s1, v2, v10
	s_and_b32 s0, s0, s1
	s_delay_alu instid0(SALU_CYCLE_1)
	s_or_b32 vcc_lo, s2, s0
	v_dual_cndmask_b32 v10, v3, v1 :: v_dual_cndmask_b32 v7, v12, v7
.LBB177_19:
	s_or_b32 exec_lo, exec_lo, s4
	s_lshl_b64 s[0:1], s[14:15], 3
	v_or_b32_e32 v9, 0x200, v0
	s_add_u32 s2, s8, s0
	s_addc_u32 s4, s9, s1
	s_lshl_b64 s[12:13], s[12:13], 3
	v_cmp_gt_u32_e64 s1, s17, v0
	v_cmp_le_u32_e64 s0, s17, v0
	s_add_u32 s8, s8, s12
	s_mov_b32 s5, 0
	s_addc_u32 s9, s9, s13
	s_and_not1_b32 vcc_lo, exec_lo, s18
	s_barrier
	buffer_gl0_inv
	s_cbranch_vccnz .LBB177_21
; %bb.20:
	v_subrev_nc_u32_e32 v1, s17, v0
	v_mov_b32_e32 v2, 0
	v_lshlrev_b32_e32 v14, 3, v0
	s_delay_alu instid0(VALU_DEP_2) | instskip(NEXT) | instid1(VALU_DEP_2)
	v_lshlrev_b64 v[3:4], 3, v[1:2]
	v_add_co_u32 v15, s5, s2, v14
	s_delay_alu instid0(VALU_DEP_1) | instskip(SKIP_1) | instid1(VALU_DEP_3)
	v_add_co_ci_u32_e64 v16, null, s4, 0, s5
	s_mov_b32 s5, -1
	v_add_co_u32 v1, vcc_lo, s8, v3
	s_delay_alu instid0(VALU_DEP_4) | instskip(NEXT) | instid1(VALU_DEP_1)
	v_add_co_ci_u32_e32 v3, vcc_lo, s9, v4, vcc_lo
	v_cndmask_b32_e64 v4, v3, v16, s1
	s_delay_alu instid0(VALU_DEP_3)
	v_cndmask_b32_e64 v3, v1, v15, s1
	v_subrev_nc_u32_e32 v1, s17, v9
	global_load_b64 v[12:13], v[3:4], off
	v_lshlrev_b64 v[1:2], 3, v[1:2]
	v_add_co_u32 v3, vcc_lo, 0x1000, v15
	v_add_co_ci_u32_e32 v4, vcc_lo, 0, v16, vcc_lo
	s_delay_alu instid0(VALU_DEP_3) | instskip(NEXT) | instid1(VALU_DEP_4)
	v_add_co_u32 v1, vcc_lo, s8, v1
	v_add_co_ci_u32_e32 v2, vcc_lo, s9, v2, vcc_lo
	v_cmp_gt_u32_e32 vcc_lo, s17, v9
	s_delay_alu instid0(VALU_DEP_2)
	v_dual_cndmask_b32 v1, v1, v3 :: v_dual_cndmask_b32 v2, v2, v4
	v_or_b32_e32 v4, 0x1000, v14
	s_waitcnt vmcnt(0)
	ds_store_b64 v14, v[12:13]
	s_cbranch_execz .LBB177_22
	s_branch .LBB177_33
.LBB177_21:
                                        ; implicit-def: $vgpr4
                                        ; implicit-def: $vgpr1_vgpr2
.LBB177_22:
	s_mov_b32 s1, 0
                                        ; implicit-def: $vgpr1_vgpr2
	s_and_saveexec_b32 s12, s0
	s_delay_alu instid0(SALU_CYCLE_1)
	s_xor_b32 s0, exec_lo, s12
	s_cbranch_execnz .LBB177_54
; %bb.23:
	s_and_not1_saveexec_b32 s0, s0
	s_cbranch_execnz .LBB177_57
.LBB177_24:
	s_or_b32 exec_lo, exec_lo, s0
	s_and_saveexec_b32 s0, s1
	s_cbranch_execz .LBB177_26
.LBB177_25:
	global_load_b64 v[1:2], v[1:2], off
	v_mad_u32_u24 v3, v0, 7, v0
	s_waitcnt vmcnt(0)
	ds_store_b64 v3, v[1:2]
.LBB177_26:
	s_or_b32 exec_lo, exec_lo, s0
	s_delay_alu instid0(SALU_CYCLE_1)
	s_mov_b32 s0, exec_lo
                                        ; implicit-def: $vgpr4
                                        ; implicit-def: $vgpr1_vgpr2
	v_cmpx_le_u32_e64 s17, v9
	s_xor_b32 s0, exec_lo, s0
	s_cbranch_execz .LBB177_30
; %bb.27:
	v_subrev_nc_u32_e32 v3, s17, v9
	s_mov_b32 s12, s5
	s_mov_b32 s1, exec_lo
                                        ; implicit-def: $vgpr4
                                        ; implicit-def: $vgpr1_vgpr2
	s_delay_alu instid0(VALU_DEP_1)
	v_cmpx_gt_u32_e64 s23, v3
; %bb.28:
	v_mov_b32_e32 v4, 0
	v_mul_u32_u24_e32 v12, 7, v0
	s_or_b32 s12, s5, exec_lo
	s_delay_alu instid0(VALU_DEP_2) | instskip(NEXT) | instid1(VALU_DEP_2)
	v_lshlrev_b64 v[1:2], 3, v[3:4]
	v_add3_u32 v4, v0, v12, 0x1000
	s_delay_alu instid0(VALU_DEP_2) | instskip(NEXT) | instid1(VALU_DEP_3)
	v_add_co_u32 v1, vcc_lo, s8, v1
	v_add_co_ci_u32_e32 v2, vcc_lo, s9, v2, vcc_lo
; %bb.29:
	s_or_b32 exec_lo, exec_lo, s1
	s_delay_alu instid0(SALU_CYCLE_1) | instskip(SKIP_1) | instid1(SALU_CYCLE_1)
	s_and_not1_b32 s1, s5, exec_lo
	s_and_b32 s5, s12, exec_lo
	s_or_b32 s5, s1, s5
.LBB177_30:
	s_and_not1_saveexec_b32 s0, s0
; %bb.31:
	v_lshlrev_b32_e32 v1, 3, v9
	v_mul_u32_u24_e32 v3, 7, v0
	s_or_b32 s5, s5, exec_lo
	s_delay_alu instid0(VALU_DEP_2) | instskip(NEXT) | instid1(VALU_DEP_1)
	v_add_co_u32 v1, s1, s2, v1
	v_add_co_ci_u32_e64 v2, null, s4, 0, s1
	s_delay_alu instid0(VALU_DEP_3)
	v_add3_u32 v4, v0, v3, 0x1000
; %bb.32:
	s_or_b32 exec_lo, exec_lo, s0
.LBB177_33:
	s_and_saveexec_b32 s0, s5
	s_cbranch_execz .LBB177_35
; %bb.34:
	global_load_b64 v[1:2], v[1:2], off
	s_waitcnt vmcnt(0)
	ds_store_b64 v4, v[1:2]
.LBB177_35:
	s_or_b32 exec_lo, exec_lo, s0
	v_add_nc_u32_e32 v1, s3, v6
	s_and_not1_b32 vcc_lo, exec_lo, s18
	s_waitcnt lgkmcnt(0)
	s_barrier
	buffer_gl0_inv
	s_cbranch_vccnz .LBB177_37
; %bb.36:
	v_lshlrev_b32_e32 v2, 3, v11
	s_mov_b32 s0, -1
	ds_load_b64 v[3:4], v2
	v_mov_b32_e32 v2, 0
	s_delay_alu instid0(VALU_DEP_1) | instskip(NEXT) | instid1(VALU_DEP_1)
	v_lshlrev_b64 v[12:13], 3, v[1:2]
	v_add_co_u32 v12, vcc_lo, s10, v12
	s_delay_alu instid0(VALU_DEP_2)
	v_add_co_ci_u32_e32 v13, vcc_lo, s11, v13, vcc_lo
	s_waitcnt lgkmcnt(0)
	global_store_b64 v[12:13], v[3:4], off
	s_cbranch_execz .LBB177_38
	s_branch .LBB177_43
.LBB177_37:
	s_mov_b32 s0, 0
.LBB177_38:
	s_mov_b32 s1, exec_lo
	v_cmpx_lt_u32_e64 v6, v8
	s_cbranch_execz .LBB177_40
; %bb.39:
	v_lshlrev_b32_e32 v2, 3, v11
	ds_load_b64 v[3:4], v2
	v_mov_b32_e32 v2, 0
	s_delay_alu instid0(VALU_DEP_1) | instskip(NEXT) | instid1(VALU_DEP_1)
	v_lshlrev_b64 v[11:12], 3, v[1:2]
	v_add_co_u32 v11, vcc_lo, s10, v11
	s_delay_alu instid0(VALU_DEP_2)
	v_add_co_ci_u32_e32 v12, vcc_lo, s11, v12, vcc_lo
	s_waitcnt lgkmcnt(0)
	global_store_b64 v[11:12], v[3:4], off
.LBB177_40:
	s_or_b32 exec_lo, exec_lo, s1
	v_or_b32_e32 v2, 1, v6
	s_mov_b32 s1, exec_lo
	s_delay_alu instid0(VALU_DEP_1)
	v_cmpx_lt_u32_e64 v2, v8
; %bb.41:
	v_mov_b32_e32 v2, 0
	s_or_b32 s0, s0, exec_lo
; %bb.42:
	s_or_b32 exec_lo, exec_lo, s1
.LBB177_43:
	s_and_saveexec_b32 s1, s0
	s_cbranch_execz .LBB177_45
; %bb.44:
	v_lshlrev_b32_e32 v3, 3, v10
	v_lshlrev_b64 v[1:2], 3, v[1:2]
	ds_load_b64 v[3:4], v3
	v_add_co_u32 v1, vcc_lo, s10, v1
	v_add_co_ci_u32_e32 v2, vcc_lo, s11, v2, vcc_lo
	s_waitcnt lgkmcnt(0)
	global_store_b64 v[1:2], v[3:4], off offset:8
.LBB177_45:
	s_or_b32 exec_lo, exec_lo, s1
	v_lshrrev_b32_e32 v1, 4, v0
	v_and_b32_e32 v2, 0xff, v5
	v_lshlrev_b16 v3, 8, v7
	v_lshrrev_b32_e32 v4, 5, v9
	s_add_u32 s1, s6, s3
	v_and_b32_e32 v1, 28, v1
	s_waitcnt_vscnt null, 0x0
	v_or_b32_e32 v2, v2, v3
	v_lshrrev_b32_e32 v3, 5, v0
	v_and_b32_e32 v4, 28, v4
	v_add_nc_u32_e32 v1, v1, v6
	s_barrier
	buffer_gl0_inv
	s_barrier
	buffer_gl0_inv
	s_addc_u32 s2, s7, 0
	ds_store_b16 v1, v2
	v_add_co_u32 v1, s1, s1, v0
	v_and_b32_e32 v3, 12, v3
	v_add_co_ci_u32_e64 v2, null, s2, 0, s1
	v_add_nc_u32_e32 v5, v0, v4
	s_mov_b32 s0, 0
	s_and_b32 vcc_lo, exec_lo, s18
	s_waitcnt lgkmcnt(0)
	s_cbranch_vccz .LBB177_47
; %bb.46:
	v_add_nc_u32_e32 v4, v0, v3
	s_barrier
	buffer_gl0_inv
	s_mov_b32 s0, -1
	ds_load_u8 v6, v4
	ds_load_u8 v4, v5 offset:512
	s_waitcnt lgkmcnt(1)
	global_store_b8 v[1:2], v6, off
	s_cbranch_execz .LBB177_48
	s_branch .LBB177_51
.LBB177_47:
                                        ; implicit-def: $vgpr4
.LBB177_48:
	s_waitcnt lgkmcnt(0)
	s_waitcnt_vscnt null, 0x0
	s_barrier
	buffer_gl0_inv
	ds_load_u8 v4, v5 offset:512
	s_sub_i32 s0, s16, s3
	s_mov_b32 s1, exec_lo
	v_cmpx_gt_u32_e64 s0, v0
	s_cbranch_execz .LBB177_50
; %bb.49:
	v_add_nc_u32_e32 v0, v0, v3
	ds_load_u8 v0, v0
	s_waitcnt lgkmcnt(0)
	global_store_b8 v[1:2], v0, off
.LBB177_50:
	s_or_b32 exec_lo, exec_lo, s1
	v_cmp_gt_u32_e64 s0, s0, v9
.LBB177_51:
	s_delay_alu instid0(VALU_DEP_1)
	s_and_saveexec_b32 s1, s0
	s_cbranch_execz .LBB177_53
; %bb.52:
	s_waitcnt lgkmcnt(0)
	global_store_b8 v[1:2], v4, off offset:512
.LBB177_53:
	s_nop 0
	s_sendmsg sendmsg(MSG_DEALLOC_VGPRS)
	s_endpgm
.LBB177_54:
	v_subrev_nc_u32_e32 v3, s17, v0
	s_mov_b32 s12, exec_lo
                                        ; implicit-def: $vgpr1_vgpr2
	s_delay_alu instid0(VALU_DEP_1)
	v_cmpx_gt_u32_e64 s23, v3
	s_xor_b32 s12, exec_lo, s12
; %bb.55:
	v_mov_b32_e32 v4, 0
	s_mov_b32 s1, exec_lo
	s_delay_alu instid0(VALU_DEP_1) | instskip(NEXT) | instid1(VALU_DEP_1)
	v_lshlrev_b64 v[1:2], 3, v[3:4]
	v_add_co_u32 v1, vcc_lo, s8, v1
	s_delay_alu instid0(VALU_DEP_2)
	v_add_co_ci_u32_e32 v2, vcc_lo, s9, v2, vcc_lo
; %bb.56:
	s_or_b32 exec_lo, exec_lo, s12
	s_delay_alu instid0(SALU_CYCLE_1)
	s_and_b32 s1, s1, exec_lo
	s_and_not1_saveexec_b32 s0, s0
	s_cbranch_execz .LBB177_24
.LBB177_57:
	v_lshlrev_b32_e32 v1, 3, v0
	s_or_b32 s1, s1, exec_lo
	s_delay_alu instid0(VALU_DEP_1) | instskip(NEXT) | instid1(VALU_DEP_1)
	v_add_co_u32 v1, s12, s2, v1
	v_add_co_ci_u32_e64 v2, null, s4, 0, s12
	s_or_b32 exec_lo, exec_lo, s0
	s_and_saveexec_b32 s0, s1
	s_cbranch_execnz .LBB177_25
	s_branch .LBB177_26
	.section	.rodata,"a",@progbits
	.p2align	6, 0x0
	.amdhsa_kernel _ZN7rocprim17ROCPRIM_304000_NS6detail35device_block_merge_mergepath_kernelINS1_37wrapped_merge_sort_block_merge_configINS0_14default_configEbN2at4cuda3cub6detail10OpaqueTypeILi8EEEEEPbSC_PSA_SD_jNS1_19radix_merge_compareILb0ELb1EbNS0_19identity_decomposerEEEEEvT0_T1_T2_T3_T4_SL_jT5_PKSL_NS1_7vsmem_tE
		.amdhsa_group_segment_fixed_size 8208
		.amdhsa_private_segment_fixed_size 0
		.amdhsa_kernarg_size 320
		.amdhsa_user_sgpr_count 13
		.amdhsa_user_sgpr_dispatch_ptr 0
		.amdhsa_user_sgpr_queue_ptr 0
		.amdhsa_user_sgpr_kernarg_segment_ptr 1
		.amdhsa_user_sgpr_dispatch_id 0
		.amdhsa_user_sgpr_private_segment_size 0
		.amdhsa_wavefront_size32 1
		.amdhsa_uses_dynamic_stack 0
		.amdhsa_enable_private_segment 0
		.amdhsa_system_sgpr_workgroup_id_x 1
		.amdhsa_system_sgpr_workgroup_id_y 1
		.amdhsa_system_sgpr_workgroup_id_z 1
		.amdhsa_system_sgpr_workgroup_info 0
		.amdhsa_system_vgpr_workitem_id 0
		.amdhsa_next_free_vgpr 17
		.amdhsa_next_free_sgpr 27
		.amdhsa_reserve_vcc 1
		.amdhsa_float_round_mode_32 0
		.amdhsa_float_round_mode_16_64 0
		.amdhsa_float_denorm_mode_32 3
		.amdhsa_float_denorm_mode_16_64 3
		.amdhsa_dx10_clamp 1
		.amdhsa_ieee_mode 1
		.amdhsa_fp16_overflow 0
		.amdhsa_workgroup_processor_mode 1
		.amdhsa_memory_ordered 1
		.amdhsa_forward_progress 0
		.amdhsa_shared_vgpr_count 0
		.amdhsa_exception_fp_ieee_invalid_op 0
		.amdhsa_exception_fp_denorm_src 0
		.amdhsa_exception_fp_ieee_div_zero 0
		.amdhsa_exception_fp_ieee_overflow 0
		.amdhsa_exception_fp_ieee_underflow 0
		.amdhsa_exception_fp_ieee_inexact 0
		.amdhsa_exception_int_div_zero 0
	.end_amdhsa_kernel
	.section	.text._ZN7rocprim17ROCPRIM_304000_NS6detail35device_block_merge_mergepath_kernelINS1_37wrapped_merge_sort_block_merge_configINS0_14default_configEbN2at4cuda3cub6detail10OpaqueTypeILi8EEEEEPbSC_PSA_SD_jNS1_19radix_merge_compareILb0ELb1EbNS0_19identity_decomposerEEEEEvT0_T1_T2_T3_T4_SL_jT5_PKSL_NS1_7vsmem_tE,"axG",@progbits,_ZN7rocprim17ROCPRIM_304000_NS6detail35device_block_merge_mergepath_kernelINS1_37wrapped_merge_sort_block_merge_configINS0_14default_configEbN2at4cuda3cub6detail10OpaqueTypeILi8EEEEEPbSC_PSA_SD_jNS1_19radix_merge_compareILb0ELb1EbNS0_19identity_decomposerEEEEEvT0_T1_T2_T3_T4_SL_jT5_PKSL_NS1_7vsmem_tE,comdat
.Lfunc_end177:
	.size	_ZN7rocprim17ROCPRIM_304000_NS6detail35device_block_merge_mergepath_kernelINS1_37wrapped_merge_sort_block_merge_configINS0_14default_configEbN2at4cuda3cub6detail10OpaqueTypeILi8EEEEEPbSC_PSA_SD_jNS1_19radix_merge_compareILb0ELb1EbNS0_19identity_decomposerEEEEEvT0_T1_T2_T3_T4_SL_jT5_PKSL_NS1_7vsmem_tE, .Lfunc_end177-_ZN7rocprim17ROCPRIM_304000_NS6detail35device_block_merge_mergepath_kernelINS1_37wrapped_merge_sort_block_merge_configINS0_14default_configEbN2at4cuda3cub6detail10OpaqueTypeILi8EEEEEPbSC_PSA_SD_jNS1_19radix_merge_compareILb0ELb1EbNS0_19identity_decomposerEEEEEvT0_T1_T2_T3_T4_SL_jT5_PKSL_NS1_7vsmem_tE
                                        ; -- End function
	.section	.AMDGPU.csdata,"",@progbits
; Kernel info:
; codeLenInByte = 2360
; NumSgprs: 29
; NumVgprs: 17
; ScratchSize: 0
; MemoryBound: 1
; FloatMode: 240
; IeeeMode: 1
; LDSByteSize: 8208 bytes/workgroup (compile time only)
; SGPRBlocks: 3
; VGPRBlocks: 2
; NumSGPRsForWavesPerEU: 29
; NumVGPRsForWavesPerEU: 17
; Occupancy: 16
; WaveLimiterHint : 1
; COMPUTE_PGM_RSRC2:SCRATCH_EN: 0
; COMPUTE_PGM_RSRC2:USER_SGPR: 13
; COMPUTE_PGM_RSRC2:TRAP_HANDLER: 0
; COMPUTE_PGM_RSRC2:TGID_X_EN: 1
; COMPUTE_PGM_RSRC2:TGID_Y_EN: 1
; COMPUTE_PGM_RSRC2:TGID_Z_EN: 1
; COMPUTE_PGM_RSRC2:TIDIG_COMP_CNT: 0
	.section	.text._ZN7rocprim17ROCPRIM_304000_NS6detail33device_block_merge_oddeven_kernelINS1_37wrapped_merge_sort_block_merge_configINS0_14default_configEbN2at4cuda3cub6detail10OpaqueTypeILi8EEEEEPbSC_PSA_SD_jNS1_19radix_merge_compareILb0ELb1EbNS0_19identity_decomposerEEEEEvT0_T1_T2_T3_T4_SL_T5_,"axG",@progbits,_ZN7rocprim17ROCPRIM_304000_NS6detail33device_block_merge_oddeven_kernelINS1_37wrapped_merge_sort_block_merge_configINS0_14default_configEbN2at4cuda3cub6detail10OpaqueTypeILi8EEEEEPbSC_PSA_SD_jNS1_19radix_merge_compareILb0ELb1EbNS0_19identity_decomposerEEEEEvT0_T1_T2_T3_T4_SL_T5_,comdat
	.protected	_ZN7rocprim17ROCPRIM_304000_NS6detail33device_block_merge_oddeven_kernelINS1_37wrapped_merge_sort_block_merge_configINS0_14default_configEbN2at4cuda3cub6detail10OpaqueTypeILi8EEEEEPbSC_PSA_SD_jNS1_19radix_merge_compareILb0ELb1EbNS0_19identity_decomposerEEEEEvT0_T1_T2_T3_T4_SL_T5_ ; -- Begin function _ZN7rocprim17ROCPRIM_304000_NS6detail33device_block_merge_oddeven_kernelINS1_37wrapped_merge_sort_block_merge_configINS0_14default_configEbN2at4cuda3cub6detail10OpaqueTypeILi8EEEEEPbSC_PSA_SD_jNS1_19radix_merge_compareILb0ELb1EbNS0_19identity_decomposerEEEEEvT0_T1_T2_T3_T4_SL_T5_
	.globl	_ZN7rocprim17ROCPRIM_304000_NS6detail33device_block_merge_oddeven_kernelINS1_37wrapped_merge_sort_block_merge_configINS0_14default_configEbN2at4cuda3cub6detail10OpaqueTypeILi8EEEEEPbSC_PSA_SD_jNS1_19radix_merge_compareILb0ELb1EbNS0_19identity_decomposerEEEEEvT0_T1_T2_T3_T4_SL_T5_
	.p2align	8
	.type	_ZN7rocprim17ROCPRIM_304000_NS6detail33device_block_merge_oddeven_kernelINS1_37wrapped_merge_sort_block_merge_configINS0_14default_configEbN2at4cuda3cub6detail10OpaqueTypeILi8EEEEEPbSC_PSA_SD_jNS1_19radix_merge_compareILb0ELb1EbNS0_19identity_decomposerEEEEEvT0_T1_T2_T3_T4_SL_T5_,@function
_ZN7rocprim17ROCPRIM_304000_NS6detail33device_block_merge_oddeven_kernelINS1_37wrapped_merge_sort_block_merge_configINS0_14default_configEbN2at4cuda3cub6detail10OpaqueTypeILi8EEEEEPbSC_PSA_SD_jNS1_19radix_merge_compareILb0ELb1EbNS0_19identity_decomposerEEEEEvT0_T1_T2_T3_T4_SL_T5_: ; @_ZN7rocprim17ROCPRIM_304000_NS6detail33device_block_merge_oddeven_kernelINS1_37wrapped_merge_sort_block_merge_configINS0_14default_configEbN2at4cuda3cub6detail10OpaqueTypeILi8EEEEEPbSC_PSA_SD_jNS1_19radix_merge_compareILb0ELb1EbNS0_19identity_decomposerEEEEEvT0_T1_T2_T3_T4_SL_T5_
; %bb.0:
	s_load_b128 s[16:19], s[0:1], 0x20
	s_waitcnt lgkmcnt(0)
	s_lshr_b32 s2, s16, 8
	s_delay_alu instid0(SALU_CYCLE_1) | instskip(SKIP_4) | instid1(SALU_CYCLE_1)
	s_cmp_lg_u32 s15, s2
	s_cselect_b32 s4, -1, 0
	s_cmp_eq_u32 s15, s2
	s_cselect_b32 s3, -1, 0
	s_lshl_b32 s12, s15, 8
	s_sub_i32 s2, s16, s12
	s_delay_alu instid0(SALU_CYCLE_1) | instskip(NEXT) | instid1(VALU_DEP_1)
	v_cmp_gt_u32_e64 s2, s2, v0
	s_or_b32 s4, s4, s2
	s_delay_alu instid0(SALU_CYCLE_1)
	s_and_saveexec_b32 s5, s4
	s_cbranch_execz .LBB178_26
; %bb.1:
	s_load_b256 s[4:11], s[0:1], 0x0
	s_mov_b32 s13, 0
	v_lshlrev_b32_e32 v1, 3, v0
	v_add_nc_u32_e32 v5, s12, v0
	s_waitcnt lgkmcnt(0)
	s_add_u32 s0, s4, s12
	s_addc_u32 s1, s5, 0
	s_lshl_b64 s[20:21], s[12:13], 3
	s_delay_alu instid0(SALU_CYCLE_1) | instskip(SKIP_4) | instid1(SALU_CYCLE_1)
	s_add_u32 s8, s8, s20
	s_addc_u32 s9, s9, s21
	global_load_b64 v[1:2], v1, s[8:9]
	global_load_u8 v7, v0, s[0:1]
	s_lshr_b32 s0, s17, 8
	s_sub_i32 s1, 0, s0
	s_delay_alu instid0(SALU_CYCLE_1) | instskip(NEXT) | instid1(SALU_CYCLE_1)
	s_and_b32 s1, s15, s1
	s_and_b32 s0, s1, s0
	s_lshl_b32 s9, s1, 8
	s_sub_i32 s1, 0, s17
	s_cmp_eq_u32 s0, 0
	s_cselect_b32 s0, -1, 0
	s_delay_alu instid0(SALU_CYCLE_1) | instskip(SKIP_1) | instid1(SALU_CYCLE_1)
	s_and_b32 s8, s0, exec_lo
	s_cselect_b32 s1, s17, s1
	s_add_i32 s1, s1, s9
	s_delay_alu instid0(SALU_CYCLE_1)
	s_cmp_lt_u32 s1, s16
	s_cbranch_scc1 .LBB178_6
; %bb.2:
	s_and_b32 vcc_lo, exec_lo, s3
	s_cbranch_vccz .LBB178_7
; %bb.3:
	s_mov_b32 s8, 0
	s_mov_b32 s12, exec_lo
                                        ; implicit-def: $vgpr3_vgpr4
	v_cmpx_gt_u32_e64 s16, v5
	s_cbranch_execz .LBB178_5
; %bb.4:
	v_mov_b32_e32 v6, 0
	s_mov_b32 s13, exec_lo
	s_waitcnt vmcnt(0)
	global_store_b8 v5, v7, s[6:7]
	v_lshlrev_b64 v[3:4], 3, v[5:6]
	s_delay_alu instid0(VALU_DEP_1) | instskip(NEXT) | instid1(VALU_DEP_2)
	v_add_co_u32 v3, vcc_lo, s10, v3
	v_add_co_ci_u32_e32 v4, vcc_lo, s11, v4, vcc_lo
.LBB178_5:
	s_or_b32 exec_lo, exec_lo, s12
	s_delay_alu instid0(SALU_CYCLE_1)
	s_and_b32 vcc_lo, exec_lo, s8
	s_cbranch_vccnz .LBB178_8
	s_branch .LBB178_9
.LBB178_6:
                                        ; implicit-def: $vgpr3_vgpr4
	s_cbranch_execnz .LBB178_10
	s_branch .LBB178_24
.LBB178_7:
                                        ; implicit-def: $vgpr3_vgpr4
	s_cbranch_execz .LBB178_9
.LBB178_8:
	v_mov_b32_e32 v6, 0
	s_or_b32 s13, s13, exec_lo
	s_waitcnt vmcnt(0)
	global_store_b8 v5, v7, s[6:7]
	v_lshlrev_b64 v[3:4], 3, v[5:6]
	s_delay_alu instid0(VALU_DEP_1) | instskip(NEXT) | instid1(VALU_DEP_2)
	v_add_co_u32 v3, vcc_lo, s10, v3
	v_add_co_ci_u32_e32 v4, vcc_lo, s11, v4, vcc_lo
.LBB178_9:
	s_branch .LBB178_24
.LBB178_10:
	s_min_u32 s8, s1, s16
	s_and_b32 vcc_lo, exec_lo, s3
	s_add_i32 s12, s9, s8
	s_min_u32 s9, s9, s8
	v_subrev_nc_u32_e32 v0, s12, v5
	v_and_b32_e64 v5, s18, 1
	s_add_i32 s12, s8, s17
	s_delay_alu instid0(SALU_CYCLE_1) | instskip(NEXT) | instid1(VALU_DEP_2)
	s_min_u32 s3, s12, s16
	v_add_nc_u32_e32 v0, s9, v0
	s_cbranch_vccz .LBB178_18
; %bb.11:
                                        ; implicit-def: $vgpr3_vgpr4
	s_and_saveexec_b32 s9, s2
	s_cbranch_execz .LBB178_17
; %bb.12:
	v_mov_b32_e32 v3, s8
	s_cmp_ge_u32 s1, s3
	s_cbranch_scc1 .LBB178_16
; %bb.13:
	s_waitcnt vmcnt(0)
	v_dual_mov_b32 v3, s8 :: v_dual_and_b32 v4, v7, v5
	v_mov_b32_e32 v6, s3
	s_mov_b32 s2, 0
	.p2align	6
.LBB178_14:                             ; =>This Inner Loop Header: Depth=1
	s_delay_alu instid0(VALU_DEP_1) | instskip(NEXT) | instid1(VALU_DEP_1)
	v_add_nc_u32_e32 v8, v3, v6
	v_lshrrev_b32_e32 v8, 1, v8
	global_load_u8 v9, v8, s[4:5]
	s_waitcnt vmcnt(0)
	v_and_b32_e32 v9, v9, v5
	s_delay_alu instid0(VALU_DEP_1) | instskip(SKIP_3) | instid1(VALU_DEP_1)
	v_cmp_gt_u16_e32 vcc_lo, v4, v9
	v_cndmask_b32_e64 v10, 0, 1, vcc_lo
	v_cmp_le_u16_e32 vcc_lo, v9, v4
	v_cndmask_b32_e64 v9, 0, 1, vcc_lo
	v_cndmask_b32_e64 v9, v9, v10, s0
	v_add_nc_u32_e32 v10, 1, v8
	s_delay_alu instid0(VALU_DEP_2) | instskip(NEXT) | instid1(VALU_DEP_1)
	v_and_b32_e32 v9, 1, v9
	v_cmp_eq_u32_e32 vcc_lo, 1, v9
	v_cndmask_b32_e32 v6, v8, v6, vcc_lo
	s_delay_alu instid0(VALU_DEP_4) | instskip(NEXT) | instid1(VALU_DEP_1)
	v_cndmask_b32_e32 v3, v3, v10, vcc_lo
	v_cmp_ge_u32_e32 vcc_lo, v3, v6
	s_or_b32 s2, vcc_lo, s2
	s_delay_alu instid0(SALU_CYCLE_1)
	s_and_not1_b32 exec_lo, exec_lo, s2
	s_cbranch_execnz .LBB178_14
; %bb.15:
	s_or_b32 exec_lo, exec_lo, s2
.LBB178_16:
	s_delay_alu instid0(VALU_DEP_1) | instskip(SKIP_4) | instid1(VALU_DEP_1)
	v_dual_mov_b32 v9, 0 :: v_dual_add_nc_u32 v8, v3, v0
	s_or_b32 s13, s13, exec_lo
	s_waitcnt vmcnt(0)
	global_store_b8 v8, v7, s[6:7]
	v_lshlrev_b64 v[3:4], 3, v[8:9]
	v_add_co_u32 v3, vcc_lo, s10, v3
	s_delay_alu instid0(VALU_DEP_2)
	v_add_co_ci_u32_e32 v4, vcc_lo, s11, v4, vcc_lo
.LBB178_17:
	s_or_b32 exec_lo, exec_lo, s9
	s_branch .LBB178_24
.LBB178_18:
                                        ; implicit-def: $vgpr3_vgpr4
	s_cbranch_execz .LBB178_24
; %bb.19:
	v_mov_b32_e32 v3, s8
	s_cmp_ge_u32 s1, s3
	s_cbranch_scc1 .LBB178_23
; %bb.20:
	s_waitcnt vmcnt(0)
	v_dual_mov_b32 v3, s8 :: v_dual_and_b32 v4, v7, v5
	v_mov_b32_e32 v6, s3
	s_mov_b32 s1, 0
	.p2align	6
.LBB178_21:                             ; =>This Inner Loop Header: Depth=1
	s_delay_alu instid0(VALU_DEP_1) | instskip(NEXT) | instid1(VALU_DEP_1)
	v_add_nc_u32_e32 v8, v3, v6
	v_lshrrev_b32_e32 v8, 1, v8
	global_load_u8 v9, v8, s[4:5]
	s_waitcnt vmcnt(0)
	v_and_b32_e32 v9, v9, v5
	s_delay_alu instid0(VALU_DEP_1) | instskip(SKIP_3) | instid1(VALU_DEP_1)
	v_cmp_gt_u16_e32 vcc_lo, v4, v9
	v_cndmask_b32_e64 v10, 0, 1, vcc_lo
	v_cmp_le_u16_e32 vcc_lo, v9, v4
	v_cndmask_b32_e64 v9, 0, 1, vcc_lo
	v_cndmask_b32_e64 v9, v9, v10, s0
	v_add_nc_u32_e32 v10, 1, v8
	s_delay_alu instid0(VALU_DEP_2) | instskip(NEXT) | instid1(VALU_DEP_1)
	v_and_b32_e32 v9, 1, v9
	v_cmp_eq_u32_e32 vcc_lo, 1, v9
	v_cndmask_b32_e32 v6, v8, v6, vcc_lo
	s_delay_alu instid0(VALU_DEP_4) | instskip(NEXT) | instid1(VALU_DEP_1)
	v_cndmask_b32_e32 v3, v3, v10, vcc_lo
	v_cmp_ge_u32_e32 vcc_lo, v3, v6
	s_or_b32 s1, vcc_lo, s1
	s_delay_alu instid0(SALU_CYCLE_1)
	s_and_not1_b32 exec_lo, exec_lo, s1
	s_cbranch_execnz .LBB178_21
; %bb.22:
	s_or_b32 exec_lo, exec_lo, s1
.LBB178_23:
	s_delay_alu instid0(VALU_DEP_1) | instskip(SKIP_4) | instid1(VALU_DEP_1)
	v_dual_mov_b32 v6, 0 :: v_dual_add_nc_u32 v5, v3, v0
	s_mov_b32 s13, -1
	s_waitcnt vmcnt(0)
	global_store_b8 v5, v7, s[6:7]
	v_lshlrev_b64 v[3:4], 3, v[5:6]
	v_add_co_u32 v3, vcc_lo, s10, v3
	s_delay_alu instid0(VALU_DEP_2)
	v_add_co_ci_u32_e32 v4, vcc_lo, s11, v4, vcc_lo
.LBB178_24:
	s_and_b32 exec_lo, exec_lo, s13
	s_cbranch_execz .LBB178_26
; %bb.25:
	s_waitcnt vmcnt(1)
	global_store_b64 v[3:4], v[1:2], off
.LBB178_26:
	s_nop 0
	s_sendmsg sendmsg(MSG_DEALLOC_VGPRS)
	s_endpgm
	.section	.rodata,"a",@progbits
	.p2align	6, 0x0
	.amdhsa_kernel _ZN7rocprim17ROCPRIM_304000_NS6detail33device_block_merge_oddeven_kernelINS1_37wrapped_merge_sort_block_merge_configINS0_14default_configEbN2at4cuda3cub6detail10OpaqueTypeILi8EEEEEPbSC_PSA_SD_jNS1_19radix_merge_compareILb0ELb1EbNS0_19identity_decomposerEEEEEvT0_T1_T2_T3_T4_SL_T5_
		.amdhsa_group_segment_fixed_size 0
		.amdhsa_private_segment_fixed_size 0
		.amdhsa_kernarg_size 44
		.amdhsa_user_sgpr_count 15
		.amdhsa_user_sgpr_dispatch_ptr 0
		.amdhsa_user_sgpr_queue_ptr 0
		.amdhsa_user_sgpr_kernarg_segment_ptr 1
		.amdhsa_user_sgpr_dispatch_id 0
		.amdhsa_user_sgpr_private_segment_size 0
		.amdhsa_wavefront_size32 1
		.amdhsa_uses_dynamic_stack 0
		.amdhsa_enable_private_segment 0
		.amdhsa_system_sgpr_workgroup_id_x 1
		.amdhsa_system_sgpr_workgroup_id_y 0
		.amdhsa_system_sgpr_workgroup_id_z 0
		.amdhsa_system_sgpr_workgroup_info 0
		.amdhsa_system_vgpr_workitem_id 0
		.amdhsa_next_free_vgpr 11
		.amdhsa_next_free_sgpr 22
		.amdhsa_reserve_vcc 1
		.amdhsa_float_round_mode_32 0
		.amdhsa_float_round_mode_16_64 0
		.amdhsa_float_denorm_mode_32 3
		.amdhsa_float_denorm_mode_16_64 3
		.amdhsa_dx10_clamp 1
		.amdhsa_ieee_mode 1
		.amdhsa_fp16_overflow 0
		.amdhsa_workgroup_processor_mode 1
		.amdhsa_memory_ordered 1
		.amdhsa_forward_progress 0
		.amdhsa_shared_vgpr_count 0
		.amdhsa_exception_fp_ieee_invalid_op 0
		.amdhsa_exception_fp_denorm_src 0
		.amdhsa_exception_fp_ieee_div_zero 0
		.amdhsa_exception_fp_ieee_overflow 0
		.amdhsa_exception_fp_ieee_underflow 0
		.amdhsa_exception_fp_ieee_inexact 0
		.amdhsa_exception_int_div_zero 0
	.end_amdhsa_kernel
	.section	.text._ZN7rocprim17ROCPRIM_304000_NS6detail33device_block_merge_oddeven_kernelINS1_37wrapped_merge_sort_block_merge_configINS0_14default_configEbN2at4cuda3cub6detail10OpaqueTypeILi8EEEEEPbSC_PSA_SD_jNS1_19radix_merge_compareILb0ELb1EbNS0_19identity_decomposerEEEEEvT0_T1_T2_T3_T4_SL_T5_,"axG",@progbits,_ZN7rocprim17ROCPRIM_304000_NS6detail33device_block_merge_oddeven_kernelINS1_37wrapped_merge_sort_block_merge_configINS0_14default_configEbN2at4cuda3cub6detail10OpaqueTypeILi8EEEEEPbSC_PSA_SD_jNS1_19radix_merge_compareILb0ELb1EbNS0_19identity_decomposerEEEEEvT0_T1_T2_T3_T4_SL_T5_,comdat
.Lfunc_end178:
	.size	_ZN7rocprim17ROCPRIM_304000_NS6detail33device_block_merge_oddeven_kernelINS1_37wrapped_merge_sort_block_merge_configINS0_14default_configEbN2at4cuda3cub6detail10OpaqueTypeILi8EEEEEPbSC_PSA_SD_jNS1_19radix_merge_compareILb0ELb1EbNS0_19identity_decomposerEEEEEvT0_T1_T2_T3_T4_SL_T5_, .Lfunc_end178-_ZN7rocprim17ROCPRIM_304000_NS6detail33device_block_merge_oddeven_kernelINS1_37wrapped_merge_sort_block_merge_configINS0_14default_configEbN2at4cuda3cub6detail10OpaqueTypeILi8EEEEEPbSC_PSA_SD_jNS1_19radix_merge_compareILb0ELb1EbNS0_19identity_decomposerEEEEEvT0_T1_T2_T3_T4_SL_T5_
                                        ; -- End function
	.section	.AMDGPU.csdata,"",@progbits
; Kernel info:
; codeLenInByte = 852
; NumSgprs: 24
; NumVgprs: 11
; ScratchSize: 0
; MemoryBound: 0
; FloatMode: 240
; IeeeMode: 1
; LDSByteSize: 0 bytes/workgroup (compile time only)
; SGPRBlocks: 2
; VGPRBlocks: 1
; NumSGPRsForWavesPerEU: 24
; NumVGPRsForWavesPerEU: 11
; Occupancy: 16
; WaveLimiterHint : 0
; COMPUTE_PGM_RSRC2:SCRATCH_EN: 0
; COMPUTE_PGM_RSRC2:USER_SGPR: 15
; COMPUTE_PGM_RSRC2:TRAP_HANDLER: 0
; COMPUTE_PGM_RSRC2:TGID_X_EN: 1
; COMPUTE_PGM_RSRC2:TGID_Y_EN: 0
; COMPUTE_PGM_RSRC2:TGID_Z_EN: 0
; COMPUTE_PGM_RSRC2:TIDIG_COMP_CNT: 0
	.section	.text._ZN7rocprim17ROCPRIM_304000_NS6detail26onesweep_histograms_kernelINS1_34wrapped_radix_sort_onesweep_configINS0_14default_configEbN2at4cuda3cub6detail10OpaqueTypeILi8EEEEELb0EPKbmNS0_19identity_decomposerEEEvT1_PT2_SG_SG_T3_jj,"axG",@progbits,_ZN7rocprim17ROCPRIM_304000_NS6detail26onesweep_histograms_kernelINS1_34wrapped_radix_sort_onesweep_configINS0_14default_configEbN2at4cuda3cub6detail10OpaqueTypeILi8EEEEELb0EPKbmNS0_19identity_decomposerEEEvT1_PT2_SG_SG_T3_jj,comdat
	.protected	_ZN7rocprim17ROCPRIM_304000_NS6detail26onesweep_histograms_kernelINS1_34wrapped_radix_sort_onesweep_configINS0_14default_configEbN2at4cuda3cub6detail10OpaqueTypeILi8EEEEELb0EPKbmNS0_19identity_decomposerEEEvT1_PT2_SG_SG_T3_jj ; -- Begin function _ZN7rocprim17ROCPRIM_304000_NS6detail26onesweep_histograms_kernelINS1_34wrapped_radix_sort_onesweep_configINS0_14default_configEbN2at4cuda3cub6detail10OpaqueTypeILi8EEEEELb0EPKbmNS0_19identity_decomposerEEEvT1_PT2_SG_SG_T3_jj
	.globl	_ZN7rocprim17ROCPRIM_304000_NS6detail26onesweep_histograms_kernelINS1_34wrapped_radix_sort_onesweep_configINS0_14default_configEbN2at4cuda3cub6detail10OpaqueTypeILi8EEEEELb0EPKbmNS0_19identity_decomposerEEEvT1_PT2_SG_SG_T3_jj
	.p2align	8
	.type	_ZN7rocprim17ROCPRIM_304000_NS6detail26onesweep_histograms_kernelINS1_34wrapped_radix_sort_onesweep_configINS0_14default_configEbN2at4cuda3cub6detail10OpaqueTypeILi8EEEEELb0EPKbmNS0_19identity_decomposerEEEvT1_PT2_SG_SG_T3_jj,@function
_ZN7rocprim17ROCPRIM_304000_NS6detail26onesweep_histograms_kernelINS1_34wrapped_radix_sort_onesweep_configINS0_14default_configEbN2at4cuda3cub6detail10OpaqueTypeILi8EEEEELb0EPKbmNS0_19identity_decomposerEEEvT1_PT2_SG_SG_T3_jj: ; @_ZN7rocprim17ROCPRIM_304000_NS6detail26onesweep_histograms_kernelINS1_34wrapped_radix_sort_onesweep_configINS0_14default_configEbN2at4cuda3cub6detail10OpaqueTypeILi8EEEEELb0EPKbmNS0_19identity_decomposerEEEvT1_PT2_SG_SG_T3_jj
; %bb.0:
	s_clause 0x1
	s_load_b256 s[20:27], s[0:1], 0x0
	s_load_b64 s[28:29], s[0:1], 0x24
	s_mov_b32 s2, s15
	s_mov_b32 s3, 0
	s_mul_i32 s1, s15, 0x1600
	s_waitcnt lgkmcnt(0)
	v_cmp_ge_u64_e64 s0, s[2:3], s[26:27]
	s_mul_hi_u32 s2, s15, 0x1600
	s_add_u32 s30, s20, s1
	s_addc_u32 s31, s21, s2
	s_delay_alu instid0(VALU_DEP_1)
	s_and_b32 vcc_lo, exec_lo, s0
	s_mov_b32 s0, -1
	s_cbranch_vccz .LBB179_142
; %bb.1:
	s_mul_i32 s21, s26, 0xffffea00
	v_add_co_u32 v1, s0, s30, v0
	s_add_i32 s21, s21, s24
	v_add_co_ci_u32_e64 v2, null, s31, 0, s0
	v_cmp_gt_u32_e64 s20, s21, v0
                                        ; implicit-def: $vgpr24
	s_delay_alu instid0(VALU_DEP_1)
	s_and_saveexec_b32 s0, s20
	s_cbranch_execz .LBB179_3
; %bb.2:
	global_load_u8 v24, v[1:2], off
.LBB179_3:
	s_or_b32 exec_lo, exec_lo, s0
	v_or_b32_e32 v3, 0x100, v0
                                        ; implicit-def: $vgpr23
	s_delay_alu instid0(VALU_DEP_1) | instskip(NEXT) | instid1(VALU_DEP_1)
	v_cmp_gt_u32_e64 s19, s21, v3
	s_and_saveexec_b32 s0, s19
	s_cbranch_execz .LBB179_5
; %bb.4:
	global_load_u8 v23, v[1:2], off offset:256
.LBB179_5:
	s_or_b32 exec_lo, exec_lo, s0
	v_or_b32_e32 v3, 0x200, v0
                                        ; implicit-def: $vgpr22
	s_delay_alu instid0(VALU_DEP_1) | instskip(NEXT) | instid1(VALU_DEP_1)
	v_cmp_gt_u32_e64 s18, s21, v3
	s_and_saveexec_b32 s0, s18
	s_cbranch_execz .LBB179_7
; %bb.6:
	global_load_u8 v22, v[1:2], off offset:512
.LBB179_7:
	s_or_b32 exec_lo, exec_lo, s0
	v_or_b32_e32 v3, 0x300, v0
                                        ; implicit-def: $vgpr21
	s_delay_alu instid0(VALU_DEP_1) | instskip(NEXT) | instid1(VALU_DEP_1)
	v_cmp_gt_u32_e64 s17, s21, v3
	s_and_saveexec_b32 s0, s17
	s_cbranch_execz .LBB179_9
; %bb.8:
	global_load_u8 v21, v[1:2], off offset:768
.LBB179_9:
	s_or_b32 exec_lo, exec_lo, s0
	v_or_b32_e32 v3, 0x400, v0
                                        ; implicit-def: $vgpr20
	s_delay_alu instid0(VALU_DEP_1) | instskip(NEXT) | instid1(VALU_DEP_1)
	v_cmp_gt_u32_e64 s16, s21, v3
	s_and_saveexec_b32 s0, s16
	s_cbranch_execz .LBB179_11
; %bb.10:
	global_load_u8 v20, v[1:2], off offset:1024
.LBB179_11:
	s_or_b32 exec_lo, exec_lo, s0
	v_or_b32_e32 v3, 0x500, v0
                                        ; implicit-def: $vgpr19
	s_delay_alu instid0(VALU_DEP_1) | instskip(NEXT) | instid1(VALU_DEP_1)
	v_cmp_gt_u32_e64 s15, s21, v3
	s_and_saveexec_b32 s0, s15
	s_cbranch_execz .LBB179_13
; %bb.12:
	global_load_u8 v19, v[1:2], off offset:1280
.LBB179_13:
	s_or_b32 exec_lo, exec_lo, s0
	v_or_b32_e32 v3, 0x600, v0
                                        ; implicit-def: $vgpr18
	s_delay_alu instid0(VALU_DEP_1) | instskip(NEXT) | instid1(VALU_DEP_1)
	v_cmp_gt_u32_e64 s14, s21, v3
	s_and_saveexec_b32 s0, s14
	s_cbranch_execz .LBB179_15
; %bb.14:
	global_load_u8 v18, v[1:2], off offset:1536
.LBB179_15:
	s_or_b32 exec_lo, exec_lo, s0
	v_or_b32_e32 v3, 0x700, v0
                                        ; implicit-def: $vgpr17
	s_delay_alu instid0(VALU_DEP_1) | instskip(NEXT) | instid1(VALU_DEP_1)
	v_cmp_gt_u32_e64 s13, s21, v3
	s_and_saveexec_b32 s0, s13
	s_cbranch_execz .LBB179_17
; %bb.16:
	global_load_u8 v17, v[1:2], off offset:1792
.LBB179_17:
	s_or_b32 exec_lo, exec_lo, s0
	v_or_b32_e32 v3, 0x800, v0
                                        ; implicit-def: $vgpr16
	s_delay_alu instid0(VALU_DEP_1) | instskip(NEXT) | instid1(VALU_DEP_1)
	v_cmp_gt_u32_e64 s12, s21, v3
	s_and_saveexec_b32 s0, s12
	s_cbranch_execz .LBB179_19
; %bb.18:
	global_load_u8 v16, v[1:2], off offset:2048
.LBB179_19:
	s_or_b32 exec_lo, exec_lo, s0
	v_or_b32_e32 v3, 0x900, v0
                                        ; implicit-def: $vgpr15
	s_delay_alu instid0(VALU_DEP_1) | instskip(NEXT) | instid1(VALU_DEP_1)
	v_cmp_gt_u32_e64 s11, s21, v3
	s_and_saveexec_b32 s0, s11
	s_cbranch_execz .LBB179_21
; %bb.20:
	global_load_u8 v15, v[1:2], off offset:2304
.LBB179_21:
	s_or_b32 exec_lo, exec_lo, s0
	v_or_b32_e32 v3, 0xa00, v0
                                        ; implicit-def: $vgpr14
	s_delay_alu instid0(VALU_DEP_1) | instskip(NEXT) | instid1(VALU_DEP_1)
	v_cmp_gt_u32_e64 s10, s21, v3
	s_and_saveexec_b32 s0, s10
	s_cbranch_execz .LBB179_23
; %bb.22:
	global_load_u8 v14, v[1:2], off offset:2560
.LBB179_23:
	s_or_b32 exec_lo, exec_lo, s0
	v_or_b32_e32 v3, 0xb00, v0
                                        ; implicit-def: $vgpr13
	s_delay_alu instid0(VALU_DEP_1) | instskip(NEXT) | instid1(VALU_DEP_1)
	v_cmp_gt_u32_e64 s9, s21, v3
	s_and_saveexec_b32 s0, s9
	s_cbranch_execz .LBB179_25
; %bb.24:
	global_load_u8 v13, v[1:2], off offset:2816
.LBB179_25:
	s_or_b32 exec_lo, exec_lo, s0
	v_or_b32_e32 v3, 0xc00, v0
                                        ; implicit-def: $vgpr12
	s_delay_alu instid0(VALU_DEP_1) | instskip(NEXT) | instid1(VALU_DEP_1)
	v_cmp_gt_u32_e64 s8, s21, v3
	s_and_saveexec_b32 s0, s8
	s_cbranch_execz .LBB179_27
; %bb.26:
	global_load_u8 v12, v[1:2], off offset:3072
.LBB179_27:
	s_or_b32 exec_lo, exec_lo, s0
	v_or_b32_e32 v3, 0xd00, v0
                                        ; implicit-def: $vgpr11
	s_delay_alu instid0(VALU_DEP_1) | instskip(NEXT) | instid1(VALU_DEP_1)
	v_cmp_gt_u32_e64 s7, s21, v3
	s_and_saveexec_b32 s0, s7
	s_cbranch_execz .LBB179_29
; %bb.28:
	global_load_u8 v11, v[1:2], off offset:3328
.LBB179_29:
	s_or_b32 exec_lo, exec_lo, s0
	v_or_b32_e32 v3, 0xe00, v0
                                        ; implicit-def: $vgpr10
	s_delay_alu instid0(VALU_DEP_1) | instskip(NEXT) | instid1(VALU_DEP_1)
	v_cmp_gt_u32_e64 s6, s21, v3
	s_and_saveexec_b32 s0, s6
	s_cbranch_execz .LBB179_31
; %bb.30:
	global_load_u8 v10, v[1:2], off offset:3584
.LBB179_31:
	s_or_b32 exec_lo, exec_lo, s0
	v_or_b32_e32 v3, 0xf00, v0
                                        ; implicit-def: $vgpr9
	s_delay_alu instid0(VALU_DEP_1) | instskip(NEXT) | instid1(VALU_DEP_1)
	v_cmp_gt_u32_e64 s5, s21, v3
	s_and_saveexec_b32 s0, s5
	s_cbranch_execz .LBB179_33
; %bb.32:
	global_load_u8 v9, v[1:2], off offset:3840
.LBB179_33:
	s_or_b32 exec_lo, exec_lo, s0
	v_or_b32_e32 v3, 0x1000, v0
                                        ; implicit-def: $vgpr8
	s_delay_alu instid0(VALU_DEP_1) | instskip(NEXT) | instid1(VALU_DEP_1)
	v_cmp_gt_u32_e64 s4, s21, v3
	s_and_saveexec_b32 s0, s4
	s_cbranch_execz .LBB179_35
; %bb.34:
	v_add_co_u32 v3, vcc_lo, 0x1000, v1
	v_add_co_ci_u32_e32 v4, vcc_lo, 0, v2, vcc_lo
	global_load_u8 v8, v[3:4], off
.LBB179_35:
	s_or_b32 exec_lo, exec_lo, s0
	v_or_b32_e32 v3, 0x1100, v0
                                        ; implicit-def: $vgpr7
	s_delay_alu instid0(VALU_DEP_1) | instskip(NEXT) | instid1(VALU_DEP_1)
	v_cmp_gt_u32_e64 s3, s21, v3
	s_and_saveexec_b32 s0, s3
	s_cbranch_execz .LBB179_37
; %bb.36:
	v_add_co_u32 v3, vcc_lo, 0x1000, v1
	v_add_co_ci_u32_e32 v4, vcc_lo, 0, v2, vcc_lo
	global_load_u8 v7, v[3:4], off offset:256
.LBB179_37:
	s_or_b32 exec_lo, exec_lo, s0
	v_or_b32_e32 v3, 0x1200, v0
                                        ; implicit-def: $vgpr6
	s_delay_alu instid0(VALU_DEP_1) | instskip(NEXT) | instid1(VALU_DEP_1)
	v_cmp_gt_u32_e64 s2, s21, v3
	s_and_saveexec_b32 s0, s2
	s_cbranch_execz .LBB179_39
; %bb.38:
	v_add_co_u32 v3, vcc_lo, 0x1000, v1
	v_add_co_ci_u32_e32 v4, vcc_lo, 0, v2, vcc_lo
	global_load_u8 v6, v[3:4], off offset:512
.LBB179_39:
	s_or_b32 exec_lo, exec_lo, s0
	v_or_b32_e32 v3, 0x1300, v0
                                        ; implicit-def: $vgpr5
	s_delay_alu instid0(VALU_DEP_1) | instskip(NEXT) | instid1(VALU_DEP_1)
	v_cmp_gt_u32_e64 s1, s21, v3
	s_and_saveexec_b32 s0, s1
	s_cbranch_execz .LBB179_41
; %bb.40:
	v_add_co_u32 v3, vcc_lo, 0x1000, v1
	v_add_co_ci_u32_e32 v4, vcc_lo, 0, v2, vcc_lo
	global_load_u8 v5, v[3:4], off offset:768
.LBB179_41:
	s_or_b32 exec_lo, exec_lo, s0
	v_or_b32_e32 v3, 0x1400, v0
                                        ; implicit-def: $vgpr4
	s_delay_alu instid0(VALU_DEP_1) | instskip(NEXT) | instid1(VALU_DEP_1)
	v_cmp_gt_u32_e64 s0, s21, v3
	s_and_saveexec_b32 s24, s0
	s_cbranch_execz .LBB179_43
; %bb.42:
	v_add_co_u32 v3, vcc_lo, 0x1000, v1
	v_add_co_ci_u32_e32 v4, vcc_lo, 0, v2, vcc_lo
	global_load_u8 v4, v[3:4], off offset:1024
.LBB179_43:
	s_or_b32 exec_lo, exec_lo, s24
	v_or_b32_e32 v3, 0x1500, v0
	s_delay_alu instid0(VALU_DEP_1)
	v_cmp_gt_u32_e32 vcc_lo, s21, v3
                                        ; implicit-def: $vgpr3
	s_and_saveexec_b32 s24, vcc_lo
	s_cbranch_execz .LBB179_45
; %bb.44:
	v_add_co_u32 v1, s21, 0x1000, v1
	s_delay_alu instid0(VALU_DEP_1)
	v_add_co_ci_u32_e64 v2, s21, 0, v2, s21
	global_load_u8 v3, v[1:2], off offset:1280
.LBB179_45:
	s_or_b32 exec_lo, exec_lo, s24
	v_or_b32_e32 v1, 0xffffff00, v0
	v_dual_mov_b32 v25, 0 :: v_dual_lshlrev_b32 v2, 2, v0
	s_mov_b32 s24, 0
.LBB179_46:                             ; =>This Inner Loop Header: Depth=1
	s_delay_alu instid0(VALU_DEP_2) | instskip(SKIP_3) | instid1(VALU_DEP_1)
	v_add_nc_u32_e32 v1, 0x100, v1
	ds_store_b32 v2, v25
	v_add_nc_u32_e32 v2, 0x400, v2
	v_cmp_lt_u32_e64 s21, 0x2ff, v1
	s_or_b32 s24, s21, s24
	s_delay_alu instid0(SALU_CYCLE_1)
	s_and_not1_b32 exec_lo, exec_lo, s24
	s_cbranch_execnz .LBB179_46
; %bb.47:
	s_or_b32 exec_lo, exec_lo, s24
	s_cmp_gt_u32 s29, s28
	s_waitcnt vmcnt(0) lgkmcnt(0)
	s_cselect_b32 s21, -1, 0
	s_cmp_le_u32 s29, s28
	s_barrier
	buffer_gl0_inv
	s_cbranch_scc1 .LBB179_136
; %bb.48:
	v_and_b32_e32 v1, 3, v0
	v_and_b32_e32 v2, 0xff, v24
	v_mov_b32_e32 v24, 1
	s_sub_i32 s24, s29, s28
	s_mov_b32 s26, s28
	v_lshlrev_b32_e32 v1, 2, v1
	s_mov_b32 s25, s24
	s_delay_alu instid0(VALU_DEP_1)
	v_mov_b32_e32 v25, v1
	s_branch .LBB179_50
	.p2align	6
.LBB179_49:                             ;   in Loop: Header=BB179_50 Depth=1
	s_or_b32 exec_lo, exec_lo, s27
	v_add_nc_u32_e32 v25, 0x1000, v25
	s_add_i32 s26, s26, 8
	s_add_i32 s25, s25, -8
	s_cmp_ge_u32 s26, s29
	s_cbranch_scc1 .LBB179_52
.LBB179_50:                             ; =>This Inner Loop Header: Depth=1
	s_and_saveexec_b32 s27, s20
	s_cbranch_execz .LBB179_49
; %bb.51:                               ;   in Loop: Header=BB179_50 Depth=1
	v_lshrrev_b32_e32 v26, s26, v2
	s_min_u32 s33, s25, 8
	s_delay_alu instid0(VALU_DEP_1) | instid1(SALU_CYCLE_1)
	v_bfe_u32 v26, v26, 0, s33
	s_delay_alu instid0(VALU_DEP_1)
	v_lshl_add_u32 v26, v26, 4, v25
	ds_add_u32 v26, v24
	s_branch .LBB179_49
.LBB179_52:
	v_dual_mov_b32 v23, 1 :: v_dual_and_b32 v2, 0xff, v23
	v_mov_b32_e32 v24, v1
	s_mov_b32 s20, s24
	s_mov_b32 s25, s28
	s_branch .LBB179_54
	.p2align	6
.LBB179_53:                             ;   in Loop: Header=BB179_54 Depth=1
	s_or_b32 exec_lo, exec_lo, s26
	v_add_nc_u32_e32 v24, 0x1000, v24
	s_add_i32 s25, s25, 8
	s_add_i32 s20, s20, -8
	s_cmp_lt_u32 s25, s29
	s_cbranch_scc0 .LBB179_56
.LBB179_54:                             ; =>This Inner Loop Header: Depth=1
	s_and_saveexec_b32 s26, s19
	s_cbranch_execz .LBB179_53
; %bb.55:                               ;   in Loop: Header=BB179_54 Depth=1
	v_lshrrev_b32_e32 v25, s25, v2
	s_min_u32 s27, s20, 8
	s_delay_alu instid0(VALU_DEP_1) | instid1(SALU_CYCLE_1)
	v_bfe_u32 v25, v25, 0, s27
	s_delay_alu instid0(VALU_DEP_1)
	v_lshl_add_u32 v25, v25, 4, v24
	ds_add_u32 v25, v23
	s_branch .LBB179_53
.LBB179_56:
	v_dual_mov_b32 v23, v1 :: v_dual_and_b32 v2, 0xff, v22
	v_mov_b32_e32 v22, 1
	s_mov_b32 s19, s24
	s_mov_b32 s20, s28
	s_branch .LBB179_58
	.p2align	6
.LBB179_57:                             ;   in Loop: Header=BB179_58 Depth=1
	s_or_b32 exec_lo, exec_lo, s25
	v_add_nc_u32_e32 v23, 0x1000, v23
	s_add_i32 s20, s20, 8
	s_add_i32 s19, s19, -8
	s_cmp_lt_u32 s20, s29
	s_cbranch_scc0 .LBB179_60
.LBB179_58:                             ; =>This Inner Loop Header: Depth=1
	s_and_saveexec_b32 s25, s18
	s_cbranch_execz .LBB179_57
; %bb.59:                               ;   in Loop: Header=BB179_58 Depth=1
	v_lshrrev_b32_e32 v24, s20, v2
	s_min_u32 s26, s19, 8
	s_delay_alu instid0(VALU_DEP_1) | instid1(SALU_CYCLE_1)
	v_bfe_u32 v24, v24, 0, s26
	s_delay_alu instid0(VALU_DEP_1)
	v_lshl_add_u32 v24, v24, 4, v23
	ds_add_u32 v24, v22
	s_branch .LBB179_57
.LBB179_60:
	v_dual_mov_b32 v21, 1 :: v_dual_and_b32 v2, 0xff, v21
	v_mov_b32_e32 v22, v1
	s_mov_b32 s18, s24
	s_mov_b32 s19, s28
	s_branch .LBB179_62
	.p2align	6
.LBB179_61:                             ;   in Loop: Header=BB179_62 Depth=1
	s_or_b32 exec_lo, exec_lo, s20
	v_add_nc_u32_e32 v22, 0x1000, v22
	s_add_i32 s19, s19, 8
	s_add_i32 s18, s18, -8
	s_cmp_lt_u32 s19, s29
	s_cbranch_scc0 .LBB179_64
.LBB179_62:                             ; =>This Inner Loop Header: Depth=1
	s_and_saveexec_b32 s20, s17
	s_cbranch_execz .LBB179_61
; %bb.63:                               ;   in Loop: Header=BB179_62 Depth=1
	v_lshrrev_b32_e32 v23, s19, v2
	s_min_u32 s25, s18, 8
	s_delay_alu instid0(VALU_DEP_1) | instid1(SALU_CYCLE_1)
	v_bfe_u32 v23, v23, 0, s25
	s_delay_alu instid0(VALU_DEP_1)
	v_lshl_add_u32 v23, v23, 4, v22
	ds_add_u32 v23, v21
	s_branch .LBB179_61
.LBB179_64:
	v_dual_mov_b32 v21, v1 :: v_dual_and_b32 v2, 0xff, v20
	v_mov_b32_e32 v20, 1
	s_mov_b32 s17, s24
	s_mov_b32 s18, s28
	s_branch .LBB179_66
	.p2align	6
.LBB179_65:                             ;   in Loop: Header=BB179_66 Depth=1
	s_or_b32 exec_lo, exec_lo, s19
	v_add_nc_u32_e32 v21, 0x1000, v21
	s_add_i32 s18, s18, 8
	s_add_i32 s17, s17, -8
	s_cmp_lt_u32 s18, s29
	s_cbranch_scc0 .LBB179_68
.LBB179_66:                             ; =>This Inner Loop Header: Depth=1
	s_and_saveexec_b32 s19, s16
	s_cbranch_execz .LBB179_65
; %bb.67:                               ;   in Loop: Header=BB179_66 Depth=1
	v_lshrrev_b32_e32 v22, s18, v2
	s_min_u32 s20, s17, 8
	s_delay_alu instid0(VALU_DEP_1) | instid1(SALU_CYCLE_1)
	v_bfe_u32 v22, v22, 0, s20
	s_delay_alu instid0(VALU_DEP_1)
	v_lshl_add_u32 v22, v22, 4, v21
	ds_add_u32 v22, v20
	s_branch .LBB179_65
.LBB179_68:
	v_dual_mov_b32 v19, 1 :: v_dual_and_b32 v2, 0xff, v19
	v_mov_b32_e32 v20, v1
	s_mov_b32 s16, s24
	s_mov_b32 s17, s28
	s_branch .LBB179_70
	.p2align	6
.LBB179_69:                             ;   in Loop: Header=BB179_70 Depth=1
	s_or_b32 exec_lo, exec_lo, s18
	v_add_nc_u32_e32 v20, 0x1000, v20
	s_add_i32 s17, s17, 8
	s_add_i32 s16, s16, -8
	s_cmp_lt_u32 s17, s29
	s_cbranch_scc0 .LBB179_72
.LBB179_70:                             ; =>This Inner Loop Header: Depth=1
	s_and_saveexec_b32 s18, s15
	s_cbranch_execz .LBB179_69
; %bb.71:                               ;   in Loop: Header=BB179_70 Depth=1
	v_lshrrev_b32_e32 v21, s17, v2
	s_min_u32 s19, s16, 8
	s_delay_alu instid0(VALU_DEP_1) | instid1(SALU_CYCLE_1)
	v_bfe_u32 v21, v21, 0, s19
	s_delay_alu instid0(VALU_DEP_1)
	v_lshl_add_u32 v21, v21, 4, v20
	ds_add_u32 v21, v19
	s_branch .LBB179_69
.LBB179_72:
	v_dual_mov_b32 v19, v1 :: v_dual_and_b32 v2, 0xff, v18
	v_mov_b32_e32 v18, 1
	s_mov_b32 s15, s24
	s_mov_b32 s16, s28
	s_branch .LBB179_74
	.p2align	6
.LBB179_73:                             ;   in Loop: Header=BB179_74 Depth=1
	s_or_b32 exec_lo, exec_lo, s17
	v_add_nc_u32_e32 v19, 0x1000, v19
	s_add_i32 s16, s16, 8
	s_add_i32 s15, s15, -8
	s_cmp_lt_u32 s16, s29
	s_cbranch_scc0 .LBB179_76
.LBB179_74:                             ; =>This Inner Loop Header: Depth=1
	s_and_saveexec_b32 s17, s14
	s_cbranch_execz .LBB179_73
; %bb.75:                               ;   in Loop: Header=BB179_74 Depth=1
	v_lshrrev_b32_e32 v20, s16, v2
	s_min_u32 s18, s15, 8
	s_delay_alu instid0(VALU_DEP_1) | instid1(SALU_CYCLE_1)
	v_bfe_u32 v20, v20, 0, s18
	s_delay_alu instid0(VALU_DEP_1)
	v_lshl_add_u32 v20, v20, 4, v19
	ds_add_u32 v20, v18
	s_branch .LBB179_73
.LBB179_76:
	v_dual_mov_b32 v17, 1 :: v_dual_and_b32 v2, 0xff, v17
	v_mov_b32_e32 v18, v1
	s_mov_b32 s14, s24
	s_mov_b32 s15, s28
	s_branch .LBB179_78
	.p2align	6
.LBB179_77:                             ;   in Loop: Header=BB179_78 Depth=1
	s_or_b32 exec_lo, exec_lo, s16
	v_add_nc_u32_e32 v18, 0x1000, v18
	s_add_i32 s15, s15, 8
	s_add_i32 s14, s14, -8
	s_cmp_lt_u32 s15, s29
	s_cbranch_scc0 .LBB179_80
.LBB179_78:                             ; =>This Inner Loop Header: Depth=1
	s_and_saveexec_b32 s16, s13
	s_cbranch_execz .LBB179_77
; %bb.79:                               ;   in Loop: Header=BB179_78 Depth=1
	v_lshrrev_b32_e32 v19, s15, v2
	s_min_u32 s17, s14, 8
	s_delay_alu instid0(VALU_DEP_1) | instid1(SALU_CYCLE_1)
	v_bfe_u32 v19, v19, 0, s17
	s_delay_alu instid0(VALU_DEP_1)
	v_lshl_add_u32 v19, v19, 4, v18
	ds_add_u32 v19, v17
	s_branch .LBB179_77
.LBB179_80:
	v_dual_mov_b32 v17, v1 :: v_dual_and_b32 v2, 0xff, v16
	v_mov_b32_e32 v16, 1
	s_mov_b32 s13, s24
	s_mov_b32 s14, s28
	s_branch .LBB179_82
	.p2align	6
.LBB179_81:                             ;   in Loop: Header=BB179_82 Depth=1
	s_or_b32 exec_lo, exec_lo, s15
	v_add_nc_u32_e32 v17, 0x1000, v17
	s_add_i32 s14, s14, 8
	s_add_i32 s13, s13, -8
	s_cmp_lt_u32 s14, s29
	s_cbranch_scc0 .LBB179_84
.LBB179_82:                             ; =>This Inner Loop Header: Depth=1
	s_and_saveexec_b32 s15, s12
	s_cbranch_execz .LBB179_81
; %bb.83:                               ;   in Loop: Header=BB179_82 Depth=1
	v_lshrrev_b32_e32 v18, s14, v2
	s_min_u32 s16, s13, 8
	s_delay_alu instid0(VALU_DEP_1) | instid1(SALU_CYCLE_1)
	v_bfe_u32 v18, v18, 0, s16
	s_delay_alu instid0(VALU_DEP_1)
	v_lshl_add_u32 v18, v18, 4, v17
	ds_add_u32 v18, v16
	s_branch .LBB179_81
.LBB179_84:
	v_dual_mov_b32 v15, 1 :: v_dual_and_b32 v2, 0xff, v15
	v_mov_b32_e32 v16, v1
	s_mov_b32 s12, s24
	s_mov_b32 s13, s28
	s_branch .LBB179_86
	.p2align	6
.LBB179_85:                             ;   in Loop: Header=BB179_86 Depth=1
	s_or_b32 exec_lo, exec_lo, s14
	v_add_nc_u32_e32 v16, 0x1000, v16
	s_add_i32 s13, s13, 8
	s_add_i32 s12, s12, -8
	s_cmp_lt_u32 s13, s29
	s_cbranch_scc0 .LBB179_88
.LBB179_86:                             ; =>This Inner Loop Header: Depth=1
	s_and_saveexec_b32 s14, s11
	s_cbranch_execz .LBB179_85
; %bb.87:                               ;   in Loop: Header=BB179_86 Depth=1
	v_lshrrev_b32_e32 v17, s13, v2
	s_min_u32 s15, s12, 8
	s_delay_alu instid0(VALU_DEP_1) | instid1(SALU_CYCLE_1)
	v_bfe_u32 v17, v17, 0, s15
	s_delay_alu instid0(VALU_DEP_1)
	v_lshl_add_u32 v17, v17, 4, v16
	ds_add_u32 v17, v15
	s_branch .LBB179_85
.LBB179_88:
	v_dual_mov_b32 v15, v1 :: v_dual_and_b32 v2, 0xff, v14
	v_mov_b32_e32 v14, 1
	s_mov_b32 s11, s24
	s_mov_b32 s12, s28
	s_branch .LBB179_90
	.p2align	6
.LBB179_89:                             ;   in Loop: Header=BB179_90 Depth=1
	s_or_b32 exec_lo, exec_lo, s13
	v_add_nc_u32_e32 v15, 0x1000, v15
	s_add_i32 s12, s12, 8
	s_add_i32 s11, s11, -8
	s_cmp_lt_u32 s12, s29
	s_cbranch_scc0 .LBB179_92
.LBB179_90:                             ; =>This Inner Loop Header: Depth=1
	s_and_saveexec_b32 s13, s10
	s_cbranch_execz .LBB179_89
; %bb.91:                               ;   in Loop: Header=BB179_90 Depth=1
	v_lshrrev_b32_e32 v16, s12, v2
	s_min_u32 s14, s11, 8
	s_delay_alu instid0(VALU_DEP_1) | instid1(SALU_CYCLE_1)
	v_bfe_u32 v16, v16, 0, s14
	s_delay_alu instid0(VALU_DEP_1)
	v_lshl_add_u32 v16, v16, 4, v15
	ds_add_u32 v16, v14
	s_branch .LBB179_89
.LBB179_92:
	v_dual_mov_b32 v13, 1 :: v_dual_and_b32 v2, 0xff, v13
	v_mov_b32_e32 v14, v1
	s_mov_b32 s10, s24
	s_mov_b32 s11, s28
	s_branch .LBB179_94
	.p2align	6
.LBB179_93:                             ;   in Loop: Header=BB179_94 Depth=1
	s_or_b32 exec_lo, exec_lo, s12
	v_add_nc_u32_e32 v14, 0x1000, v14
	s_add_i32 s11, s11, 8
	s_add_i32 s10, s10, -8
	s_cmp_lt_u32 s11, s29
	s_cbranch_scc0 .LBB179_96
.LBB179_94:                             ; =>This Inner Loop Header: Depth=1
	s_and_saveexec_b32 s12, s9
	s_cbranch_execz .LBB179_93
; %bb.95:                               ;   in Loop: Header=BB179_94 Depth=1
	v_lshrrev_b32_e32 v15, s11, v2
	s_min_u32 s13, s10, 8
	s_delay_alu instid0(VALU_DEP_1) | instid1(SALU_CYCLE_1)
	v_bfe_u32 v15, v15, 0, s13
	s_delay_alu instid0(VALU_DEP_1)
	v_lshl_add_u32 v15, v15, 4, v14
	ds_add_u32 v15, v13
	s_branch .LBB179_93
.LBB179_96:
	v_dual_mov_b32 v13, v1 :: v_dual_and_b32 v2, 0xff, v12
	v_mov_b32_e32 v12, 1
	s_mov_b32 s9, s24
	s_mov_b32 s10, s28
	s_branch .LBB179_98
	.p2align	6
.LBB179_97:                             ;   in Loop: Header=BB179_98 Depth=1
	s_or_b32 exec_lo, exec_lo, s11
	v_add_nc_u32_e32 v13, 0x1000, v13
	s_add_i32 s10, s10, 8
	s_add_i32 s9, s9, -8
	s_cmp_lt_u32 s10, s29
	s_cbranch_scc0 .LBB179_100
.LBB179_98:                             ; =>This Inner Loop Header: Depth=1
	s_and_saveexec_b32 s11, s8
	s_cbranch_execz .LBB179_97
; %bb.99:                               ;   in Loop: Header=BB179_98 Depth=1
	v_lshrrev_b32_e32 v14, s10, v2
	s_min_u32 s12, s9, 8
	s_delay_alu instid0(VALU_DEP_1) | instid1(SALU_CYCLE_1)
	v_bfe_u32 v14, v14, 0, s12
	s_delay_alu instid0(VALU_DEP_1)
	v_lshl_add_u32 v14, v14, 4, v13
	ds_add_u32 v14, v12
	s_branch .LBB179_97
.LBB179_100:
	v_dual_mov_b32 v11, 1 :: v_dual_and_b32 v2, 0xff, v11
	v_mov_b32_e32 v12, v1
	s_mov_b32 s8, s24
	s_mov_b32 s9, s28
	s_branch .LBB179_102
	.p2align	6
.LBB179_101:                            ;   in Loop: Header=BB179_102 Depth=1
	s_or_b32 exec_lo, exec_lo, s10
	v_add_nc_u32_e32 v12, 0x1000, v12
	s_add_i32 s9, s9, 8
	s_add_i32 s8, s8, -8
	s_cmp_lt_u32 s9, s29
	s_cbranch_scc0 .LBB179_104
.LBB179_102:                            ; =>This Inner Loop Header: Depth=1
	s_and_saveexec_b32 s10, s7
	s_cbranch_execz .LBB179_101
; %bb.103:                              ;   in Loop: Header=BB179_102 Depth=1
	v_lshrrev_b32_e32 v13, s9, v2
	s_min_u32 s11, s8, 8
	s_delay_alu instid0(VALU_DEP_1) | instid1(SALU_CYCLE_1)
	v_bfe_u32 v13, v13, 0, s11
	s_delay_alu instid0(VALU_DEP_1)
	v_lshl_add_u32 v13, v13, 4, v12
	ds_add_u32 v13, v11
	s_branch .LBB179_101
.LBB179_104:
	v_dual_mov_b32 v11, v1 :: v_dual_and_b32 v2, 0xff, v10
	v_mov_b32_e32 v10, 1
	s_mov_b32 s7, s24
	s_mov_b32 s8, s28
	s_branch .LBB179_106
	.p2align	6
.LBB179_105:                            ;   in Loop: Header=BB179_106 Depth=1
	s_or_b32 exec_lo, exec_lo, s9
	v_add_nc_u32_e32 v11, 0x1000, v11
	s_add_i32 s8, s8, 8
	s_add_i32 s7, s7, -8
	s_cmp_lt_u32 s8, s29
	s_cbranch_scc0 .LBB179_108
.LBB179_106:                            ; =>This Inner Loop Header: Depth=1
	s_and_saveexec_b32 s9, s6
	s_cbranch_execz .LBB179_105
; %bb.107:                              ;   in Loop: Header=BB179_106 Depth=1
	v_lshrrev_b32_e32 v12, s8, v2
	s_min_u32 s10, s7, 8
	s_delay_alu instid0(VALU_DEP_1) | instid1(SALU_CYCLE_1)
	v_bfe_u32 v12, v12, 0, s10
	s_delay_alu instid0(VALU_DEP_1)
	v_lshl_add_u32 v12, v12, 4, v11
	ds_add_u32 v12, v10
	s_branch .LBB179_105
.LBB179_108:
	v_dual_mov_b32 v9, 1 :: v_dual_and_b32 v2, 0xff, v9
	v_mov_b32_e32 v10, v1
	s_mov_b32 s6, s24
	s_mov_b32 s7, s28
	s_branch .LBB179_110
	.p2align	6
.LBB179_109:                            ;   in Loop: Header=BB179_110 Depth=1
	s_or_b32 exec_lo, exec_lo, s8
	v_add_nc_u32_e32 v10, 0x1000, v10
	s_add_i32 s7, s7, 8
	s_add_i32 s6, s6, -8
	s_cmp_lt_u32 s7, s29
	s_cbranch_scc0 .LBB179_112
.LBB179_110:                            ; =>This Inner Loop Header: Depth=1
	s_and_saveexec_b32 s8, s5
	s_cbranch_execz .LBB179_109
; %bb.111:                              ;   in Loop: Header=BB179_110 Depth=1
	v_lshrrev_b32_e32 v11, s7, v2
	s_min_u32 s9, s6, 8
	s_delay_alu instid0(VALU_DEP_1) | instid1(SALU_CYCLE_1)
	v_bfe_u32 v11, v11, 0, s9
	s_delay_alu instid0(VALU_DEP_1)
	v_lshl_add_u32 v11, v11, 4, v10
	ds_add_u32 v11, v9
	s_branch .LBB179_109
.LBB179_112:
	v_dual_mov_b32 v9, v1 :: v_dual_and_b32 v2, 0xff, v8
	v_mov_b32_e32 v8, 1
	s_mov_b32 s5, s24
	s_mov_b32 s6, s28
	s_branch .LBB179_114
	.p2align	6
.LBB179_113:                            ;   in Loop: Header=BB179_114 Depth=1
	s_or_b32 exec_lo, exec_lo, s7
	v_add_nc_u32_e32 v9, 0x1000, v9
	s_add_i32 s6, s6, 8
	s_add_i32 s5, s5, -8
	s_cmp_lt_u32 s6, s29
	s_cbranch_scc0 .LBB179_116
.LBB179_114:                            ; =>This Inner Loop Header: Depth=1
	s_and_saveexec_b32 s7, s4
	s_cbranch_execz .LBB179_113
; %bb.115:                              ;   in Loop: Header=BB179_114 Depth=1
	v_lshrrev_b32_e32 v10, s6, v2
	s_min_u32 s8, s5, 8
	s_delay_alu instid0(VALU_DEP_1) | instid1(SALU_CYCLE_1)
	v_bfe_u32 v10, v10, 0, s8
	s_delay_alu instid0(VALU_DEP_1)
	v_lshl_add_u32 v10, v10, 4, v9
	ds_add_u32 v10, v8
	s_branch .LBB179_113
.LBB179_116:
	v_dual_mov_b32 v7, 1 :: v_dual_and_b32 v2, 0xff, v7
	v_mov_b32_e32 v8, v1
	s_mov_b32 s4, s24
	s_mov_b32 s5, s28
	s_branch .LBB179_118
	.p2align	6
.LBB179_117:                            ;   in Loop: Header=BB179_118 Depth=1
	s_or_b32 exec_lo, exec_lo, s6
	v_add_nc_u32_e32 v8, 0x1000, v8
	s_add_i32 s5, s5, 8
	s_add_i32 s4, s4, -8
	s_cmp_lt_u32 s5, s29
	s_cbranch_scc0 .LBB179_120
.LBB179_118:                            ; =>This Inner Loop Header: Depth=1
	s_and_saveexec_b32 s6, s3
	s_cbranch_execz .LBB179_117
; %bb.119:                              ;   in Loop: Header=BB179_118 Depth=1
	v_lshrrev_b32_e32 v9, s5, v2
	s_min_u32 s7, s4, 8
	s_delay_alu instid0(VALU_DEP_1) | instid1(SALU_CYCLE_1)
	v_bfe_u32 v9, v9, 0, s7
	s_delay_alu instid0(VALU_DEP_1)
	v_lshl_add_u32 v9, v9, 4, v8
	ds_add_u32 v9, v7
	s_branch .LBB179_117
.LBB179_120:
	v_dual_mov_b32 v7, v1 :: v_dual_and_b32 v2, 0xff, v6
	v_mov_b32_e32 v6, 1
	s_mov_b32 s3, s24
	s_mov_b32 s4, s28
	s_branch .LBB179_122
	.p2align	6
.LBB179_121:                            ;   in Loop: Header=BB179_122 Depth=1
	s_or_b32 exec_lo, exec_lo, s5
	v_add_nc_u32_e32 v7, 0x1000, v7
	s_add_i32 s4, s4, 8
	s_add_i32 s3, s3, -8
	s_cmp_lt_u32 s4, s29
	s_cbranch_scc0 .LBB179_124
.LBB179_122:                            ; =>This Inner Loop Header: Depth=1
	s_and_saveexec_b32 s5, s2
	s_cbranch_execz .LBB179_121
; %bb.123:                              ;   in Loop: Header=BB179_122 Depth=1
	v_lshrrev_b32_e32 v8, s4, v2
	s_min_u32 s6, s3, 8
	s_delay_alu instid0(VALU_DEP_1) | instid1(SALU_CYCLE_1)
	v_bfe_u32 v8, v8, 0, s6
	s_delay_alu instid0(VALU_DEP_1)
	v_lshl_add_u32 v8, v8, 4, v7
	ds_add_u32 v8, v6
	s_branch .LBB179_121
.LBB179_124:
	v_dual_mov_b32 v5, 1 :: v_dual_and_b32 v2, 0xff, v5
	v_mov_b32_e32 v6, v1
	s_mov_b32 s2, s24
	s_mov_b32 s3, s28
	s_branch .LBB179_126
	.p2align	6
.LBB179_125:                            ;   in Loop: Header=BB179_126 Depth=1
	s_or_b32 exec_lo, exec_lo, s4
	v_add_nc_u32_e32 v6, 0x1000, v6
	s_add_i32 s3, s3, 8
	s_add_i32 s2, s2, -8
	s_cmp_lt_u32 s3, s29
	s_cbranch_scc0 .LBB179_128
.LBB179_126:                            ; =>This Inner Loop Header: Depth=1
	s_and_saveexec_b32 s4, s1
	s_cbranch_execz .LBB179_125
; %bb.127:                              ;   in Loop: Header=BB179_126 Depth=1
	v_lshrrev_b32_e32 v7, s3, v2
	s_min_u32 s5, s2, 8
	s_delay_alu instid0(VALU_DEP_1) | instid1(SALU_CYCLE_1)
	v_bfe_u32 v7, v7, 0, s5
	s_delay_alu instid0(VALU_DEP_1)
	v_lshl_add_u32 v7, v7, 4, v6
	ds_add_u32 v7, v5
	s_branch .LBB179_125
.LBB179_128:
	v_dual_mov_b32 v5, v1 :: v_dual_and_b32 v2, 0xff, v4
	v_mov_b32_e32 v4, 1
	s_mov_b32 s1, s24
	s_mov_b32 s2, s28
	s_branch .LBB179_130
	.p2align	6
.LBB179_129:                            ;   in Loop: Header=BB179_130 Depth=1
	s_or_b32 exec_lo, exec_lo, s3
	v_add_nc_u32_e32 v5, 0x1000, v5
	s_add_i32 s2, s2, 8
	s_add_i32 s1, s1, -8
	s_cmp_lt_u32 s2, s29
	s_cbranch_scc0 .LBB179_132
.LBB179_130:                            ; =>This Inner Loop Header: Depth=1
	s_and_saveexec_b32 s3, s0
	s_cbranch_execz .LBB179_129
; %bb.131:                              ;   in Loop: Header=BB179_130 Depth=1
	v_lshrrev_b32_e32 v6, s2, v2
	s_min_u32 s4, s1, 8
	s_delay_alu instid0(VALU_DEP_1) | instid1(SALU_CYCLE_1)
	v_bfe_u32 v6, v6, 0, s4
	s_delay_alu instid0(VALU_DEP_1)
	v_lshl_add_u32 v6, v6, 4, v5
	ds_add_u32 v6, v4
	s_branch .LBB179_129
.LBB179_132:
	v_dual_mov_b32 v3, 1 :: v_dual_and_b32 v2, 0xff, v3
	s_mov_b32 s0, s28
	s_branch .LBB179_134
	.p2align	6
.LBB179_133:                            ;   in Loop: Header=BB179_134 Depth=1
	s_or_b32 exec_lo, exec_lo, s1
	v_add_nc_u32_e32 v1, 0x1000, v1
	s_add_i32 s0, s0, 8
	s_add_i32 s24, s24, -8
	s_cmp_lt_u32 s0, s29
	s_cbranch_scc0 .LBB179_136
.LBB179_134:                            ; =>This Inner Loop Header: Depth=1
	s_and_saveexec_b32 s1, vcc_lo
	s_cbranch_execz .LBB179_133
; %bb.135:                              ;   in Loop: Header=BB179_134 Depth=1
	v_lshrrev_b32_e32 v4, s0, v2
	s_min_u32 s2, s24, 8
	s_delay_alu instid0(VALU_DEP_1) | instid1(SALU_CYCLE_1)
	v_bfe_u32 v4, v4, 0, s2
	s_delay_alu instid0(VALU_DEP_1)
	v_lshl_add_u32 v4, v4, 4, v1
	ds_add_u32 v4, v3
	s_branch .LBB179_133
.LBB179_136:
	s_and_b32 vcc_lo, exec_lo, s21
	s_waitcnt lgkmcnt(0)
	s_barrier
	buffer_gl0_inv
	s_cbranch_vccz .LBB179_141
; %bb.137:
	v_cmp_gt_u32_e32 vcc_lo, 0x100, v0
	v_dual_mov_b32 v2, 0 :: v_dual_lshlrev_b32 v3, 4, v0
	v_mov_b32_e32 v1, v0
	s_mov_b32 s1, s28
	s_set_inst_prefetch_distance 0x1
	s_branch .LBB179_139
	.p2align	6
.LBB179_138:                            ;   in Loop: Header=BB179_139 Depth=1
	s_or_b32 exec_lo, exec_lo, s2
	v_add_nc_u32_e32 v1, 0x100, v1
	v_add_nc_u32_e32 v3, 0x1000, v3
	s_add_i32 s1, s1, 8
	s_delay_alu instid0(SALU_CYCLE_1)
	s_cmp_lt_u32 s1, s29
	s_cbranch_scc0 .LBB179_141
.LBB179_139:                            ; =>This Inner Loop Header: Depth=1
	s_and_saveexec_b32 s2, vcc_lo
	s_cbranch_execz .LBB179_138
; %bb.140:                              ;   in Loop: Header=BB179_139 Depth=1
	ds_load_2addr_b32 v[4:5], v3 offset1:1
	ds_load_2addr_b32 v[6:7], v3 offset0:2 offset1:3
	v_lshlrev_b64 v[8:9], 3, v[1:2]
	s_waitcnt lgkmcnt(1)
	v_add_nc_u32_e32 v10, v5, v4
	s_delay_alu instid0(VALU_DEP_2) | instskip(NEXT) | instid1(VALU_DEP_1)
	v_add_co_u32 v4, s0, s22, v8
	v_add_co_ci_u32_e64 v5, s0, s23, v9, s0
	s_waitcnt lgkmcnt(0)
	s_delay_alu instid0(VALU_DEP_3)
	v_add3_u32 v6, v10, v6, v7
	v_mov_b32_e32 v7, v2
	global_atomic_add_u64 v[4:5], v[6:7], off
	s_branch .LBB179_138
.LBB179_141:
	s_set_inst_prefetch_distance 0x2
	s_mov_b32 s0, 0
.LBB179_142:
	s_delay_alu instid0(SALU_CYCLE_1)
	s_and_b32 vcc_lo, exec_lo, s0
	s_cbranch_vccz .LBB179_202
; %bb.143:
	v_add_co_u32 v1, s0, s30, v0
	s_delay_alu instid0(VALU_DEP_1)
	v_add_co_ci_u32_e64 v2, null, s31, 0, s0
	s_clause 0x8
	global_load_u8 v24, v0, s[30:31] offset:256
	global_load_u8 v23, v0, s[30:31] offset:512
	;; [unrolled: 1-line block ×9, first 2 shown]
	v_add_co_u32 v1, vcc_lo, 0x1000, v1
	v_add_co_ci_u32_e32 v2, vcc_lo, 0, v2, vcc_lo
	s_clause 0xc
	global_load_u8 v17, v0, s[30:31] offset:2560
	global_load_u8 v15, v0, s[30:31] offset:2816
	global_load_u8 v13, v0, s[30:31] offset:3072
	global_load_u8 v12, v0, s[30:31] offset:3328
	global_load_u8 v11, v0, s[30:31] offset:3584
	global_load_u8 v10, v0, s[30:31] offset:3840
	global_load_u8 v9, v[1:2], off
	global_load_u8 v8, v[1:2], off offset:256
	global_load_u8 v7, v[1:2], off offset:512
	;; [unrolled: 1-line block ×4, first 2 shown]
	global_load_u8 v25, v0, s[30:31]
	global_load_u8 v4, v[1:2], off offset:1280
	s_cmp_eq_u32 s28, 0
	v_mov_b32_e32 v1, 0
	s_cselect_b32 s1, -1, 0
	s_cmp_eq_u32 s29, 8
	v_or_b32_e32 v26, 0xffffff00, v0
	s_cselect_b32 s2, -1, 0
	v_lshlrev_b32_e32 v3, 2, v0
	s_and_b32 s1, s1, s2
	s_mov_b32 s0, 0
	s_and_b32 vcc_lo, exec_lo, s1
	s_mov_b32 s1, -1
	s_cbranch_vccnz .LBB179_197
; %bb.144:
	v_or_b32_e32 v2, 0xffffff00, v0
	v_lshlrev_b32_e32 v27, 2, v0
.LBB179_145:                            ; =>This Inner Loop Header: Depth=1
	s_delay_alu instid0(VALU_DEP_2) | instskip(SKIP_4) | instid1(SALU_CYCLE_1)
	v_add_nc_u32_e32 v2, 0x100, v2
	ds_store_b32 v27, v1
	v_add_nc_u32_e32 v27, 0x400, v27
	v_cmp_lt_u32_e32 vcc_lo, 0x2ff, v2
	s_or_b32 s0, vcc_lo, s0
	s_and_not1_b32 exec_lo, exec_lo, s0
	s_cbranch_execnz .LBB179_145
; %bb.146:
	s_or_b32 exec_lo, exec_lo, s0
	s_cmp_gt_u32 s29, s28
	s_waitcnt vmcnt(0) lgkmcnt(0)
	s_waitcnt_vscnt null, 0x0
	s_cselect_b32 s0, -1, 0
	s_cmp_le_u32 s29, s28
	s_barrier
	buffer_gl0_inv
	s_cbranch_scc1 .LBB179_191
; %bb.147:
	v_and_b32_e32 v1, 3, v0
	v_dual_mov_b32 v27, 1 :: v_dual_and_b32 v2, 0xff, v25
	s_sub_i32 s1, s29, s28
	s_mov_b32 s3, s28
	s_delay_alu instid0(VALU_DEP_2) | instskip(SKIP_1) | instid1(VALU_DEP_1)
	v_lshlrev_b32_e32 v1, 2, v1
	s_mov_b32 s2, s1
	v_mov_b32_e32 v28, v1
.LBB179_148:                            ; =>This Inner Loop Header: Depth=1
	v_lshrrev_b32_e32 v29, s3, v2
	s_min_u32 s4, s2, 8
	s_add_i32 s3, s3, 8
	s_add_i32 s2, s2, -8
	s_cmp_ge_u32 s3, s29
	v_bfe_u32 v29, v29, 0, s4
	s_delay_alu instid0(VALU_DEP_1)
	v_lshl_add_u32 v29, v29, 4, v28
	v_add_nc_u32_e32 v28, 0x1000, v28
	ds_add_u32 v29, v27
	s_cbranch_scc0 .LBB179_148
; %bb.149:
	v_dual_mov_b32 v27, 1 :: v_dual_and_b32 v2, 0xff, v24
	v_mov_b32_e32 v28, v1
	s_mov_b32 s2, s1
	s_mov_b32 s3, s28
.LBB179_150:                            ; =>This Inner Loop Header: Depth=1
	s_delay_alu instid0(VALU_DEP_2) | instid1(SALU_CYCLE_1)
	v_lshrrev_b32_e32 v29, s3, v2
	s_min_u32 s4, s2, 8
	s_add_i32 s3, s3, 8
	s_add_i32 s2, s2, -8
	s_cmp_lt_u32 s3, s29
	v_bfe_u32 v29, v29, 0, s4
	s_delay_alu instid0(VALU_DEP_1)
	v_lshl_add_u32 v29, v29, 4, v28
	v_add_nc_u32_e32 v28, 0x1000, v28
	ds_add_u32 v29, v27
	s_cbranch_scc1 .LBB179_150
; %bb.151:
	v_dual_mov_b32 v27, 1 :: v_dual_and_b32 v2, 0xff, v23
	v_mov_b32_e32 v28, v1
	s_mov_b32 s2, s1
	s_mov_b32 s3, s28
.LBB179_152:                            ; =>This Inner Loop Header: Depth=1
	s_delay_alu instid0(VALU_DEP_2) | instid1(SALU_CYCLE_1)
	v_lshrrev_b32_e32 v29, s3, v2
	s_min_u32 s4, s2, 8
	s_add_i32 s3, s3, 8
	s_add_i32 s2, s2, -8
	s_cmp_lt_u32 s3, s29
	v_bfe_u32 v29, v29, 0, s4
	s_delay_alu instid0(VALU_DEP_1)
	v_lshl_add_u32 v29, v29, 4, v28
	v_add_nc_u32_e32 v28, 0x1000, v28
	ds_add_u32 v29, v27
	s_cbranch_scc1 .LBB179_152
	;; [unrolled: 18-line block ×20, first 2 shown]
; %bb.189:
	v_dual_mov_b32 v27, 1 :: v_dual_and_b32 v2, 0xff, v4
	s_mov_b32 s2, s28
.LBB179_190:                            ; =>This Inner Loop Header: Depth=1
	s_delay_alu instid0(VALU_DEP_1) | instid1(SALU_CYCLE_1)
	v_lshrrev_b32_e32 v28, s2, v2
	s_min_u32 s3, s1, 8
	s_add_i32 s2, s2, 8
	s_add_i32 s1, s1, -8
	s_cmp_lt_u32 s2, s29
	v_bfe_u32 v28, v28, 0, s3
	s_delay_alu instid0(VALU_DEP_1)
	v_lshl_add_u32 v28, v28, 4, v1
	v_add_nc_u32_e32 v1, 0x1000, v1
	ds_add_u32 v28, v27
	s_cbranch_scc1 .LBB179_190
.LBB179_191:
	s_and_b32 vcc_lo, exec_lo, s0
	s_waitcnt lgkmcnt(0)
	s_barrier
	buffer_gl0_inv
	s_cbranch_vccz .LBB179_196
; %bb.192:
	v_cmp_gt_u32_e32 vcc_lo, 0x100, v0
	v_dual_mov_b32 v2, 0 :: v_dual_lshlrev_b32 v27, 4, v0
	v_mov_b32_e32 v1, v0
	s_set_inst_prefetch_distance 0x1
	s_branch .LBB179_194
	.p2align	6
.LBB179_193:                            ;   in Loop: Header=BB179_194 Depth=1
	s_or_b32 exec_lo, exec_lo, s1
	v_add_nc_u32_e32 v1, 0x100, v1
	v_add_nc_u32_e32 v27, 0x1000, v27
	s_add_i32 s28, s28, 8
	s_delay_alu instid0(SALU_CYCLE_1)
	s_cmp_ge_u32 s28, s29
	s_cbranch_scc1 .LBB179_196
.LBB179_194:                            ; =>This Inner Loop Header: Depth=1
	s_and_saveexec_b32 s1, vcc_lo
	s_cbranch_execz .LBB179_193
; %bb.195:                              ;   in Loop: Header=BB179_194 Depth=1
	ds_load_2addr_b32 v[28:29], v27 offset1:1
	ds_load_2addr_b32 v[30:31], v27 offset0:2 offset1:3
	v_lshlrev_b64 v[32:33], 3, v[1:2]
	s_waitcnt lgkmcnt(1)
	v_add_nc_u32_e32 v34, v29, v28
	s_delay_alu instid0(VALU_DEP_2) | instskip(NEXT) | instid1(VALU_DEP_1)
	v_add_co_u32 v28, s0, s22, v32
	v_add_co_ci_u32_e64 v29, s0, s23, v33, s0
	s_waitcnt lgkmcnt(0)
	s_delay_alu instid0(VALU_DEP_3)
	v_add3_u32 v30, v34, v30, v31
	v_mov_b32_e32 v31, v2
	global_atomic_add_u64 v[28:29], v[30:31], off
	s_branch .LBB179_193
.LBB179_196:
	s_set_inst_prefetch_distance 0x2
	s_mov_b32 s1, 0
.LBB179_197:
	s_delay_alu instid0(SALU_CYCLE_1)
	s_and_b32 vcc_lo, exec_lo, s1
	s_cbranch_vccz .LBB179_202
; %bb.198:
	v_dual_mov_b32 v1, 0 :: v_dual_mov_b32 v2, v3
	s_mov_b32 s0, 0
.LBB179_199:                            ; =>This Inner Loop Header: Depth=1
	v_add_nc_u32_e32 v26, 0x100, v26
	ds_store_b32 v2, v1
	v_add_nc_u32_e32 v2, 0x400, v2
	v_cmp_lt_u32_e32 vcc_lo, 0x2ff, v26
	s_or_b32 s0, vcc_lo, s0
	s_delay_alu instid0(SALU_CYCLE_1)
	s_and_not1_b32 exec_lo, exec_lo, s0
	s_cbranch_execnz .LBB179_199
; %bb.200:
	s_or_b32 exec_lo, exec_lo, s0
	v_and_b32_e32 v1, 3, v0
	s_waitcnt vmcnt(1)
	v_lshlrev_b16 v2, 2, v25
	v_lshlrev_b16 v24, 2, v24
	;; [unrolled: 1-line block ×5, first 2 shown]
	v_and_or_b32 v2, 0xfc, v2, v1
	v_and_or_b32 v24, 0xfc, v24, v1
	v_mov_b32_e32 v25, 1
	v_lshlrev_b16 v20, 2, v20
	s_waitcnt vmcnt(0) lgkmcnt(0)
	s_waitcnt_vscnt null, 0x0
	v_lshlrev_b32_e32 v2, 2, v2
	v_lshlrev_b32_e32 v24, 2, v24
	s_barrier
	buffer_gl0_inv
	ds_add_u32 v2, v25
	ds_add_u32 v24, v25
	v_lshlrev_b16 v2, 2, v19
	v_and_or_b32 v19, 0xfc, v23, v1
	v_and_or_b32 v22, 0xfc, v22, v1
	v_and_or_b32 v21, 0xfc, v21, v1
	v_and_or_b32 v20, 0xfc, v20, v1
	v_and_or_b32 v2, 0xfc, v2, v1
	v_lshlrev_b32_e32 v19, 2, v19
	v_lshlrev_b32_e32 v22, 2, v22
	v_lshlrev_b32_e32 v21, 2, v21
	v_lshlrev_b32_e32 v20, 2, v20
	v_lshlrev_b32_e32 v2, 2, v2
	ds_add_u32 v19, v25
	ds_add_u32 v22, v25
	ds_add_u32 v21, v25
	ds_add_u32 v20, v25
	ds_add_u32 v2, v25
	v_lshlrev_b16 v2, 2, v18
	v_lshlrev_b16 v16, 2, v16
	v_lshlrev_b16 v14, 2, v14
	v_lshlrev_b16 v17, 2, v17
	v_lshlrev_b16 v15, 2, v15
	v_and_or_b32 v2, 0xfc, v2, v1
	v_and_or_b32 v16, 0xfc, v16, v1
	v_and_or_b32 v14, 0xfc, v14, v1
	v_and_or_b32 v17, 0xfc, v17, v1
	v_and_or_b32 v15, 0xfc, v15, v1
	v_lshlrev_b32_e32 v2, 2, v2
	v_lshlrev_b32_e32 v16, 2, v16
	v_lshlrev_b32_e32 v14, 2, v14
	v_lshlrev_b32_e32 v17, 2, v17
	v_lshlrev_b32_e32 v15, 2, v15
	ds_add_u32 v2, v25
	ds_add_u32 v16, v25
	ds_add_u32 v14, v25
	ds_add_u32 v17, v25
	ds_add_u32 v15, v25
	v_lshlrev_b16 v2, 2, v13
	v_lshlrev_b16 v12, 2, v12
	v_lshlrev_b16 v11, 2, v11
	v_lshlrev_b16 v10, 2, v10
	;; [unrolled: 20-line block ×3, first 2 shown]
	v_lshlrev_b16 v4, 2, v4
	v_and_or_b32 v2, 0xfc, v2, v1
	v_and_or_b32 v7, 0xfc, v7, v1
	;; [unrolled: 1-line block ×5, first 2 shown]
	v_lshlrev_b32_e32 v2, 2, v2
	v_lshlrev_b32_e32 v4, 2, v7
	;; [unrolled: 1-line block ×5, first 2 shown]
	ds_add_u32 v2, v25
	ds_add_u32 v4, v25
	;; [unrolled: 1-line block ×5, first 2 shown]
	s_waitcnt lgkmcnt(0)
	s_barrier
	buffer_gl0_inv
	s_mov_b32 s0, exec_lo
	v_cmpx_gt_u32_e32 0x100, v0
	s_cbranch_execz .LBB179_202
; %bb.201:
	v_lshlrev_b32_e32 v3, 2, v3
	ds_load_2addr_b32 v[1:2], v3 offset1:1
	ds_load_2addr_b32 v[3:4], v3 offset0:2 offset1:3
	s_waitcnt lgkmcnt(1)
	v_add_nc_u32_e32 v1, v2, v1
	v_lshlrev_b32_e32 v2, 3, v0
	s_waitcnt lgkmcnt(0)
	s_delay_alu instid0(VALU_DEP_2)
	v_add3_u32 v0, v1, v3, v4
	v_mov_b32_e32 v1, 0
	global_atomic_add_u64 v2, v[0:1], s[22:23]
.LBB179_202:
	s_nop 0
	s_sendmsg sendmsg(MSG_DEALLOC_VGPRS)
	s_endpgm
	.section	.rodata,"a",@progbits
	.p2align	6, 0x0
	.amdhsa_kernel _ZN7rocprim17ROCPRIM_304000_NS6detail26onesweep_histograms_kernelINS1_34wrapped_radix_sort_onesweep_configINS0_14default_configEbN2at4cuda3cub6detail10OpaqueTypeILi8EEEEELb0EPKbmNS0_19identity_decomposerEEEvT1_PT2_SG_SG_T3_jj
		.amdhsa_group_segment_fixed_size 4096
		.amdhsa_private_segment_fixed_size 0
		.amdhsa_kernarg_size 44
		.amdhsa_user_sgpr_count 15
		.amdhsa_user_sgpr_dispatch_ptr 0
		.amdhsa_user_sgpr_queue_ptr 0
		.amdhsa_user_sgpr_kernarg_segment_ptr 1
		.amdhsa_user_sgpr_dispatch_id 0
		.amdhsa_user_sgpr_private_segment_size 0
		.amdhsa_wavefront_size32 1
		.amdhsa_uses_dynamic_stack 0
		.amdhsa_enable_private_segment 0
		.amdhsa_system_sgpr_workgroup_id_x 1
		.amdhsa_system_sgpr_workgroup_id_y 0
		.amdhsa_system_sgpr_workgroup_id_z 0
		.amdhsa_system_sgpr_workgroup_info 0
		.amdhsa_system_vgpr_workitem_id 0
		.amdhsa_next_free_vgpr 35
		.amdhsa_next_free_sgpr 34
		.amdhsa_reserve_vcc 1
		.amdhsa_float_round_mode_32 0
		.amdhsa_float_round_mode_16_64 0
		.amdhsa_float_denorm_mode_32 3
		.amdhsa_float_denorm_mode_16_64 3
		.amdhsa_dx10_clamp 1
		.amdhsa_ieee_mode 1
		.amdhsa_fp16_overflow 0
		.amdhsa_workgroup_processor_mode 1
		.amdhsa_memory_ordered 1
		.amdhsa_forward_progress 0
		.amdhsa_shared_vgpr_count 0
		.amdhsa_exception_fp_ieee_invalid_op 0
		.amdhsa_exception_fp_denorm_src 0
		.amdhsa_exception_fp_ieee_div_zero 0
		.amdhsa_exception_fp_ieee_overflow 0
		.amdhsa_exception_fp_ieee_underflow 0
		.amdhsa_exception_fp_ieee_inexact 0
		.amdhsa_exception_int_div_zero 0
	.end_amdhsa_kernel
	.section	.text._ZN7rocprim17ROCPRIM_304000_NS6detail26onesweep_histograms_kernelINS1_34wrapped_radix_sort_onesweep_configINS0_14default_configEbN2at4cuda3cub6detail10OpaqueTypeILi8EEEEELb0EPKbmNS0_19identity_decomposerEEEvT1_PT2_SG_SG_T3_jj,"axG",@progbits,_ZN7rocprim17ROCPRIM_304000_NS6detail26onesweep_histograms_kernelINS1_34wrapped_radix_sort_onesweep_configINS0_14default_configEbN2at4cuda3cub6detail10OpaqueTypeILi8EEEEELb0EPKbmNS0_19identity_decomposerEEEvT1_PT2_SG_SG_T3_jj,comdat
.Lfunc_end179:
	.size	_ZN7rocprim17ROCPRIM_304000_NS6detail26onesweep_histograms_kernelINS1_34wrapped_radix_sort_onesweep_configINS0_14default_configEbN2at4cuda3cub6detail10OpaqueTypeILi8EEEEELb0EPKbmNS0_19identity_decomposerEEEvT1_PT2_SG_SG_T3_jj, .Lfunc_end179-_ZN7rocprim17ROCPRIM_304000_NS6detail26onesweep_histograms_kernelINS1_34wrapped_radix_sort_onesweep_configINS0_14default_configEbN2at4cuda3cub6detail10OpaqueTypeILi8EEEEELb0EPKbmNS0_19identity_decomposerEEEvT1_PT2_SG_SG_T3_jj
                                        ; -- End function
	.section	.AMDGPU.csdata,"",@progbits
; Kernel info:
; codeLenInByte = 7196
; NumSgprs: 36
; NumVgprs: 35
; ScratchSize: 0
; MemoryBound: 0
; FloatMode: 240
; IeeeMode: 1
; LDSByteSize: 4096 bytes/workgroup (compile time only)
; SGPRBlocks: 4
; VGPRBlocks: 4
; NumSGPRsForWavesPerEU: 36
; NumVGPRsForWavesPerEU: 35
; Occupancy: 16
; WaveLimiterHint : 1
; COMPUTE_PGM_RSRC2:SCRATCH_EN: 0
; COMPUTE_PGM_RSRC2:USER_SGPR: 15
; COMPUTE_PGM_RSRC2:TRAP_HANDLER: 0
; COMPUTE_PGM_RSRC2:TGID_X_EN: 1
; COMPUTE_PGM_RSRC2:TGID_Y_EN: 0
; COMPUTE_PGM_RSRC2:TGID_Z_EN: 0
; COMPUTE_PGM_RSRC2:TIDIG_COMP_CNT: 0
	.section	.text._ZN7rocprim17ROCPRIM_304000_NS6detail25onesweep_iteration_kernelINS1_34wrapped_radix_sort_onesweep_configINS0_14default_configEbN2at4cuda3cub6detail10OpaqueTypeILi8EEEEELb0EPKbPbPKSA_PSA_mNS0_19identity_decomposerEEEvT1_T2_T3_T4_jPT5_SO_PNS1_23onesweep_lookback_stateET6_jjj,"axG",@progbits,_ZN7rocprim17ROCPRIM_304000_NS6detail25onesweep_iteration_kernelINS1_34wrapped_radix_sort_onesweep_configINS0_14default_configEbN2at4cuda3cub6detail10OpaqueTypeILi8EEEEELb0EPKbPbPKSA_PSA_mNS0_19identity_decomposerEEEvT1_T2_T3_T4_jPT5_SO_PNS1_23onesweep_lookback_stateET6_jjj,comdat
	.protected	_ZN7rocprim17ROCPRIM_304000_NS6detail25onesweep_iteration_kernelINS1_34wrapped_radix_sort_onesweep_configINS0_14default_configEbN2at4cuda3cub6detail10OpaqueTypeILi8EEEEELb0EPKbPbPKSA_PSA_mNS0_19identity_decomposerEEEvT1_T2_T3_T4_jPT5_SO_PNS1_23onesweep_lookback_stateET6_jjj ; -- Begin function _ZN7rocprim17ROCPRIM_304000_NS6detail25onesweep_iteration_kernelINS1_34wrapped_radix_sort_onesweep_configINS0_14default_configEbN2at4cuda3cub6detail10OpaqueTypeILi8EEEEELb0EPKbPbPKSA_PSA_mNS0_19identity_decomposerEEEvT1_T2_T3_T4_jPT5_SO_PNS1_23onesweep_lookback_stateET6_jjj
	.globl	_ZN7rocprim17ROCPRIM_304000_NS6detail25onesweep_iteration_kernelINS1_34wrapped_radix_sort_onesweep_configINS0_14default_configEbN2at4cuda3cub6detail10OpaqueTypeILi8EEEEELb0EPKbPbPKSA_PSA_mNS0_19identity_decomposerEEEvT1_T2_T3_T4_jPT5_SO_PNS1_23onesweep_lookback_stateET6_jjj
	.p2align	8
	.type	_ZN7rocprim17ROCPRIM_304000_NS6detail25onesweep_iteration_kernelINS1_34wrapped_radix_sort_onesweep_configINS0_14default_configEbN2at4cuda3cub6detail10OpaqueTypeILi8EEEEELb0EPKbPbPKSA_PSA_mNS0_19identity_decomposerEEEvT1_T2_T3_T4_jPT5_SO_PNS1_23onesweep_lookback_stateET6_jjj,@function
_ZN7rocprim17ROCPRIM_304000_NS6detail25onesweep_iteration_kernelINS1_34wrapped_radix_sort_onesweep_configINS0_14default_configEbN2at4cuda3cub6detail10OpaqueTypeILi8EEEEELb0EPKbPbPKSA_PSA_mNS0_19identity_decomposerEEEvT1_T2_T3_T4_jPT5_SO_PNS1_23onesweep_lookback_stateET6_jjj: ; @_ZN7rocprim17ROCPRIM_304000_NS6detail25onesweep_iteration_kernelINS1_34wrapped_radix_sort_onesweep_configINS0_14default_configEbN2at4cuda3cub6detail10OpaqueTypeILi8EEEEELb0EPKbPbPKSA_PSA_mNS0_19identity_decomposerEEEvT1_T2_T3_T4_jPT5_SO_PNS1_23onesweep_lookback_stateET6_jjj
; %bb.0:
	s_clause 0x3
	s_load_b128 s[60:63], s[0:1], 0x44
	s_load_b256 s[48:55], s[0:1], 0x0
	s_load_b128 s[56:59], s[0:1], 0x28
	s_load_b64 s[66:67], s[0:1], 0x38
	v_and_b32_e32 v1, 0x3ff, v0
	v_mbcnt_lo_u32_b32 v51, -1, 0
	s_waitcnt lgkmcnt(0)
	s_mov_b32 s63, s15
	s_mul_i32 s64, s15, 0x1600
	s_cmp_ge_u32 s15, s62
	s_cbranch_scc0 .LBB180_218
; %bb.1:
	s_load_b32 s2, s[0:1], 0x20
	v_dual_mov_b32 v12, 1 :: v_dual_and_b32 v21, 0xe0, v1
	s_mul_i32 s47, s62, 0xffffea00
	v_mov_b32_e32 v11, 1
	s_mov_b32 s65, 0
	s_delay_alu instid0(VALU_DEP_2) | instskip(NEXT) | instid1(VALU_DEP_1)
	v_mul_u32_u24_e32 v10, 22, v21
	v_or_b32_e32 v4, v51, v10
	s_waitcnt lgkmcnt(0)
	s_add_i32 s47, s47, s2
	s_add_u32 s2, s48, s64
	s_addc_u32 s3, s49, 0
	v_add_co_u32 v2, s2, s2, v51
	s_delay_alu instid0(VALU_DEP_1) | instskip(SKIP_1) | instid1(VALU_DEP_3)
	v_add_co_ci_u32_e64 v3, null, s3, 0, s2
	v_cmp_gt_u32_e32 vcc_lo, s47, v4
	v_add_co_u32 v2, s2, v2, v10
	s_delay_alu instid0(VALU_DEP_1)
	v_add_co_ci_u32_e64 v3, s2, 0, v3, s2
	s_and_saveexec_b32 s2, vcc_lo
	s_cbranch_execz .LBB180_3
; %bb.2:
	global_load_u8 v12, v[2:3], off
.LBB180_3:
	s_or_b32 exec_lo, exec_lo, s2
	v_add_nc_u32_e32 v5, 32, v4
	s_delay_alu instid0(VALU_DEP_1) | instskip(NEXT) | instid1(VALU_DEP_1)
	v_cmp_gt_u32_e64 s2, s47, v5
	s_and_saveexec_b32 s3, s2
	s_cbranch_execz .LBB180_5
; %bb.4:
	global_load_u8 v11, v[2:3], off offset:32
.LBB180_5:
	s_or_b32 exec_lo, exec_lo, s3
	v_dual_mov_b32 v14, 1 :: v_dual_add_nc_u32 v5, 64, v4
	v_mov_b32_e32 v13, 1
	s_delay_alu instid0(VALU_DEP_2) | instskip(NEXT) | instid1(VALU_DEP_1)
	v_cmp_gt_u32_e64 s3, s47, v5
	s_and_saveexec_b32 s4, s3
	s_cbranch_execz .LBB180_7
; %bb.6:
	global_load_u8 v14, v[2:3], off offset:64
.LBB180_7:
	s_or_b32 exec_lo, exec_lo, s4
	v_add_nc_u32_e32 v5, 0x60, v4
	s_delay_alu instid0(VALU_DEP_1) | instskip(NEXT) | instid1(VALU_DEP_1)
	v_cmp_gt_u32_e64 s4, s47, v5
	s_and_saveexec_b32 s5, s4
	s_cbranch_execz .LBB180_9
; %bb.8:
	global_load_u8 v13, v[2:3], off offset:96
.LBB180_9:
	s_or_b32 exec_lo, exec_lo, s5
	v_dual_mov_b32 v16, 1 :: v_dual_add_nc_u32 v5, 0x80, v4
	v_mov_b32_e32 v15, 1
	s_delay_alu instid0(VALU_DEP_2) | instskip(NEXT) | instid1(VALU_DEP_1)
	v_cmp_gt_u32_e64 s5, s47, v5
	s_and_saveexec_b32 s6, s5
	s_cbranch_execz .LBB180_11
; %bb.10:
	global_load_u8 v16, v[2:3], off offset:128
.LBB180_11:
	;; [unrolled: 19-line block ×10, first 2 shown]
	s_or_b32 exec_lo, exec_lo, s17
	v_add_nc_u32_e32 v4, 0x2a0, v4
	s_delay_alu instid0(VALU_DEP_1) | instskip(NEXT) | instid1(VALU_DEP_1)
	v_cmp_gt_u32_e64 s17, s47, v4
	s_and_saveexec_b32 s24, s17
	s_cbranch_execz .LBB180_45
; %bb.44:
	global_load_u8 v32, v[2:3], off offset:672
.LBB180_45:
	s_or_b32 exec_lo, exec_lo, s24
	s_clause 0x1
	s_load_b32 s24, s[0:1], 0x5c
	s_load_b32 s62, s[0:1], 0x50
	s_add_u32 s25, s0, 0x50
	s_addc_u32 s26, s1, 0
	v_mov_b32_e32 v4, 0
	s_waitcnt vmcnt(0)
	v_and_b32_e32 v2, 0xff, v12
	v_bfe_u32 v7, v0, 10, 10
	v_bfe_u32 v8, v0, 20, 10
	s_delay_alu instid0(VALU_DEP_3)
	v_lshrrev_b32_e32 v2, s60, v2
	s_waitcnt lgkmcnt(0)
	s_lshr_b32 s27, s24, 16
	s_cmp_lt_u32 s15, s62
	v_mad_u32_u24 v7, v8, s27, v7
	s_cselect_b32 s24, 12, 18
	s_delay_alu instid0(SALU_CYCLE_1) | instskip(SKIP_3) | instid1(SALU_CYCLE_1)
	s_add_u32 s24, s25, s24
	s_addc_u32 s25, s26, 0
	global_load_u16 v5, v4, s[24:25]
	s_lshl_b32 s24, -1, s61
	s_not_b32 s68, s24
	s_delay_alu instid0(SALU_CYCLE_1) | instskip(NEXT) | instid1(VALU_DEP_1)
	v_and_b32_e32 v6, s68, v2
	v_add_co_u32 v2, s24, v6, -1
	s_delay_alu instid0(VALU_DEP_1) | instskip(NEXT) | instid1(VALU_DEP_1)
	v_cndmask_b32_e64 v3, 0, 1, s24
	v_cmp_ne_u32_e64 s24, 0, v3
	v_mul_u32_u24_e32 v3, 9, v1
	s_delay_alu instid0(VALU_DEP_2) | instskip(NEXT) | instid1(VALU_DEP_2)
	v_xor_b32_e32 v8, s24, v2
	v_lshlrev_b32_e32 v35, 2, v3
	ds_store_2addr_b32 v35, v4, v4 offset0:8 offset1:9
	ds_store_2addr_b32 v35, v4, v4 offset0:10 offset1:11
	;; [unrolled: 1-line block ×4, first 2 shown]
	ds_store_b32 v35, v4 offset:64
	v_mul_u32_u24_e32 v4, 9, v6
	s_waitcnt vmcnt(0) lgkmcnt(0)
	s_barrier
	buffer_gl0_inv
	; wave barrier
	v_mad_u64_u32 v[2:3], null, v7, v5, v[1:2]
	v_and_b32_e32 v3, exec_lo, v8
	s_delay_alu instid0(VALU_DEP_1) | instskip(NEXT) | instid1(VALU_DEP_3)
	v_mbcnt_lo_u32_b32 v34, v3, 0
	v_lshrrev_b32_e32 v2, 5, v2
	v_cmp_ne_u32_e64 s25, 0, v3
	s_delay_alu instid0(VALU_DEP_3) | instskip(NEXT) | instid1(VALU_DEP_3)
	v_cmp_eq_u32_e64 s24, 0, v34
	v_add_lshl_u32 v36, v2, v4, 2
	s_delay_alu instid0(VALU_DEP_2) | instskip(NEXT) | instid1(SALU_CYCLE_1)
	s_and_b32 s25, s25, s24
	s_and_saveexec_b32 s24, s25
	s_cbranch_execz .LBB180_47
; %bb.46:
	v_bcnt_u32_b32 v3, v3, 0
	ds_store_b32 v36, v3 offset:32
.LBB180_47:
	s_or_b32 exec_lo, exec_lo, s24
	v_and_b32_e32 v3, 0xff, v11
	; wave barrier
	s_delay_alu instid0(VALU_DEP_1) | instskip(NEXT) | instid1(VALU_DEP_1)
	v_lshrrev_b32_e32 v3, s60, v3
	v_and_b32_e32 v3, s68, v3
	s_delay_alu instid0(VALU_DEP_1) | instskip(NEXT) | instid1(VALU_DEP_1)
	v_add_co_u32 v4, s24, v3, -1
	v_cndmask_b32_e64 v5, 0, 1, s24
	v_mul_u32_u24_e32 v3, 9, v3
	s_delay_alu instid0(VALU_DEP_2) | instskip(NEXT) | instid1(VALU_DEP_2)
	v_cmp_ne_u32_e64 s24, 0, v5
	v_add_lshl_u32 v39, v2, v3, 2
	s_delay_alu instid0(VALU_DEP_2) | instskip(SKIP_2) | instid1(VALU_DEP_1)
	v_xor_b32_e32 v3, s24, v4
	ds_load_b32 v37, v39 offset:32
	; wave barrier
	v_and_b32_e32 v3, exec_lo, v3
	v_mbcnt_lo_u32_b32 v38, v3, 0
	v_cmp_ne_u32_e64 s25, 0, v3
	s_delay_alu instid0(VALU_DEP_2) | instskip(NEXT) | instid1(VALU_DEP_1)
	v_cmp_eq_u32_e64 s24, 0, v38
	s_and_b32 s25, s25, s24
	s_delay_alu instid0(SALU_CYCLE_1)
	s_and_saveexec_b32 s24, s25
	s_cbranch_execz .LBB180_49
; %bb.48:
	s_waitcnt lgkmcnt(0)
	v_bcnt_u32_b32 v3, v3, v37
	ds_store_b32 v39, v3 offset:32
.LBB180_49:
	s_or_b32 exec_lo, exec_lo, s24
	v_and_b32_e32 v3, 0xff, v14
	; wave barrier
	s_delay_alu instid0(VALU_DEP_1) | instskip(NEXT) | instid1(VALU_DEP_1)
	v_lshrrev_b32_e32 v3, s60, v3
	v_and_b32_e32 v3, s68, v3
	s_delay_alu instid0(VALU_DEP_1) | instskip(NEXT) | instid1(VALU_DEP_1)
	v_add_co_u32 v4, s24, v3, -1
	v_cndmask_b32_e64 v5, 0, 1, s24
	v_mul_u32_u24_e32 v3, 9, v3
	s_delay_alu instid0(VALU_DEP_2) | instskip(NEXT) | instid1(VALU_DEP_2)
	v_cmp_ne_u32_e64 s24, 0, v5
	v_add_lshl_u32 v42, v2, v3, 2
	s_delay_alu instid0(VALU_DEP_2) | instskip(SKIP_2) | instid1(VALU_DEP_1)
	v_xor_b32_e32 v3, s24, v4
	ds_load_b32 v40, v42 offset:32
	; wave barrier
	v_and_b32_e32 v3, exec_lo, v3
	v_mbcnt_lo_u32_b32 v41, v3, 0
	v_cmp_ne_u32_e64 s25, 0, v3
	s_delay_alu instid0(VALU_DEP_2) | instskip(NEXT) | instid1(VALU_DEP_1)
	v_cmp_eq_u32_e64 s24, 0, v41
	s_and_b32 s25, s25, s24
	s_delay_alu instid0(SALU_CYCLE_1)
	s_and_saveexec_b32 s24, s25
	s_cbranch_execz .LBB180_51
; %bb.50:
	s_waitcnt lgkmcnt(0)
	v_bcnt_u32_b32 v3, v3, v40
	ds_store_b32 v42, v3 offset:32
.LBB180_51:
	;; [unrolled: 31-line block ×20, first 2 shown]
	s_or_b32 exec_lo, exec_lo, s24
	v_and_b32_e32 v3, 0xff, v32
	; wave barrier
	v_add_nc_u32_e32 v101, 32, v35
	s_delay_alu instid0(VALU_DEP_2) | instskip(NEXT) | instid1(VALU_DEP_1)
	v_lshrrev_b32_e32 v3, s60, v3
	v_and_b32_e32 v3, s68, v3
	s_delay_alu instid0(VALU_DEP_1) | instskip(NEXT) | instid1(VALU_DEP_1)
	v_add_co_u32 v4, s24, v3, -1
	v_cndmask_b32_e64 v5, 0, 1, s24
	v_mul_u32_u24_e32 v3, 9, v3
	s_delay_alu instid0(VALU_DEP_2) | instskip(NEXT) | instid1(VALU_DEP_2)
	v_cmp_ne_u32_e64 s24, 0, v5
	v_add_lshl_u32 v100, v2, v3, 2
	s_delay_alu instid0(VALU_DEP_2) | instskip(SKIP_2) | instid1(VALU_DEP_1)
	v_xor_b32_e32 v2, s24, v4
	ds_load_b32 v98, v100 offset:32
	; wave barrier
	v_and_b32_e32 v2, exec_lo, v2
	v_mbcnt_lo_u32_b32 v99, v2, 0
	v_cmp_ne_u32_e64 s25, 0, v2
	s_delay_alu instid0(VALU_DEP_2) | instskip(NEXT) | instid1(VALU_DEP_1)
	v_cmp_eq_u32_e64 s24, 0, v99
	s_and_b32 s25, s25, s24
	s_delay_alu instid0(SALU_CYCLE_1)
	s_and_saveexec_b32 s24, s25
	s_cbranch_execz .LBB180_89
; %bb.88:
	s_waitcnt lgkmcnt(0)
	v_bcnt_u32_b32 v2, v2, v98
	ds_store_b32 v100, v2 offset:32
.LBB180_89:
	s_or_b32 exec_lo, exec_lo, s24
	; wave barrier
	s_waitcnt lgkmcnt(0)
	s_barrier
	buffer_gl0_inv
	ds_load_2addr_b32 v[8:9], v35 offset0:8 offset1:9
	ds_load_2addr_b32 v[6:7], v101 offset0:2 offset1:3
	ds_load_2addr_b32 v[4:5], v101 offset0:4 offset1:5
	ds_load_2addr_b32 v[2:3], v101 offset0:6 offset1:7
	ds_load_b32 v102, v101 offset:32
	v_min_u32_e32 v21, 0xe0, v21
	s_mov_b32 s25, exec_lo
	s_delay_alu instid0(VALU_DEP_1) | instskip(SKIP_3) | instid1(VALU_DEP_1)
	v_or_b32_e32 v105, 31, v21
	s_waitcnt lgkmcnt(3)
	v_add3_u32 v103, v9, v8, v6
	s_waitcnt lgkmcnt(2)
	v_add3_u32 v103, v103, v7, v4
	s_waitcnt lgkmcnt(1)
	s_delay_alu instid0(VALU_DEP_1) | instskip(SKIP_1) | instid1(VALU_DEP_1)
	v_add3_u32 v103, v103, v5, v2
	s_waitcnt lgkmcnt(0)
	v_add3_u32 v102, v103, v3, v102
	v_and_b32_e32 v103, 15, v51
	s_delay_alu instid0(VALU_DEP_2) | instskip(NEXT) | instid1(VALU_DEP_2)
	v_mov_b32_dpp v104, v102 row_shr:1 row_mask:0xf bank_mask:0xf
	v_cmp_ne_u32_e64 s24, 0, v103
	s_delay_alu instid0(VALU_DEP_1) | instskip(SKIP_1) | instid1(VALU_DEP_2)
	v_cndmask_b32_e64 v104, 0, v104, s24
	v_cmp_lt_u32_e64 s24, 1, v103
	v_add_nc_u32_e32 v102, v104, v102
	s_delay_alu instid0(VALU_DEP_1) | instskip(NEXT) | instid1(VALU_DEP_1)
	v_mov_b32_dpp v104, v102 row_shr:2 row_mask:0xf bank_mask:0xf
	v_cndmask_b32_e64 v104, 0, v104, s24
	v_cmp_lt_u32_e64 s24, 3, v103
	s_delay_alu instid0(VALU_DEP_2) | instskip(NEXT) | instid1(VALU_DEP_1)
	v_add_nc_u32_e32 v102, v102, v104
	v_mov_b32_dpp v104, v102 row_shr:4 row_mask:0xf bank_mask:0xf
	s_delay_alu instid0(VALU_DEP_1) | instskip(SKIP_1) | instid1(VALU_DEP_2)
	v_cndmask_b32_e64 v104, 0, v104, s24
	v_cmp_lt_u32_e64 s24, 7, v103
	v_add_nc_u32_e32 v102, v102, v104
	s_delay_alu instid0(VALU_DEP_1) | instskip(NEXT) | instid1(VALU_DEP_1)
	v_mov_b32_dpp v104, v102 row_shr:8 row_mask:0xf bank_mask:0xf
	v_cndmask_b32_e64 v103, 0, v104, s24
	v_bfe_i32 v104, v51, 4, 1
	s_delay_alu instid0(VALU_DEP_2) | instskip(SKIP_4) | instid1(VALU_DEP_2)
	v_add_nc_u32_e32 v103, v102, v103
	ds_swizzle_b32 v102, v103 offset:swizzle(BROADCAST,32,15)
	s_waitcnt lgkmcnt(0)
	v_and_b32_e32 v104, v104, v102
	v_lshrrev_b32_e32 v102, 5, v1
	v_add_nc_u32_e32 v21, v103, v104
	v_cmpx_eq_u32_e64 v105, v1
	s_cbranch_execz .LBB180_91
; %bb.90:
	s_delay_alu instid0(VALU_DEP_3)
	v_lshlrev_b32_e32 v103, 2, v102
	ds_store_b32 v103, v21
.LBB180_91:
	s_or_b32 exec_lo, exec_lo, s25
	s_delay_alu instid0(SALU_CYCLE_1)
	s_mov_b32 s25, exec_lo
	s_waitcnt lgkmcnt(0)
	s_barrier
	buffer_gl0_inv
	v_cmpx_gt_u32_e32 8, v1
	s_cbranch_execz .LBB180_93
; %bb.92:
	v_lshlrev_b32_e32 v103, 2, v1
	v_and_b32_e32 v105, 7, v51
	ds_load_b32 v104, v103
	v_cmp_ne_u32_e64 s24, 0, v105
	s_waitcnt lgkmcnt(0)
	v_mov_b32_dpp v106, v104 row_shr:1 row_mask:0xf bank_mask:0xf
	s_delay_alu instid0(VALU_DEP_1) | instskip(SKIP_1) | instid1(VALU_DEP_2)
	v_cndmask_b32_e64 v106, 0, v106, s24
	v_cmp_lt_u32_e64 s24, 1, v105
	v_add_nc_u32_e32 v104, v106, v104
	s_delay_alu instid0(VALU_DEP_1) | instskip(NEXT) | instid1(VALU_DEP_1)
	v_mov_b32_dpp v106, v104 row_shr:2 row_mask:0xf bank_mask:0xf
	v_cndmask_b32_e64 v106, 0, v106, s24
	v_cmp_lt_u32_e64 s24, 3, v105
	s_delay_alu instid0(VALU_DEP_2) | instskip(NEXT) | instid1(VALU_DEP_1)
	v_add_nc_u32_e32 v104, v104, v106
	v_mov_b32_dpp v106, v104 row_shr:4 row_mask:0xf bank_mask:0xf
	s_delay_alu instid0(VALU_DEP_1) | instskip(NEXT) | instid1(VALU_DEP_1)
	v_cndmask_b32_e64 v105, 0, v106, s24
	v_add_nc_u32_e32 v104, v104, v105
	ds_store_b32 v103, v104
.LBB180_93:
	s_or_b32 exec_lo, exec_lo, s25
	v_mov_b32_e32 v103, 0
	s_mov_b32 s25, exec_lo
	s_waitcnt lgkmcnt(0)
	s_barrier
	buffer_gl0_inv
	v_cmpx_lt_u32_e32 31, v1
	s_cbranch_execz .LBB180_95
; %bb.94:
	v_lshl_add_u32 v102, v102, 2, -4
	ds_load_b32 v103, v102
.LBB180_95:
	s_or_b32 exec_lo, exec_lo, s25
	v_add_nc_u32_e32 v102, -1, v51
	s_waitcnt lgkmcnt(0)
	v_add_nc_u32_e32 v21, v103, v21
	s_mov_b32 s25, 0
	s_mov_b32 s26, exec_lo
	v_cmp_gt_i32_e64 s24, 0, v102
	s_delay_alu instid0(VALU_DEP_1) | instskip(SKIP_1) | instid1(VALU_DEP_2)
	v_cndmask_b32_e64 v102, v102, v51, s24
	v_cmp_eq_u32_e64 s24, 0, v51
	v_lshlrev_b32_e32 v102, 2, v102
	ds_bpermute_b32 v21, v102, v21
	s_waitcnt lgkmcnt(0)
	v_cndmask_b32_e64 v21, v21, v103, s24
	v_cmp_ne_u32_e64 s24, 0, v1
	s_delay_alu instid0(VALU_DEP_1) | instskip(NEXT) | instid1(VALU_DEP_1)
	v_cndmask_b32_e64 v21, 0, v21, s24
	v_add_nc_u32_e32 v8, v21, v8
	s_delay_alu instid0(VALU_DEP_1) | instskip(NEXT) | instid1(VALU_DEP_1)
	v_add_nc_u32_e32 v9, v8, v9
	v_add_nc_u32_e32 v6, v9, v6
	s_delay_alu instid0(VALU_DEP_1) | instskip(NEXT) | instid1(VALU_DEP_1)
	v_add_nc_u32_e32 v7, v6, v7
	;; [unrolled: 3-line block ×3, first 2 shown]
	v_add_nc_u32_e32 v2, v5, v2
	s_delay_alu instid0(VALU_DEP_1)
	v_add_nc_u32_e32 v3, v2, v3
	ds_store_2addr_b32 v35, v21, v8 offset0:8 offset1:9
	ds_store_2addr_b32 v101, v9, v6 offset0:2 offset1:3
	;; [unrolled: 1-line block ×4, first 2 shown]
	ds_store_b32 v101, v3 offset:32
	v_mov_b32_e32 v2, 0x1600
	s_waitcnt lgkmcnt(0)
	s_barrier
	buffer_gl0_inv
	ds_load_b32 v4, v39 offset:32
	ds_load_b32 v5, v42 offset:32
	;; [unrolled: 1-line block ×23, first 2 shown]
	v_add_nc_u32_e32 v35, 1, v1
	s_delay_alu instid0(VALU_DEP_1)
	v_cmpx_ne_u32_e32 0x100, v35
	s_cbranch_execz .LBB180_97
; %bb.96:
	v_mul_u32_u24_e32 v2, 9, v35
	s_delay_alu instid0(VALU_DEP_1)
	v_lshlrev_b32_e32 v2, 2, v2
	ds_load_b32 v2, v2 offset:32
.LBB180_97:
	s_or_b32 exec_lo, exec_lo, s26
	s_waitcnt lgkmcnt(22)
	v_add3_u32 v74, v38, v37, v4
	s_waitcnt lgkmcnt(21)
	v_add3_u32 v73, v41, v40, v5
	v_lshl_add_u32 v4, s15, 8, v1
	v_mov_b32_e32 v5, 0
	s_waitcnt lgkmcnt(20)
	v_add3_u32 v72, v44, v43, v6
	s_waitcnt lgkmcnt(19)
	v_add3_u32 v71, v47, v46, v7
	;; [unrolled: 2-line block ×4, first 2 shown]
	v_lshlrev_b64 v[6:7], 2, v[4:5]
	s_waitcnt lgkmcnt(0)
	v_sub_nc_u32_e32 v52, v2, v3
	v_dual_mov_b32 v2, 0 :: v_dual_add_nc_u32 v75, v36, v34
	v_add3_u32 v70, v50, v49, v8
	v_add3_u32 v69, v54, v53, v9
	v_add_co_u32 v6, s24, s66, v6
	v_add3_u32 v68, v57, v56, v21
	v_add3_u32 v67, v60, v59, v39
	;; [unrolled: 1-line block ×13, first 2 shown]
	v_add_co_ci_u32_e64 v7, s24, s67, v7, s24
	v_or_b32_e32 v4, 2.0, v52
	s_mov_b32 s26, s63
	s_barrier
	buffer_gl0_inv
	ds_store_b8 v75, v12 offset:2048
	ds_store_b8 v74, v11 offset:2048
	;; [unrolled: 1-line block ×22, first 2 shown]
	s_waitcnt lgkmcnt(0)
	s_barrier
	buffer_gl0_inv
	global_store_b32 v[6:7], v4, off
                                        ; implicit-def: $sgpr24
	s_branch .LBB180_99
	.p2align	6
.LBB180_98:                             ;   in Loop: Header=BB180_99 Depth=1
	s_or_b32 exec_lo, exec_lo, s27
	v_and_b32_e32 v8, 0x3fffffff, v11
	v_cmp_eq_u32_e64 s24, 0x80000000, v4
	s_delay_alu instid0(VALU_DEP_2) | instskip(NEXT) | instid1(VALU_DEP_2)
	v_add_nc_u32_e32 v2, v8, v2
	s_and_b32 s27, exec_lo, s24
	s_delay_alu instid0(SALU_CYCLE_1) | instskip(NEXT) | instid1(SALU_CYCLE_1)
	s_or_b32 s25, s27, s25
	s_and_not1_b32 exec_lo, exec_lo, s25
	s_cbranch_execz .LBB180_105
.LBB180_99:                             ; =>This Loop Header: Depth=1
                                        ;     Child Loop BB180_102 Depth 2
	s_or_b32 s24, s24, exec_lo
	s_cmp_eq_u32 s26, 0
	s_cbranch_scc1 .LBB180_104
; %bb.100:                              ;   in Loop: Header=BB180_99 Depth=1
	s_add_i32 s26, s26, -1
	s_mov_b32 s27, exec_lo
	v_lshl_add_u32 v4, s26, 8, v1
	s_delay_alu instid0(VALU_DEP_1) | instskip(NEXT) | instid1(VALU_DEP_1)
	v_lshlrev_b64 v[8:9], 2, v[4:5]
	v_add_co_u32 v8, s24, s66, v8
	s_delay_alu instid0(VALU_DEP_1) | instskip(SKIP_3) | instid1(VALU_DEP_1)
	v_add_co_ci_u32_e64 v9, s24, s67, v9, s24
	global_load_b32 v11, v[8:9], off glc
	s_waitcnt vmcnt(0)
	v_and_b32_e32 v4, -2.0, v11
	v_cmpx_eq_u32_e32 0, v4
	s_cbranch_execz .LBB180_98
; %bb.101:                              ;   in Loop: Header=BB180_99 Depth=1
	s_mov_b32 s28, 0
.LBB180_102:                            ;   Parent Loop BB180_99 Depth=1
                                        ; =>  This Inner Loop Header: Depth=2
	global_load_b32 v11, v[8:9], off glc
	s_waitcnt vmcnt(0)
	v_and_b32_e32 v4, -2.0, v11
	s_delay_alu instid0(VALU_DEP_1) | instskip(NEXT) | instid1(VALU_DEP_1)
	v_cmp_ne_u32_e64 s24, 0, v4
	s_or_b32 s28, s24, s28
	s_delay_alu instid0(SALU_CYCLE_1)
	s_and_not1_b32 exec_lo, exec_lo, s28
	s_cbranch_execnz .LBB180_102
; %bb.103:                              ;   in Loop: Header=BB180_99 Depth=1
	s_or_b32 exec_lo, exec_lo, s28
	s_branch .LBB180_98
.LBB180_104:                            ;   in Loop: Header=BB180_99 Depth=1
                                        ; implicit-def: $sgpr26
	s_and_b32 s27, exec_lo, s24
	s_delay_alu instid0(SALU_CYCLE_1) | instskip(NEXT) | instid1(SALU_CYCLE_1)
	s_or_b32 s25, s27, s25
	s_and_not1_b32 exec_lo, exec_lo, s25
	s_cbranch_execnz .LBB180_99
.LBB180_105:
	s_or_b32 exec_lo, exec_lo, s25
	v_add_nc_u32_e32 v4, v2, v52
	v_lshlrev_b32_e32 v53, 3, v1
	v_cmp_gt_u32_e64 s40, s47, v1
	s_delay_alu instid0(VALU_DEP_3)
	v_or_b32_e32 v4, 0x80000000, v4
	global_store_b32 v[6:7], v4, off
	v_sub_co_u32 v6, s24, v2, v3
	v_mov_b32_e32 v2, 0
	global_load_b64 v[4:5], v53, s[56:57]
	v_sub_co_ci_u32_e64 v7, null, 0, 0, s24
	s_waitcnt vmcnt(0)
	v_add_co_u32 v6, s24, v6, v4
	s_delay_alu instid0(VALU_DEP_1)
	v_add_co_ci_u32_e64 v7, s24, v7, v5, s24
	v_mov_b32_e32 v4, v2
	ds_store_b64 v53, v[6:7]
	s_waitcnt lgkmcnt(0)
	s_waitcnt_vscnt null, 0x0
	s_barrier
	buffer_gl0_inv
	s_and_saveexec_b32 s25, s40
	s_cbranch_execz .LBB180_107
; %bb.106:
	ds_load_u8 v7, v1 offset:2048
	s_waitcnt lgkmcnt(0)
	v_and_b32_e32 v5, 1, v7
	s_delay_alu instid0(VALU_DEP_1) | instskip(NEXT) | instid1(VALU_DEP_1)
	v_lshrrev_b32_e32 v5, s60, v5
	v_and_b32_e32 v5, s68, v5
	s_delay_alu instid0(VALU_DEP_1) | instskip(SKIP_3) | instid1(VALU_DEP_1)
	v_lshlrev_b32_e32 v5, 3, v5
	ds_load_b64 v[5:6], v5
	s_waitcnt lgkmcnt(0)
	v_add_co_u32 v5, s24, s50, v5
	v_add_co_ci_u32_e64 v6, s24, s51, v6, s24
	s_delay_alu instid0(VALU_DEP_2) | instskip(NEXT) | instid1(VALU_DEP_1)
	v_add_co_u32 v5, s24, v5, v1
	v_add_co_ci_u32_e64 v6, s24, 0, v6, s24
	global_store_b8 v[5:6], v7, off
.LBB180_107:
	s_or_b32 exec_lo, exec_lo, s25
	v_add_nc_u32_e32 v5, 0x100, v1
	s_delay_alu instid0(VALU_DEP_1) | instskip(NEXT) | instid1(VALU_DEP_1)
	v_cmp_gt_u32_e64 s45, s47, v5
	s_and_saveexec_b32 s25, s45
	s_cbranch_execz .LBB180_109
; %bb.108:
	ds_load_u8 v7, v1 offset:2304
	s_waitcnt lgkmcnt(0)
	v_and_b32_e32 v5, 1, v7
	s_delay_alu instid0(VALU_DEP_1) | instskip(NEXT) | instid1(VALU_DEP_1)
	v_lshrrev_b32_e32 v5, s60, v5
	v_and_b32_e32 v5, s68, v5
	s_delay_alu instid0(VALU_DEP_1) | instskip(SKIP_3) | instid1(VALU_DEP_1)
	v_lshlrev_b32_e32 v5, 3, v5
	ds_load_b64 v[5:6], v5
	s_waitcnt lgkmcnt(0)
	v_add_co_u32 v5, s24, s50, v5
	v_add_co_ci_u32_e64 v6, s24, s51, v6, s24
	s_delay_alu instid0(VALU_DEP_2) | instskip(NEXT) | instid1(VALU_DEP_1)
	v_add_co_u32 v5, s24, v5, v1
	v_add_co_ci_u32_e64 v6, s24, 0, v6, s24
	global_store_b8 v[5:6], v7, off offset:256
.LBB180_109:
	s_or_b32 exec_lo, exec_lo, s25
	v_add_nc_u32_e32 v95, 0x200, v1
	s_delay_alu instid0(VALU_DEP_1) | instskip(NEXT) | instid1(VALU_DEP_1)
	v_cmp_gt_u32_e64 s46, s47, v95
	s_and_saveexec_b32 s25, s46
	s_cbranch_execz .LBB180_111
; %bb.110:
	ds_load_u8 v7, v1 offset:2560
	s_waitcnt lgkmcnt(0)
	v_and_b32_e32 v5, 1, v7
	s_delay_alu instid0(VALU_DEP_1) | instskip(NEXT) | instid1(VALU_DEP_1)
	v_lshrrev_b32_e32 v5, s60, v5
	v_and_b32_e32 v5, s68, v5
	s_delay_alu instid0(VALU_DEP_1) | instskip(SKIP_3) | instid1(VALU_DEP_1)
	v_lshlrev_b32_e32 v5, 3, v5
	ds_load_b64 v[5:6], v5
	s_waitcnt lgkmcnt(0)
	v_add_co_u32 v5, s24, s50, v5
	v_add_co_ci_u32_e64 v6, s24, s51, v6, s24
	s_delay_alu instid0(VALU_DEP_2) | instskip(NEXT) | instid1(VALU_DEP_1)
	v_add_co_u32 v5, s24, v5, v1
	v_add_co_ci_u32_e64 v6, s24, 0, v6, s24
	global_store_b8 v[5:6], v7, off offset:512
.LBB180_111:
	;; [unrolled: 24-line block ×3, first 2 shown]
	s_or_b32 exec_lo, exec_lo, s25
	v_or_b32_e32 v93, 0x400, v1
	s_delay_alu instid0(VALU_DEP_1) | instskip(NEXT) | instid1(VALU_DEP_1)
	v_cmp_gt_u32_e64 s43, s47, v93
	s_and_saveexec_b32 s25, s43
	s_cbranch_execz .LBB180_115
; %bb.114:
	ds_load_u8 v7, v1 offset:3072
	s_waitcnt lgkmcnt(0)
	v_and_b32_e32 v5, 1, v7
	s_delay_alu instid0(VALU_DEP_1) | instskip(NEXT) | instid1(VALU_DEP_1)
	v_lshrrev_b32_e32 v5, s60, v5
	v_and_b32_e32 v5, s68, v5
	s_delay_alu instid0(VALU_DEP_1) | instskip(SKIP_3) | instid1(VALU_DEP_1)
	v_lshlrev_b32_e32 v5, 3, v5
	ds_load_b64 v[5:6], v5
	s_waitcnt lgkmcnt(0)
	v_add_co_u32 v5, s24, s50, v5
	v_add_co_ci_u32_e64 v6, s24, s51, v6, s24
	s_delay_alu instid0(VALU_DEP_2) | instskip(NEXT) | instid1(VALU_DEP_1)
	v_add_co_u32 v5, s24, v5, v1
	v_add_co_ci_u32_e64 v6, s24, 0, v6, s24
	global_store_b8 v[5:6], v7, off offset:1024
.LBB180_115:
	s_or_b32 exec_lo, exec_lo, s25
	v_add_nc_u32_e32 v92, 0x500, v1
	s_delay_alu instid0(VALU_DEP_1) | instskip(NEXT) | instid1(VALU_DEP_1)
	v_cmp_gt_u32_e64 s42, s47, v92
	s_and_saveexec_b32 s25, s42
	s_cbranch_execz .LBB180_117
; %bb.116:
	ds_load_u8 v7, v1 offset:3328
	s_waitcnt lgkmcnt(0)
	v_and_b32_e32 v5, 1, v7
	s_delay_alu instid0(VALU_DEP_1) | instskip(NEXT) | instid1(VALU_DEP_1)
	v_lshrrev_b32_e32 v5, s60, v5
	v_and_b32_e32 v5, s68, v5
	s_delay_alu instid0(VALU_DEP_1) | instskip(SKIP_3) | instid1(VALU_DEP_1)
	v_lshlrev_b32_e32 v5, 3, v5
	ds_load_b64 v[5:6], v5
	s_waitcnt lgkmcnt(0)
	v_add_co_u32 v5, s24, s50, v5
	v_add_co_ci_u32_e64 v6, s24, s51, v6, s24
	s_delay_alu instid0(VALU_DEP_2) | instskip(NEXT) | instid1(VALU_DEP_1)
	v_add_co_u32 v5, s24, v5, v1
	v_add_co_ci_u32_e64 v6, s24, 0, v6, s24
	global_store_b8 v[5:6], v7, off offset:1280
.LBB180_117:
	s_or_b32 exec_lo, exec_lo, s25
	v_add_nc_u32_e32 v91, 0x600, v1
	;; [unrolled: 24-line block ×3, first 2 shown]
	s_delay_alu instid0(VALU_DEP_1) | instskip(NEXT) | instid1(VALU_DEP_1)
	v_cmp_gt_u32_e64 s39, s47, v90
	s_and_saveexec_b32 s25, s39
	s_cbranch_execz .LBB180_121
; %bb.120:
	ds_load_u8 v7, v1 offset:3840
	s_waitcnt lgkmcnt(0)
	v_and_b32_e32 v5, 1, v7
	s_delay_alu instid0(VALU_DEP_1) | instskip(NEXT) | instid1(VALU_DEP_1)
	v_lshrrev_b32_e32 v5, s60, v5
	v_and_b32_e32 v5, s68, v5
	s_delay_alu instid0(VALU_DEP_1) | instskip(SKIP_3) | instid1(VALU_DEP_1)
	v_lshlrev_b32_e32 v5, 3, v5
	ds_load_b64 v[5:6], v5
	s_waitcnt lgkmcnt(0)
	v_add_co_u32 v5, s24, s50, v5
	v_add_co_ci_u32_e64 v6, s24, s51, v6, s24
	s_delay_alu instid0(VALU_DEP_2) | instskip(NEXT) | instid1(VALU_DEP_1)
	v_add_co_u32 v5, s24, v5, v1
	v_add_co_ci_u32_e64 v6, s24, 0, v6, s24
	global_store_b8 v[5:6], v7, off offset:1792
.LBB180_121:
	s_or_b32 exec_lo, exec_lo, s25
	v_or_b32_e32 v89, 0x800, v1
	s_delay_alu instid0(VALU_DEP_1) | instskip(NEXT) | instid1(VALU_DEP_1)
	v_cmp_gt_u32_e64 s38, s47, v89
	s_and_saveexec_b32 s25, s38
	s_cbranch_execz .LBB180_123
; %bb.122:
	ds_load_u8 v7, v1 offset:4096
	s_waitcnt lgkmcnt(0)
	v_and_b32_e32 v5, 1, v7
	s_delay_alu instid0(VALU_DEP_1) | instskip(NEXT) | instid1(VALU_DEP_1)
	v_lshrrev_b32_e32 v5, s60, v5
	v_and_b32_e32 v5, s68, v5
	s_delay_alu instid0(VALU_DEP_1) | instskip(SKIP_3) | instid1(VALU_DEP_1)
	v_lshlrev_b32_e32 v5, 3, v5
	ds_load_b64 v[5:6], v5
	s_waitcnt lgkmcnt(0)
	v_add_co_u32 v5, s24, s50, v5
	v_add_co_ci_u32_e64 v6, s24, s51, v6, s24
	s_delay_alu instid0(VALU_DEP_2) | instskip(NEXT) | instid1(VALU_DEP_1)
	v_add_co_u32 v5, s24, v5, v1
	v_add_co_ci_u32_e64 v6, s24, 0, v6, s24
	global_store_b8 v[5:6], v7, off offset:2048
.LBB180_123:
	s_or_b32 exec_lo, exec_lo, s25
	v_add_nc_u32_e32 v88, 0x900, v1
	s_delay_alu instid0(VALU_DEP_1) | instskip(NEXT) | instid1(VALU_DEP_1)
	v_cmp_gt_u32_e64 s37, s47, v88
	s_and_saveexec_b32 s25, s37
	s_cbranch_execz .LBB180_125
; %bb.124:
	ds_load_u8 v7, v1 offset:4352
	s_waitcnt lgkmcnt(0)
	v_and_b32_e32 v5, 1, v7
	s_delay_alu instid0(VALU_DEP_1) | instskip(NEXT) | instid1(VALU_DEP_1)
	v_lshrrev_b32_e32 v5, s60, v5
	v_and_b32_e32 v5, s68, v5
	s_delay_alu instid0(VALU_DEP_1) | instskip(SKIP_3) | instid1(VALU_DEP_1)
	v_lshlrev_b32_e32 v5, 3, v5
	ds_load_b64 v[5:6], v5
	s_waitcnt lgkmcnt(0)
	v_add_co_u32 v5, s24, s50, v5
	v_add_co_ci_u32_e64 v6, s24, s51, v6, s24
	s_delay_alu instid0(VALU_DEP_2) | instskip(NEXT) | instid1(VALU_DEP_1)
	v_add_co_u32 v5, s24, v5, v1
	v_add_co_ci_u32_e64 v6, s24, 0, v6, s24
	global_store_b8 v[5:6], v7, off offset:2304
.LBB180_125:
	s_or_b32 exec_lo, exec_lo, s25
	v_add_nc_u32_e32 v87, 0xa00, v1
	;; [unrolled: 24-line block ×3, first 2 shown]
	s_delay_alu instid0(VALU_DEP_1) | instskip(NEXT) | instid1(VALU_DEP_1)
	v_cmp_gt_u32_e64 s35, s47, v86
	s_and_saveexec_b32 s25, s35
	s_cbranch_execz .LBB180_129
; %bb.128:
	ds_load_u8 v7, v1 offset:4864
	s_waitcnt lgkmcnt(0)
	v_and_b32_e32 v5, 1, v7
	s_delay_alu instid0(VALU_DEP_1) | instskip(NEXT) | instid1(VALU_DEP_1)
	v_lshrrev_b32_e32 v5, s60, v5
	v_and_b32_e32 v5, s68, v5
	s_delay_alu instid0(VALU_DEP_1) | instskip(SKIP_3) | instid1(VALU_DEP_1)
	v_lshlrev_b32_e32 v5, 3, v5
	ds_load_b64 v[5:6], v5
	s_waitcnt lgkmcnt(0)
	v_add_co_u32 v5, s24, s50, v5
	v_add_co_ci_u32_e64 v6, s24, s51, v6, s24
	s_delay_alu instid0(VALU_DEP_2) | instskip(NEXT) | instid1(VALU_DEP_1)
	v_add_co_u32 v5, s24, v5, v1
	v_add_co_ci_u32_e64 v6, s24, 0, v6, s24
	global_store_b8 v[5:6], v7, off offset:2816
.LBB180_129:
	s_or_b32 exec_lo, exec_lo, s25
	v_or_b32_e32 v85, 0xc00, v1
	s_delay_alu instid0(VALU_DEP_1) | instskip(NEXT) | instid1(VALU_DEP_1)
	v_cmp_gt_u32_e64 s34, s47, v85
	s_and_saveexec_b32 s25, s34
	s_cbranch_execz .LBB180_131
; %bb.130:
	ds_load_u8 v7, v1 offset:5120
	s_waitcnt lgkmcnt(0)
	v_and_b32_e32 v5, 1, v7
	s_delay_alu instid0(VALU_DEP_1) | instskip(NEXT) | instid1(VALU_DEP_1)
	v_lshrrev_b32_e32 v5, s60, v5
	v_and_b32_e32 v5, s68, v5
	s_delay_alu instid0(VALU_DEP_1) | instskip(SKIP_3) | instid1(VALU_DEP_1)
	v_lshlrev_b32_e32 v5, 3, v5
	ds_load_b64 v[5:6], v5
	s_waitcnt lgkmcnt(0)
	v_add_co_u32 v5, s24, s50, v5
	v_add_co_ci_u32_e64 v6, s24, s51, v6, s24
	s_delay_alu instid0(VALU_DEP_2) | instskip(NEXT) | instid1(VALU_DEP_1)
	v_add_co_u32 v5, s24, v5, v1
	v_add_co_ci_u32_e64 v6, s24, 0, v6, s24
	global_store_b8 v[5:6], v7, off offset:3072
.LBB180_131:
	s_or_b32 exec_lo, exec_lo, s25
	v_add_nc_u32_e32 v84, 0xd00, v1
	s_delay_alu instid0(VALU_DEP_1) | instskip(NEXT) | instid1(VALU_DEP_1)
	v_cmp_gt_u32_e64 s33, s47, v84
	s_and_saveexec_b32 s25, s33
	s_cbranch_execz .LBB180_133
; %bb.132:
	ds_load_u8 v7, v1 offset:5376
	s_waitcnt lgkmcnt(0)
	v_and_b32_e32 v5, 1, v7
	s_delay_alu instid0(VALU_DEP_1) | instskip(NEXT) | instid1(VALU_DEP_1)
	v_lshrrev_b32_e32 v5, s60, v5
	v_and_b32_e32 v5, s68, v5
	s_delay_alu instid0(VALU_DEP_1) | instskip(SKIP_3) | instid1(VALU_DEP_1)
	v_lshlrev_b32_e32 v5, 3, v5
	ds_load_b64 v[5:6], v5
	s_waitcnt lgkmcnt(0)
	v_add_co_u32 v5, s24, s50, v5
	v_add_co_ci_u32_e64 v6, s24, s51, v6, s24
	s_delay_alu instid0(VALU_DEP_2) | instskip(NEXT) | instid1(VALU_DEP_1)
	v_add_co_u32 v5, s24, v5, v1
	v_add_co_ci_u32_e64 v6, s24, 0, v6, s24
	global_store_b8 v[5:6], v7, off offset:3328
.LBB180_133:
	s_or_b32 exec_lo, exec_lo, s25
	v_add_nc_u32_e32 v83, 0xe00, v1
	;; [unrolled: 24-line block ×3, first 2 shown]
	s_delay_alu instid0(VALU_DEP_1) | instskip(NEXT) | instid1(VALU_DEP_1)
	v_cmp_gt_u32_e64 s30, s47, v82
	s_and_saveexec_b32 s25, s30
	s_cbranch_execz .LBB180_137
; %bb.136:
	ds_load_u8 v7, v1 offset:5888
	s_waitcnt lgkmcnt(0)
	v_and_b32_e32 v5, 1, v7
	s_delay_alu instid0(VALU_DEP_1) | instskip(NEXT) | instid1(VALU_DEP_1)
	v_lshrrev_b32_e32 v5, s60, v5
	v_and_b32_e32 v5, s68, v5
	s_delay_alu instid0(VALU_DEP_1) | instskip(SKIP_3) | instid1(VALU_DEP_1)
	v_lshlrev_b32_e32 v5, 3, v5
	ds_load_b64 v[5:6], v5
	s_waitcnt lgkmcnt(0)
	v_add_co_u32 v5, s24, s50, v5
	v_add_co_ci_u32_e64 v6, s24, s51, v6, s24
	s_delay_alu instid0(VALU_DEP_2) | instskip(NEXT) | instid1(VALU_DEP_1)
	v_add_co_u32 v5, s24, v5, v1
	v_add_co_ci_u32_e64 v6, s24, 0, v6, s24
	global_store_b8 v[5:6], v7, off offset:3840
.LBB180_137:
	s_or_b32 exec_lo, exec_lo, s25
	v_or_b32_e32 v81, 0x1000, v1
	s_delay_alu instid0(VALU_DEP_1) | instskip(NEXT) | instid1(VALU_DEP_1)
	v_cmp_gt_u32_e64 s29, s47, v81
	s_and_saveexec_b32 s25, s29
	s_cbranch_execz .LBB180_139
; %bb.138:
	ds_load_u8 v7, v1 offset:6144
	s_waitcnt lgkmcnt(0)
	v_and_b32_e32 v5, 1, v7
	s_delay_alu instid0(VALU_DEP_1) | instskip(NEXT) | instid1(VALU_DEP_1)
	v_lshrrev_b32_e32 v5, s60, v5
	v_and_b32_e32 v5, s68, v5
	s_delay_alu instid0(VALU_DEP_1) | instskip(SKIP_3) | instid1(VALU_DEP_1)
	v_lshlrev_b32_e32 v5, 3, v5
	ds_load_b64 v[5:6], v5
	s_waitcnt lgkmcnt(0)
	v_add_co_u32 v5, s24, s50, v5
	v_add_co_ci_u32_e64 v6, s24, s51, v6, s24
	s_delay_alu instid0(VALU_DEP_2) | instskip(NEXT) | instid1(VALU_DEP_1)
	v_add_co_u32 v5, s24, v5, v81
	v_add_co_ci_u32_e64 v6, s24, 0, v6, s24
	global_store_b8 v[5:6], v7, off
.LBB180_139:
	s_or_b32 exec_lo, exec_lo, s25
	v_add_nc_u32_e32 v80, 0x1100, v1
	s_delay_alu instid0(VALU_DEP_1) | instskip(NEXT) | instid1(VALU_DEP_1)
	v_cmp_gt_u32_e64 s28, s47, v80
	s_and_saveexec_b32 s25, s28
	s_cbranch_execz .LBB180_141
; %bb.140:
	ds_load_u8 v7, v1 offset:6400
	s_waitcnt lgkmcnt(0)
	v_and_b32_e32 v5, 1, v7
	s_delay_alu instid0(VALU_DEP_1) | instskip(NEXT) | instid1(VALU_DEP_1)
	v_lshrrev_b32_e32 v5, s60, v5
	v_and_b32_e32 v5, s68, v5
	s_delay_alu instid0(VALU_DEP_1) | instskip(SKIP_3) | instid1(VALU_DEP_1)
	v_lshlrev_b32_e32 v5, 3, v5
	ds_load_b64 v[5:6], v5
	s_waitcnt lgkmcnt(0)
	v_add_co_u32 v5, s24, s50, v5
	v_add_co_ci_u32_e64 v6, s24, s51, v6, s24
	s_delay_alu instid0(VALU_DEP_2) | instskip(NEXT) | instid1(VALU_DEP_1)
	v_add_co_u32 v5, s24, v5, v80
	v_add_co_ci_u32_e64 v6, s24, 0, v6, s24
	global_store_b8 v[5:6], v7, off
.LBB180_141:
	s_or_b32 exec_lo, exec_lo, s25
	v_add_nc_u32_e32 v79, 0x1200, v1
	;; [unrolled: 24-line block ×3, first 2 shown]
	s_delay_alu instid0(VALU_DEP_1) | instskip(NEXT) | instid1(VALU_DEP_1)
	v_cmp_gt_u32_e64 s26, s47, v78
	s_and_saveexec_b32 s25, s26
	s_cbranch_execz .LBB180_145
; %bb.144:
	ds_load_u8 v7, v1 offset:6912
	s_waitcnt lgkmcnt(0)
	v_and_b32_e32 v5, 1, v7
	s_delay_alu instid0(VALU_DEP_1) | instskip(NEXT) | instid1(VALU_DEP_1)
	v_lshrrev_b32_e32 v5, s60, v5
	v_and_b32_e32 v5, s68, v5
	s_delay_alu instid0(VALU_DEP_1) | instskip(SKIP_3) | instid1(VALU_DEP_1)
	v_lshlrev_b32_e32 v5, 3, v5
	ds_load_b64 v[5:6], v5
	s_waitcnt lgkmcnt(0)
	v_add_co_u32 v5, s24, s50, v5
	v_add_co_ci_u32_e64 v6, s24, s51, v6, s24
	s_delay_alu instid0(VALU_DEP_2) | instskip(NEXT) | instid1(VALU_DEP_1)
	v_add_co_u32 v5, s24, v5, v78
	v_add_co_ci_u32_e64 v6, s24, 0, v6, s24
	global_store_b8 v[5:6], v7, off
.LBB180_145:
	s_or_b32 exec_lo, exec_lo, s25
	v_or_b32_e32 v77, 0x1400, v1
	s_delay_alu instid0(VALU_DEP_1) | instskip(NEXT) | instid1(VALU_DEP_1)
	v_cmp_gt_u32_e64 s25, s47, v77
	s_and_saveexec_b32 s69, s25
	s_cbranch_execz .LBB180_147
; %bb.146:
	ds_load_u8 v7, v1 offset:7168
	s_waitcnt lgkmcnt(0)
	v_and_b32_e32 v5, 1, v7
	s_delay_alu instid0(VALU_DEP_1) | instskip(NEXT) | instid1(VALU_DEP_1)
	v_lshrrev_b32_e32 v5, s60, v5
	v_and_b32_e32 v5, s68, v5
	s_delay_alu instid0(VALU_DEP_1) | instskip(SKIP_3) | instid1(VALU_DEP_1)
	v_lshlrev_b32_e32 v5, 3, v5
	ds_load_b64 v[5:6], v5
	s_waitcnt lgkmcnt(0)
	v_add_co_u32 v5, s24, s50, v5
	v_add_co_ci_u32_e64 v6, s24, s51, v6, s24
	s_delay_alu instid0(VALU_DEP_2) | instskip(NEXT) | instid1(VALU_DEP_1)
	v_add_co_u32 v5, s24, v5, v77
	v_add_co_ci_u32_e64 v6, s24, 0, v6, s24
	global_store_b8 v[5:6], v7, off
.LBB180_147:
	s_or_b32 exec_lo, exec_lo, s69
	v_add_nc_u32_e32 v76, 0x1500, v1
	s_delay_alu instid0(VALU_DEP_1) | instskip(NEXT) | instid1(VALU_DEP_1)
	v_cmp_gt_u32_e64 s24, s47, v76
	s_and_saveexec_b32 s69, s24
	s_cbranch_execz .LBB180_149
; %bb.148:
	ds_load_u8 v7, v1 offset:7424
	s_waitcnt lgkmcnt(0)
	v_and_b32_e32 v5, 1, v7
	s_delay_alu instid0(VALU_DEP_1) | instskip(NEXT) | instid1(VALU_DEP_1)
	v_lshrrev_b32_e32 v5, s60, v5
	v_and_b32_e32 v5, s68, v5
	s_delay_alu instid0(VALU_DEP_1) | instskip(SKIP_3) | instid1(VALU_DEP_1)
	v_lshlrev_b32_e32 v5, 3, v5
	ds_load_b64 v[5:6], v5
	s_waitcnt lgkmcnt(0)
	v_add_co_u32 v5, s47, s50, v5
	v_add_co_ci_u32_e64 v6, s47, s51, v6, s47
	s_delay_alu instid0(VALU_DEP_2) | instskip(NEXT) | instid1(VALU_DEP_1)
	v_add_co_u32 v5, s47, v5, v76
	v_add_co_ci_u32_e64 v6, s47, 0, v6, s47
	global_store_b8 v[5:6], v7, off
.LBB180_149:
	s_or_b32 exec_lo, exec_lo, s69
	v_lshlrev_b32_e32 v5, 3, v51
	s_lshl_b64 s[70:71], s[64:65], 3
	v_lshlrev_b32_e32 v6, 3, v10
	s_add_u32 s47, s52, s70
	s_addc_u32 s65, s53, s71
	v_add_co_u32 v5, s47, s47, v5
	s_delay_alu instid0(VALU_DEP_1) | instskip(NEXT) | instid1(VALU_DEP_2)
	v_add_co_ci_u32_e64 v7, null, s65, 0, s47
	v_add_co_u32 v49, s47, v5, v6
	s_delay_alu instid0(VALU_DEP_1) | instskip(SKIP_1) | instid1(SALU_CYCLE_1)
	v_add_co_ci_u32_e64 v50, s47, 0, v7, s47
                                        ; implicit-def: $vgpr5_vgpr6
	s_and_saveexec_b32 s47, vcc_lo
	s_xor_b32 s47, exec_lo, s47
	s_cbranch_execnz .LBB180_283
; %bb.150:
	s_or_b32 exec_lo, exec_lo, s47
                                        ; implicit-def: $vgpr7_vgpr8
	s_and_saveexec_b32 s47, s2
	s_cbranch_execnz .LBB180_284
.LBB180_151:
	s_or_b32 exec_lo, exec_lo, s47
                                        ; implicit-def: $vgpr9_vgpr10
	s_and_saveexec_b32 s2, s3
	s_cbranch_execnz .LBB180_285
.LBB180_152:
	s_or_b32 exec_lo, exec_lo, s2
                                        ; implicit-def: $vgpr11_vgpr12
	s_and_saveexec_b32 s2, s4
	s_cbranch_execnz .LBB180_286
.LBB180_153:
	s_or_b32 exec_lo, exec_lo, s2
                                        ; implicit-def: $vgpr13_vgpr14
	s_and_saveexec_b32 s2, s5
	s_cbranch_execnz .LBB180_287
.LBB180_154:
	s_or_b32 exec_lo, exec_lo, s2
                                        ; implicit-def: $vgpr15_vgpr16
	s_and_saveexec_b32 s2, s6
	s_cbranch_execnz .LBB180_288
.LBB180_155:
	s_or_b32 exec_lo, exec_lo, s2
                                        ; implicit-def: $vgpr17_vgpr18
	s_and_saveexec_b32 s2, s7
	s_cbranch_execnz .LBB180_289
.LBB180_156:
	s_or_b32 exec_lo, exec_lo, s2
                                        ; implicit-def: $vgpr19_vgpr20
	s_and_saveexec_b32 s2, s8
	s_cbranch_execnz .LBB180_290
.LBB180_157:
	s_or_b32 exec_lo, exec_lo, s2
                                        ; implicit-def: $vgpr21_vgpr22
	s_and_saveexec_b32 s2, s9
	s_cbranch_execnz .LBB180_291
.LBB180_158:
	s_or_b32 exec_lo, exec_lo, s2
                                        ; implicit-def: $vgpr23_vgpr24
	s_and_saveexec_b32 s2, s10
	s_cbranch_execnz .LBB180_292
.LBB180_159:
	s_or_b32 exec_lo, exec_lo, s2
                                        ; implicit-def: $vgpr25_vgpr26
	s_and_saveexec_b32 s2, s11
	s_cbranch_execnz .LBB180_293
.LBB180_160:
	s_or_b32 exec_lo, exec_lo, s2
                                        ; implicit-def: $vgpr27_vgpr28
	s_and_saveexec_b32 s2, s12
	s_cbranch_execnz .LBB180_294
.LBB180_161:
	s_or_b32 exec_lo, exec_lo, s2
                                        ; implicit-def: $vgpr29_vgpr30
	s_and_saveexec_b32 s2, s13
	s_cbranch_execnz .LBB180_295
.LBB180_162:
	s_or_b32 exec_lo, exec_lo, s2
                                        ; implicit-def: $vgpr31_vgpr32
	s_and_saveexec_b32 s2, s14
	s_cbranch_execnz .LBB180_296
.LBB180_163:
	s_or_b32 exec_lo, exec_lo, s2
                                        ; implicit-def: $vgpr33_vgpr34
	s_and_saveexec_b32 s2, s16
	s_cbranch_execnz .LBB180_297
.LBB180_164:
	s_or_b32 exec_lo, exec_lo, s2
                                        ; implicit-def: $vgpr35_vgpr36
	s_and_saveexec_b32 s2, s18
	s_cbranch_execnz .LBB180_298
.LBB180_165:
	s_or_b32 exec_lo, exec_lo, s2
                                        ; implicit-def: $vgpr37_vgpr38
	s_and_saveexec_b32 s2, s23
	s_cbranch_execnz .LBB180_299
.LBB180_166:
	s_or_b32 exec_lo, exec_lo, s2
                                        ; implicit-def: $vgpr39_vgpr40
	s_and_saveexec_b32 s2, s21
	s_cbranch_execnz .LBB180_300
.LBB180_167:
	s_or_b32 exec_lo, exec_lo, s2
                                        ; implicit-def: $vgpr41_vgpr42
	s_and_saveexec_b32 s2, s22
	s_cbranch_execnz .LBB180_301
.LBB180_168:
	s_or_b32 exec_lo, exec_lo, s2
                                        ; implicit-def: $vgpr43_vgpr44
	s_and_saveexec_b32 s2, s19
	s_cbranch_execnz .LBB180_302
.LBB180_169:
	s_or_b32 exec_lo, exec_lo, s2
                                        ; implicit-def: $vgpr45_vgpr46
	s_and_saveexec_b32 s2, s20
	s_cbranch_execnz .LBB180_303
.LBB180_170:
	s_or_b32 exec_lo, exec_lo, s2
                                        ; implicit-def: $vgpr47_vgpr48
	s_and_saveexec_b32 s2, s17
	s_cbranch_execnz .LBB180_304
.LBB180_171:
	s_or_b32 exec_lo, exec_lo, s2
                                        ; implicit-def: $vgpr115
	s_and_saveexec_b32 s2, s40
	s_cbranch_execnz .LBB180_305
.LBB180_172:
	s_or_b32 exec_lo, exec_lo, s2
                                        ; implicit-def: $vgpr114
	s_and_saveexec_b32 s2, s45
	s_cbranch_execnz .LBB180_306
.LBB180_173:
	s_or_b32 exec_lo, exec_lo, s2
                                        ; implicit-def: $vgpr113
	s_and_saveexec_b32 s2, s46
	s_cbranch_execnz .LBB180_307
.LBB180_174:
	s_or_b32 exec_lo, exec_lo, s2
                                        ; implicit-def: $vgpr112
	s_and_saveexec_b32 s2, s44
	s_cbranch_execnz .LBB180_308
.LBB180_175:
	s_or_b32 exec_lo, exec_lo, s2
                                        ; implicit-def: $vgpr111
	s_and_saveexec_b32 s2, s43
	s_cbranch_execnz .LBB180_309
.LBB180_176:
	s_or_b32 exec_lo, exec_lo, s2
                                        ; implicit-def: $vgpr110
	s_and_saveexec_b32 s2, s42
	s_cbranch_execnz .LBB180_310
.LBB180_177:
	s_or_b32 exec_lo, exec_lo, s2
                                        ; implicit-def: $vgpr109
	s_and_saveexec_b32 s2, s41
	s_cbranch_execnz .LBB180_311
.LBB180_178:
	s_or_b32 exec_lo, exec_lo, s2
                                        ; implicit-def: $vgpr108
	s_and_saveexec_b32 s2, s39
	s_cbranch_execnz .LBB180_312
.LBB180_179:
	s_or_b32 exec_lo, exec_lo, s2
                                        ; implicit-def: $vgpr107
	s_and_saveexec_b32 s2, s38
	s_cbranch_execnz .LBB180_313
.LBB180_180:
	s_or_b32 exec_lo, exec_lo, s2
                                        ; implicit-def: $vgpr106
	s_and_saveexec_b32 s2, s37
	s_cbranch_execnz .LBB180_314
.LBB180_181:
	s_or_b32 exec_lo, exec_lo, s2
                                        ; implicit-def: $vgpr105
	s_and_saveexec_b32 s2, s36
	s_cbranch_execnz .LBB180_315
.LBB180_182:
	s_or_b32 exec_lo, exec_lo, s2
                                        ; implicit-def: $vgpr104
	s_and_saveexec_b32 s2, s35
	s_cbranch_execnz .LBB180_316
.LBB180_183:
	s_or_b32 exec_lo, exec_lo, s2
                                        ; implicit-def: $vgpr103
	s_and_saveexec_b32 s2, s34
	s_cbranch_execnz .LBB180_317
.LBB180_184:
	s_or_b32 exec_lo, exec_lo, s2
                                        ; implicit-def: $vgpr102
	s_and_saveexec_b32 s2, s33
	s_cbranch_execnz .LBB180_318
.LBB180_185:
	s_or_b32 exec_lo, exec_lo, s2
                                        ; implicit-def: $vgpr101
	s_and_saveexec_b32 s2, s31
	s_cbranch_execnz .LBB180_319
.LBB180_186:
	s_or_b32 exec_lo, exec_lo, s2
                                        ; implicit-def: $vgpr100
	s_and_saveexec_b32 s2, s30
	s_cbranch_execnz .LBB180_320
.LBB180_187:
	s_or_b32 exec_lo, exec_lo, s2
                                        ; implicit-def: $vgpr99
	s_and_saveexec_b32 s2, s29
	s_cbranch_execnz .LBB180_321
.LBB180_188:
	s_or_b32 exec_lo, exec_lo, s2
                                        ; implicit-def: $vgpr98
	s_and_saveexec_b32 s2, s28
	s_cbranch_execnz .LBB180_322
.LBB180_189:
	s_or_b32 exec_lo, exec_lo, s2
                                        ; implicit-def: $vgpr97
	s_and_saveexec_b32 s2, s27
	s_cbranch_execnz .LBB180_323
.LBB180_190:
	s_or_b32 exec_lo, exec_lo, s2
                                        ; implicit-def: $vgpr96
	s_and_saveexec_b32 s2, s26
	s_cbranch_execnz .LBB180_324
.LBB180_191:
	s_or_b32 exec_lo, exec_lo, s2
                                        ; implicit-def: $vgpr50
	s_and_saveexec_b32 s2, s25
	s_cbranch_execnz .LBB180_325
.LBB180_192:
	s_or_b32 exec_lo, exec_lo, s2
                                        ; implicit-def: $vgpr49
	s_and_saveexec_b32 s2, s24
	s_cbranch_execz .LBB180_194
.LBB180_193:
	ds_load_u8 v49, v1 offset:7424
	s_waitcnt lgkmcnt(0)
	v_lshrrev_b32_e32 v49, s60, v49
	s_delay_alu instid0(VALU_DEP_1)
	v_and_b32_e32 v49, s68, v49
.LBB180_194:
	s_or_b32 exec_lo, exec_lo, s2
	v_lshlrev_b32_e32 v75, 3, v75
	v_lshlrev_b32_e32 v74, 3, v74
	s_waitcnt vmcnt(0)
	s_waitcnt_vscnt null, 0x0
	s_barrier
	buffer_gl0_inv
	ds_store_b64 v75, v[5:6] offset:2048
	ds_store_b64 v74, v[7:8] offset:2048
	v_lshlrev_b32_e32 v5, 3, v73
	v_lshlrev_b32_e32 v6, 3, v72
	v_lshlrev_b32_e32 v7, 3, v71
	v_lshlrev_b32_e32 v8, 3, v70
	v_lshlrev_b32_e32 v69, 3, v69
	ds_store_b64 v5, v[9:10] offset:2048
	ds_store_b64 v6, v[11:12] offset:2048
	ds_store_b64 v7, v[13:14] offset:2048
	ds_store_b64 v8, v[15:16] offset:2048
	ds_store_b64 v69, v[17:18] offset:2048
	v_lshlrev_b32_e32 v5, 3, v68
	v_lshlrev_b32_e32 v6, 3, v67
	v_lshlrev_b32_e32 v7, 3, v66
	v_lshlrev_b32_e32 v8, 3, v65
	v_lshlrev_b32_e32 v9, 3, v64
	ds_store_b64 v5, v[19:20] offset:2048
	ds_store_b64 v6, v[21:22] offset:2048
	ds_store_b64 v7, v[23:24] offset:2048
	ds_store_b64 v8, v[25:26] offset:2048
	ds_store_b64 v9, v[27:28] offset:2048
	v_lshlrev_b32_e32 v5, 3, v63
	v_lshlrev_b32_e32 v6, 3, v62
	v_lshlrev_b32_e32 v7, 3, v61
	v_lshlrev_b32_e32 v8, 3, v60
	v_lshlrev_b32_e32 v9, 3, v59
	ds_store_b64 v5, v[29:30] offset:2048
	ds_store_b64 v6, v[31:32] offset:2048
	ds_store_b64 v7, v[33:34] offset:2048
	ds_store_b64 v8, v[35:36] offset:2048
	ds_store_b64 v9, v[37:38] offset:2048
	v_lshlrev_b32_e32 v5, 3, v58
	v_lshlrev_b32_e32 v6, 3, v57
	v_lshlrev_b32_e32 v7, 3, v56
	v_lshlrev_b32_e32 v8, 3, v55
	v_lshlrev_b32_e32 v9, 3, v54
	ds_store_b64 v5, v[39:40] offset:2048
	ds_store_b64 v6, v[41:42] offset:2048
	ds_store_b64 v7, v[43:44] offset:2048
	ds_store_b64 v8, v[45:46] offset:2048
	ds_store_b64 v9, v[47:48] offset:2048
	s_waitcnt lgkmcnt(0)
	s_barrier
	buffer_gl0_inv
	s_and_saveexec_b32 s2, s40
	s_cbranch_execnz .LBB180_326
; %bb.195:
	s_or_b32 exec_lo, exec_lo, s2
	s_and_saveexec_b32 s2, s45
	s_cbranch_execnz .LBB180_327
.LBB180_196:
	s_or_b32 exec_lo, exec_lo, s2
	s_and_saveexec_b32 s2, s46
	s_cbranch_execnz .LBB180_328
.LBB180_197:
	s_or_b32 exec_lo, exec_lo, s2
	s_and_saveexec_b32 s2, s44
	s_cbranch_execnz .LBB180_329
.LBB180_198:
	s_or_b32 exec_lo, exec_lo, s2
	s_and_saveexec_b32 s2, s43
	s_cbranch_execnz .LBB180_330
.LBB180_199:
	s_or_b32 exec_lo, exec_lo, s2
	s_and_saveexec_b32 s2, s42
	s_cbranch_execnz .LBB180_331
.LBB180_200:
	s_or_b32 exec_lo, exec_lo, s2
	s_and_saveexec_b32 s2, s41
	s_cbranch_execnz .LBB180_332
.LBB180_201:
	s_or_b32 exec_lo, exec_lo, s2
	s_and_saveexec_b32 s2, s39
	s_cbranch_execnz .LBB180_333
.LBB180_202:
	s_or_b32 exec_lo, exec_lo, s2
	s_and_saveexec_b32 s2, s38
	s_cbranch_execnz .LBB180_334
.LBB180_203:
	s_or_b32 exec_lo, exec_lo, s2
	s_and_saveexec_b32 s2, s37
	s_cbranch_execnz .LBB180_335
.LBB180_204:
	s_or_b32 exec_lo, exec_lo, s2
	s_and_saveexec_b32 s2, s36
	s_cbranch_execnz .LBB180_336
.LBB180_205:
	s_or_b32 exec_lo, exec_lo, s2
	s_and_saveexec_b32 s2, s35
	s_cbranch_execnz .LBB180_337
.LBB180_206:
	s_or_b32 exec_lo, exec_lo, s2
	s_and_saveexec_b32 s2, s34
	s_cbranch_execnz .LBB180_338
.LBB180_207:
	s_or_b32 exec_lo, exec_lo, s2
	s_and_saveexec_b32 s2, s33
	s_cbranch_execnz .LBB180_339
.LBB180_208:
	s_or_b32 exec_lo, exec_lo, s2
	s_and_saveexec_b32 s2, s31
	s_cbranch_execnz .LBB180_340
.LBB180_209:
	s_or_b32 exec_lo, exec_lo, s2
	s_and_saveexec_b32 s2, s30
	s_cbranch_execnz .LBB180_341
.LBB180_210:
	s_or_b32 exec_lo, exec_lo, s2
	s_and_saveexec_b32 s2, s29
	s_cbranch_execnz .LBB180_342
.LBB180_211:
	s_or_b32 exec_lo, exec_lo, s2
	s_and_saveexec_b32 s2, s28
	s_cbranch_execnz .LBB180_343
.LBB180_212:
	s_or_b32 exec_lo, exec_lo, s2
	s_and_saveexec_b32 s2, s27
	s_cbranch_execnz .LBB180_344
.LBB180_213:
	s_or_b32 exec_lo, exec_lo, s2
	s_and_saveexec_b32 s2, s26
	s_cbranch_execnz .LBB180_345
.LBB180_214:
	s_or_b32 exec_lo, exec_lo, s2
	s_and_saveexec_b32 s2, s25
	s_cbranch_execnz .LBB180_346
.LBB180_215:
	s_or_b32 exec_lo, exec_lo, s2
	s_and_saveexec_b32 s2, s24
	s_cbranch_execz .LBB180_217
.LBB180_216:
	v_lshlrev_b32_e32 v5, 3, v49
	v_lshlrev_b32_e32 v7, 3, v1
	;; [unrolled: 1-line block ×3, first 2 shown]
	ds_load_b64 v[5:6], v5
	ds_load_b64 v[7:8], v7 offset:45056
	s_waitcnt lgkmcnt(1)
	v_lshlrev_b64 v[5:6], 3, v[5:6]
	s_delay_alu instid0(VALU_DEP_1) | instskip(NEXT) | instid1(VALU_DEP_2)
	v_add_co_u32 v5, vcc_lo, s54, v5
	v_add_co_ci_u32_e32 v6, vcc_lo, s55, v6, vcc_lo
	s_delay_alu instid0(VALU_DEP_2) | instskip(NEXT) | instid1(VALU_DEP_2)
	v_add_co_u32 v5, vcc_lo, v5, v9
	v_add_co_ci_u32_e32 v6, vcc_lo, 0, v6, vcc_lo
	s_waitcnt lgkmcnt(0)
	global_store_b64 v[5:6], v[7:8], off
.LBB180_217:
	s_or_b32 exec_lo, exec_lo, s2
	s_add_i32 s62, s62, -1
	s_delay_alu instid0(SALU_CYCLE_1)
	s_cmp_eq_u32 s15, s62
	s_cselect_b32 s2, -1, 0
	s_branch .LBB180_280
.LBB180_218:
	s_mov_b32 s2, 0
                                        ; implicit-def: $vgpr53
                                        ; implicit-def: $vgpr3_vgpr4
                                        ; implicit-def: $vgpr52
	s_cbranch_execz .LBB180_280
; %bb.219:
	v_and_b32_e32 v34, 0xe0, v1
	s_add_u32 s2, s48, s64
	s_addc_u32 s3, s49, 0
	v_add_co_u32 v2, s2, s2, v51
	s_delay_alu instid0(VALU_DEP_2)
	v_mul_u32_u24_e32 v10, 22, v34
	v_add_co_ci_u32_e64 v3, null, s3, 0, s2
	s_clause 0x1
	s_load_b32 s3, s[0:1], 0x5c
	s_load_b32 s2, s[0:1], 0x50
	v_add_co_u32 v2, vcc_lo, v2, v10
	v_add_co_ci_u32_e32 v3, vcc_lo, 0, v3, vcc_lo
	s_add_u32 s0, s0, 0x50
	s_addc_u32 s1, s1, 0
	v_mov_b32_e32 v4, 0
	global_load_u8 v18, v[2:3], off
	v_bfe_u32 v7, v0, 10, 10
	v_bfe_u32 v0, v0, 20, 10
	s_mov_b32 s65, 0
	s_waitcnt lgkmcnt(0)
	s_lshr_b32 s3, s3, 16
	s_cmp_lt_u32 s15, s2
	v_mad_u32_u24 v0, v0, s3, v7
	s_cselect_b32 s4, 12, 18
	s_delay_alu instid0(SALU_CYCLE_1)
	s_add_u32 s0, s0, s4
	s_addc_u32 s1, s1, 0
	global_load_u16 v5, v4, s[0:1]
	s_clause 0x14
	global_load_u8 v19, v[2:3], off offset:32
	global_load_u8 v20, v[2:3], off offset:64
	;; [unrolled: 1-line block ×21, first 2 shown]
	s_lshl_b32 s0, -1, s61
	s_delay_alu instid0(SALU_CYCLE_1) | instskip(SKIP_2) | instid1(VALU_DEP_1)
	s_not_b32 s1, s0
	s_waitcnt vmcnt(22)
	v_and_b32_e32 v2, 1, v18
	v_lshrrev_b32_e32 v2, s60, v2
	s_delay_alu instid0(VALU_DEP_1) | instskip(NEXT) | instid1(VALU_DEP_1)
	v_and_b32_e32 v6, s1, v2
	v_add_co_u32 v2, s0, v6, -1
	s_delay_alu instid0(VALU_DEP_1) | instskip(NEXT) | instid1(VALU_DEP_1)
	v_cndmask_b32_e64 v3, 0, 1, s0
	v_cmp_ne_u32_e32 vcc_lo, 0, v3
	v_mul_u32_u24_e32 v3, 9, v1
	s_delay_alu instid0(VALU_DEP_4) | instskip(NEXT) | instid1(VALU_DEP_2)
	v_xor_b32_e32 v7, vcc_lo, v2
	v_lshlrev_b32_e32 v33, 2, v3
	s_waitcnt vmcnt(21)
	v_mad_u64_u32 v[2:3], null, v0, v5, v[1:2]
	ds_store_2addr_b32 v33, v4, v4 offset0:8 offset1:9
	ds_store_2addr_b32 v33, v4, v4 offset0:10 offset1:11
	;; [unrolled: 1-line block ×4, first 2 shown]
	v_and_b32_e32 v3, exec_lo, v7
	ds_store_b32 v33, v4 offset:64
	v_mul_u32_u24_e32 v4, 9, v6
	v_lshrrev_b32_e32 v2, 5, v2
	s_waitcnt vmcnt(0) lgkmcnt(0)
	s_waitcnt_vscnt null, 0x0
	v_mbcnt_lo_u32_b32 v0, v3, 0
	v_cmp_ne_u32_e64 s0, 0, v3
	s_barrier
	v_add_lshl_u32 v35, v2, v4, 2
	buffer_gl0_inv
	v_cmp_eq_u32_e32 vcc_lo, 0, v0
	; wave barrier
	s_and_b32 s3, s0, vcc_lo
	s_delay_alu instid0(SALU_CYCLE_1)
	s_and_saveexec_b32 s0, s3
	s_cbranch_execz .LBB180_221
; %bb.220:
	v_bcnt_u32_b32 v3, v3, 0
	ds_store_b32 v35, v3 offset:32
.LBB180_221:
	s_or_b32 exec_lo, exec_lo, s0
	v_and_b32_e32 v3, 0xff, v19
	; wave barrier
	s_delay_alu instid0(VALU_DEP_1) | instskip(NEXT) | instid1(VALU_DEP_1)
	v_lshrrev_b32_e32 v3, s60, v3
	v_and_b32_e32 v3, s1, v3
	s_delay_alu instid0(VALU_DEP_1) | instskip(NEXT) | instid1(VALU_DEP_1)
	v_add_co_u32 v4, s0, v3, -1
	v_cndmask_b32_e64 v5, 0, 1, s0
	v_mul_u32_u24_e32 v3, 9, v3
	s_delay_alu instid0(VALU_DEP_2) | instskip(NEXT) | instid1(VALU_DEP_2)
	v_cmp_ne_u32_e32 vcc_lo, 0, v5
	v_add_lshl_u32 v38, v2, v3, 2
	v_xor_b32_e32 v3, vcc_lo, v4
	ds_load_b32 v36, v38 offset:32
	; wave barrier
	v_and_b32_e32 v3, exec_lo, v3
	s_delay_alu instid0(VALU_DEP_1) | instskip(SKIP_1) | instid1(VALU_DEP_2)
	v_mbcnt_lo_u32_b32 v37, v3, 0
	v_cmp_ne_u32_e64 s0, 0, v3
	v_cmp_eq_u32_e32 vcc_lo, 0, v37
	s_delay_alu instid0(VALU_DEP_2) | instskip(NEXT) | instid1(SALU_CYCLE_1)
	s_and_b32 s3, s0, vcc_lo
	s_and_saveexec_b32 s0, s3
	s_cbranch_execz .LBB180_223
; %bb.222:
	s_waitcnt lgkmcnt(0)
	v_bcnt_u32_b32 v3, v3, v36
	ds_store_b32 v38, v3 offset:32
.LBB180_223:
	s_or_b32 exec_lo, exec_lo, s0
	v_and_b32_e32 v3, 0xff, v20
	; wave barrier
	s_delay_alu instid0(VALU_DEP_1) | instskip(NEXT) | instid1(VALU_DEP_1)
	v_lshrrev_b32_e32 v3, s60, v3
	v_and_b32_e32 v3, s1, v3
	s_delay_alu instid0(VALU_DEP_1) | instskip(NEXT) | instid1(VALU_DEP_1)
	v_add_co_u32 v4, s0, v3, -1
	v_cndmask_b32_e64 v5, 0, 1, s0
	v_mul_u32_u24_e32 v3, 9, v3
	s_delay_alu instid0(VALU_DEP_2) | instskip(NEXT) | instid1(VALU_DEP_2)
	v_cmp_ne_u32_e32 vcc_lo, 0, v5
	v_add_lshl_u32 v41, v2, v3, 2
	v_xor_b32_e32 v3, vcc_lo, v4
	ds_load_b32 v39, v41 offset:32
	; wave barrier
	v_and_b32_e32 v3, exec_lo, v3
	s_delay_alu instid0(VALU_DEP_1) | instskip(SKIP_1) | instid1(VALU_DEP_2)
	v_mbcnt_lo_u32_b32 v40, v3, 0
	v_cmp_ne_u32_e64 s0, 0, v3
	v_cmp_eq_u32_e32 vcc_lo, 0, v40
	s_delay_alu instid0(VALU_DEP_2) | instskip(NEXT) | instid1(SALU_CYCLE_1)
	s_and_b32 s3, s0, vcc_lo
	s_and_saveexec_b32 s0, s3
	s_cbranch_execz .LBB180_225
; %bb.224:
	s_waitcnt lgkmcnt(0)
	v_bcnt_u32_b32 v3, v3, v39
	ds_store_b32 v41, v3 offset:32
.LBB180_225:
	;; [unrolled: 30-line block ×20, first 2 shown]
	s_or_b32 exec_lo, exec_lo, s0
	v_and_b32_e32 v3, 0xff, v13
	; wave barrier
	v_add_nc_u32_e32 v100, 32, v33
	s_delay_alu instid0(VALU_DEP_2) | instskip(NEXT) | instid1(VALU_DEP_1)
	v_lshrrev_b32_e32 v3, s60, v3
	v_and_b32_e32 v3, s1, v3
	s_delay_alu instid0(VALU_DEP_1) | instskip(NEXT) | instid1(VALU_DEP_1)
	v_add_co_u32 v4, s0, v3, -1
	v_cndmask_b32_e64 v5, 0, 1, s0
	v_mul_u32_u24_e32 v3, 9, v3
	s_delay_alu instid0(VALU_DEP_2) | instskip(NEXT) | instid1(VALU_DEP_2)
	v_cmp_ne_u32_e32 vcc_lo, 0, v5
	v_add_lshl_u32 v99, v2, v3, 2
	v_xor_b32_e32 v2, vcc_lo, v4
	ds_load_b32 v97, v99 offset:32
	; wave barrier
	v_and_b32_e32 v2, exec_lo, v2
	s_delay_alu instid0(VALU_DEP_1) | instskip(SKIP_1) | instid1(VALU_DEP_2)
	v_mbcnt_lo_u32_b32 v98, v2, 0
	v_cmp_ne_u32_e64 s0, 0, v2
	v_cmp_eq_u32_e32 vcc_lo, 0, v98
	s_delay_alu instid0(VALU_DEP_2) | instskip(NEXT) | instid1(SALU_CYCLE_1)
	s_and_b32 s3, s0, vcc_lo
	s_and_saveexec_b32 s0, s3
	s_cbranch_execz .LBB180_263
; %bb.262:
	s_waitcnt lgkmcnt(0)
	v_bcnt_u32_b32 v2, v2, v97
	ds_store_b32 v99, v2 offset:32
.LBB180_263:
	s_or_b32 exec_lo, exec_lo, s0
	; wave barrier
	s_waitcnt lgkmcnt(0)
	s_barrier
	buffer_gl0_inv
	ds_load_2addr_b32 v[8:9], v33 offset0:8 offset1:9
	ds_load_2addr_b32 v[6:7], v100 offset0:2 offset1:3
	;; [unrolled: 1-line block ×4, first 2 shown]
	ds_load_b32 v101, v100 offset:32
	v_min_u32_e32 v34, 0xe0, v34
	s_mov_b32 s0, exec_lo
	s_delay_alu instid0(VALU_DEP_1) | instskip(SKIP_3) | instid1(VALU_DEP_1)
	v_or_b32_e32 v104, 31, v34
	s_waitcnt lgkmcnt(3)
	v_add3_u32 v102, v9, v8, v6
	s_waitcnt lgkmcnt(2)
	v_add3_u32 v102, v102, v7, v4
	s_waitcnt lgkmcnt(1)
	s_delay_alu instid0(VALU_DEP_1) | instskip(SKIP_1) | instid1(VALU_DEP_1)
	v_add3_u32 v102, v102, v5, v2
	s_waitcnt lgkmcnt(0)
	v_add3_u32 v101, v102, v3, v101
	v_and_b32_e32 v102, 15, v51
	s_delay_alu instid0(VALU_DEP_2) | instskip(NEXT) | instid1(VALU_DEP_2)
	v_mov_b32_dpp v103, v101 row_shr:1 row_mask:0xf bank_mask:0xf
	v_cmp_ne_u32_e32 vcc_lo, 0, v102
	s_delay_alu instid0(VALU_DEP_2) | instskip(SKIP_1) | instid1(VALU_DEP_2)
	v_cndmask_b32_e32 v103, 0, v103, vcc_lo
	v_cmp_lt_u32_e32 vcc_lo, 1, v102
	v_add_nc_u32_e32 v101, v103, v101
	s_delay_alu instid0(VALU_DEP_1) | instskip(NEXT) | instid1(VALU_DEP_1)
	v_mov_b32_dpp v103, v101 row_shr:2 row_mask:0xf bank_mask:0xf
	v_cndmask_b32_e32 v103, 0, v103, vcc_lo
	v_cmp_lt_u32_e32 vcc_lo, 3, v102
	s_delay_alu instid0(VALU_DEP_2) | instskip(NEXT) | instid1(VALU_DEP_1)
	v_add_nc_u32_e32 v101, v101, v103
	v_mov_b32_dpp v103, v101 row_shr:4 row_mask:0xf bank_mask:0xf
	s_delay_alu instid0(VALU_DEP_1) | instskip(SKIP_1) | instid1(VALU_DEP_2)
	v_cndmask_b32_e32 v103, 0, v103, vcc_lo
	v_cmp_lt_u32_e32 vcc_lo, 7, v102
	v_add_nc_u32_e32 v101, v101, v103
	s_delay_alu instid0(VALU_DEP_1) | instskip(NEXT) | instid1(VALU_DEP_1)
	v_mov_b32_dpp v103, v101 row_shr:8 row_mask:0xf bank_mask:0xf
	v_cndmask_b32_e32 v102, 0, v103, vcc_lo
	v_bfe_i32 v103, v51, 4, 1
	s_delay_alu instid0(VALU_DEP_2) | instskip(SKIP_4) | instid1(VALU_DEP_2)
	v_add_nc_u32_e32 v102, v101, v102
	ds_swizzle_b32 v101, v102 offset:swizzle(BROADCAST,32,15)
	s_waitcnt lgkmcnt(0)
	v_and_b32_e32 v103, v103, v101
	v_lshrrev_b32_e32 v101, 5, v1
	v_add_nc_u32_e32 v34, v102, v103
	v_cmpx_eq_u32_e64 v104, v1
	s_cbranch_execz .LBB180_265
; %bb.264:
	s_delay_alu instid0(VALU_DEP_3)
	v_lshlrev_b32_e32 v102, 2, v101
	ds_store_b32 v102, v34
.LBB180_265:
	s_or_b32 exec_lo, exec_lo, s0
	s_delay_alu instid0(SALU_CYCLE_1)
	s_mov_b32 s0, exec_lo
	s_waitcnt lgkmcnt(0)
	s_barrier
	buffer_gl0_inv
	v_cmpx_gt_u32_e32 8, v1
	s_cbranch_execz .LBB180_267
; %bb.266:
	v_lshlrev_b32_e32 v102, 2, v1
	ds_load_b32 v103, v102
	s_waitcnt lgkmcnt(0)
	v_mov_b32_dpp v105, v103 row_shr:1 row_mask:0xf bank_mask:0xf
	v_and_b32_e32 v104, 7, v51
	s_delay_alu instid0(VALU_DEP_1) | instskip(NEXT) | instid1(VALU_DEP_3)
	v_cmp_ne_u32_e32 vcc_lo, 0, v104
	v_cndmask_b32_e32 v105, 0, v105, vcc_lo
	v_cmp_lt_u32_e32 vcc_lo, 1, v104
	s_delay_alu instid0(VALU_DEP_2) | instskip(NEXT) | instid1(VALU_DEP_1)
	v_add_nc_u32_e32 v103, v105, v103
	v_mov_b32_dpp v105, v103 row_shr:2 row_mask:0xf bank_mask:0xf
	s_delay_alu instid0(VALU_DEP_1) | instskip(SKIP_1) | instid1(VALU_DEP_2)
	v_cndmask_b32_e32 v105, 0, v105, vcc_lo
	v_cmp_lt_u32_e32 vcc_lo, 3, v104
	v_add_nc_u32_e32 v103, v103, v105
	s_delay_alu instid0(VALU_DEP_1) | instskip(NEXT) | instid1(VALU_DEP_1)
	v_mov_b32_dpp v105, v103 row_shr:4 row_mask:0xf bank_mask:0xf
	v_cndmask_b32_e32 v104, 0, v105, vcc_lo
	s_delay_alu instid0(VALU_DEP_1)
	v_add_nc_u32_e32 v103, v103, v104
	ds_store_b32 v102, v103
.LBB180_267:
	s_or_b32 exec_lo, exec_lo, s0
	v_mov_b32_e32 v102, 0
	s_mov_b32 s0, exec_lo
	s_waitcnt lgkmcnt(0)
	s_barrier
	buffer_gl0_inv
	v_cmpx_lt_u32_e32 31, v1
	s_cbranch_execz .LBB180_269
; %bb.268:
	v_lshl_add_u32 v101, v101, 2, -4
	ds_load_b32 v102, v101
.LBB180_269:
	s_or_b32 exec_lo, exec_lo, s0
	v_add_nc_u32_e32 v101, -1, v51
	s_mov_b32 s0, 0
	s_mov_b32 s3, exec_lo
	s_waitcnt lgkmcnt(0)
	v_add_nc_u32_e32 v34, v102, v34
	v_cmp_gt_i32_e32 vcc_lo, 0, v101
	v_cndmask_b32_e32 v101, v101, v51, vcc_lo
	v_cmp_eq_u32_e32 vcc_lo, 0, v51
	s_delay_alu instid0(VALU_DEP_2) | instskip(SKIP_4) | instid1(VALU_DEP_2)
	v_lshlrev_b32_e32 v101, 2, v101
	ds_bpermute_b32 v34, v101, v34
	s_waitcnt lgkmcnt(0)
	v_cndmask_b32_e32 v34, v34, v102, vcc_lo
	v_cmp_ne_u32_e32 vcc_lo, 0, v1
	v_cndmask_b32_e32 v34, 0, v34, vcc_lo
	s_delay_alu instid0(VALU_DEP_1) | instskip(NEXT) | instid1(VALU_DEP_1)
	v_add_nc_u32_e32 v8, v34, v8
	v_add_nc_u32_e32 v9, v8, v9
	s_delay_alu instid0(VALU_DEP_1) | instskip(NEXT) | instid1(VALU_DEP_1)
	v_add_nc_u32_e32 v6, v9, v6
	v_add_nc_u32_e32 v7, v6, v7
	;; [unrolled: 3-line block ×4, first 2 shown]
	ds_store_2addr_b32 v33, v34, v8 offset0:8 offset1:9
	ds_store_2addr_b32 v100, v9, v6 offset0:2 offset1:3
	;; [unrolled: 1-line block ×4, first 2 shown]
	ds_store_b32 v100, v3 offset:32
	v_mov_b32_e32 v2, 0x1600
	s_waitcnt lgkmcnt(0)
	s_barrier
	buffer_gl0_inv
	ds_load_b32 v4, v38 offset:32
	ds_load_b32 v5, v41 offset:32
	;; [unrolled: 1-line block ×23, first 2 shown]
	v_add_nc_u32_e32 v33, 1, v1
	s_delay_alu instid0(VALU_DEP_1)
	v_cmpx_ne_u32_e32 0x100, v33
	s_cbranch_execz .LBB180_271
; %bb.270:
	v_mul_u32_u24_e32 v2, 9, v33
	s_delay_alu instid0(VALU_DEP_1)
	v_lshlrev_b32_e32 v2, 2, v2
	ds_load_b32 v2, v2 offset:32
.LBB180_271:
	s_or_b32 exec_lo, exec_lo, s3
	s_waitcnt lgkmcnt(22)
	v_add3_u32 v60, v37, v36, v4
	s_waitcnt lgkmcnt(21)
	v_add3_u32 v57, v40, v39, v5
	v_lshl_add_u32 v4, s15, 8, v1
	v_mov_b32_e32 v5, 0
	s_waitcnt lgkmcnt(20)
	v_add3_u32 v54, v43, v42, v6
	s_waitcnt lgkmcnt(19)
	v_add3_u32 v50, v46, v45, v7
	s_waitcnt lgkmcnt(18)
	v_add3_u32 v49, v49, v48, v8
	s_waitcnt lgkmcnt(17)
	v_add3_u32 v48, v53, v52, v9
	v_lshlrev_b64 v[6:7], 2, v[4:5]
	s_waitcnt lgkmcnt(0)
	v_sub_nc_u32_e32 v52, v2, v3
	v_dual_mov_b32 v0, 0 :: v_dual_add_nc_u32 v63, v35, v0
	v_add3_u32 v47, v56, v55, v34
	v_add3_u32 v46, v59, v58, v38
	v_add_co_u32 v6, vcc_lo, s66, v6
	v_add3_u32 v45, v62, v61, v41
	v_add3_u32 v44, v65, v64, v44
	;; [unrolled: 1-line block ×13, first 2 shown]
	v_add_co_ci_u32_e32 v7, vcc_lo, s67, v7, vcc_lo
	v_or_b32_e32 v2, 2.0, v52
	s_barrier
	buffer_gl0_inv
	ds_store_b8 v63, v18 offset:2048
	ds_store_b8 v60, v19 offset:2048
	;; [unrolled: 1-line block ×22, first 2 shown]
	s_waitcnt lgkmcnt(0)
	s_barrier
	buffer_gl0_inv
	global_store_b32 v[6:7], v2, off
                                        ; implicit-def: $sgpr3
	s_branch .LBB180_274
	.p2align	6
.LBB180_272:                            ;   in Loop: Header=BB180_274 Depth=1
	s_or_b32 exec_lo, exec_lo, s4
.LBB180_273:                            ;   in Loop: Header=BB180_274 Depth=1
	s_delay_alu instid0(SALU_CYCLE_1) | instskip(SKIP_2) | instid1(VALU_DEP_2)
	s_or_b32 exec_lo, exec_lo, s3
	v_and_b32_e32 v4, 0x3fffffff, v4
	v_cmp_eq_u32_e64 s3, 0x80000000, v2
	v_add_nc_u32_e32 v0, v4, v0
	s_delay_alu instid0(VALU_DEP_2) | instskip(NEXT) | instid1(SALU_CYCLE_1)
	s_and_b32 s4, exec_lo, s3
	s_or_b32 s0, s4, s0
	s_delay_alu instid0(SALU_CYCLE_1)
	s_and_not1_b32 exec_lo, exec_lo, s0
	s_cbranch_execz .LBB180_279
.LBB180_274:                            ; =>This Loop Header: Depth=1
                                        ;     Child Loop BB180_277 Depth 2
	s_or_b32 s3, s3, exec_lo
	s_cmp_eq_u32 s63, 0
	s_cbranch_scc1 .LBB180_278
; %bb.275:                              ;   in Loop: Header=BB180_274 Depth=1
	s_add_i32 s63, s63, -1
	s_mov_b32 s3, exec_lo
	v_lshl_add_u32 v4, s63, 8, v1
	s_delay_alu instid0(VALU_DEP_1) | instskip(NEXT) | instid1(VALU_DEP_1)
	v_lshlrev_b64 v[8:9], 2, v[4:5]
	v_add_co_u32 v8, vcc_lo, s66, v8
	s_delay_alu instid0(VALU_DEP_2) | instskip(SKIP_3) | instid1(VALU_DEP_1)
	v_add_co_ci_u32_e32 v9, vcc_lo, s67, v9, vcc_lo
	global_load_b32 v4, v[8:9], off glc
	s_waitcnt vmcnt(0)
	v_and_b32_e32 v2, -2.0, v4
	v_cmpx_eq_u32_e32 0, v2
	s_cbranch_execz .LBB180_273
; %bb.276:                              ;   in Loop: Header=BB180_274 Depth=1
	s_mov_b32 s4, 0
.LBB180_277:                            ;   Parent Loop BB180_274 Depth=1
                                        ; =>  This Inner Loop Header: Depth=2
	global_load_b32 v4, v[8:9], off glc
	s_waitcnt vmcnt(0)
	v_and_b32_e32 v2, -2.0, v4
	s_delay_alu instid0(VALU_DEP_1) | instskip(SKIP_1) | instid1(SALU_CYCLE_1)
	v_cmp_ne_u32_e32 vcc_lo, 0, v2
	s_or_b32 s4, vcc_lo, s4
	s_and_not1_b32 exec_lo, exec_lo, s4
	s_cbranch_execnz .LBB180_277
	s_branch .LBB180_272
.LBB180_278:                            ;   in Loop: Header=BB180_274 Depth=1
                                        ; implicit-def: $sgpr63
	s_and_b32 s4, exec_lo, s3
	s_delay_alu instid0(SALU_CYCLE_1) | instskip(NEXT) | instid1(SALU_CYCLE_1)
	s_or_b32 s0, s4, s0
	s_and_not1_b32 exec_lo, exec_lo, s0
	s_cbranch_execnz .LBB180_274
.LBB180_279:
	s_or_b32 exec_lo, exec_lo, s0
	v_add_nc_u32_e32 v2, v0, v52
	v_lshlrev_b32_e32 v53, 3, v1
	v_lshlrev_b32_e32 v14, 3, v51
	v_sub_co_u32 v11, s0, v0, v3
	s_delay_alu instid0(VALU_DEP_4)
	v_or_b32_e32 v2, 0x80000000, v2
	s_lshl_b64 s[4:5], s[64:65], 3
	v_sub_co_ci_u32_e64 v12, null, 0, 0, s0
	s_add_u32 s0, s52, s4
	global_store_b32 v[6:7], v2, off
	v_mov_b32_e32 v2, 0
	global_load_b64 v[5:6], v53, s[56:57]
	v_lshlrev_b32_e32 v51, 3, v10
	v_lshlrev_b32_e32 v32, 3, v45
	s_addc_u32 s3, s53, s5
	v_add_co_u32 v45, s0, s0, v14
	v_lshlrev_b32_e32 v31, 3, v46
	v_add_co_ci_u32_e64 v46, null, s3, 0, s0
	s_delay_alu instid0(VALU_DEP_3) | instskip(SKIP_1) | instid1(VALU_DEP_3)
	v_add_co_u32 v45, vcc_lo, v45, v51
	v_lshlrev_b32_e32 v22, 3, v63
	v_add_co_ci_u32_e32 v46, vcc_lo, 0, v46, vcc_lo
	v_lshlrev_b32_e32 v23, 3, v60
	v_lshlrev_b32_e32 v24, 3, v57
	;; [unrolled: 1-line block ×7, first 2 shown]
	v_or_b32_e32 v8, 0x1000, v1
	v_dual_mov_b32 v4, v2 :: v_dual_add_nc_u32 v9, 0x1100, v1
	v_add_nc_u32_e32 v13, 0x1200, v1
	v_add_nc_u32_e32 v15, 0x1300, v1
	s_delay_alu instid0(VALU_DEP_4) | instskip(NEXT) | instid1(VALU_DEP_4)
	v_lshlrev_b32_e32 v137, 3, v8
	v_lshlrev_b32_e32 v138, 3, v9
	v_or_b32_e32 v0, 0x1400, v1
	v_add_nc_u32_e32 v7, 0x1500, v1
	v_lshlrev_b32_e32 v44, 3, v44
	v_lshlrev_b32_e32 v43, 3, v43
	v_lshlrev_b32_e32 v42, 3, v42
	v_lshlrev_b32_e32 v41, 3, v41
	v_lshlrev_b32_e32 v40, 3, v40
	v_lshlrev_b32_e32 v39, 3, v39
	v_lshlrev_b32_e32 v38, 3, v38
	v_lshlrev_b32_e32 v37, 3, v37
	v_lshlrev_b32_e32 v36, 3, v36
	v_lshlrev_b32_e32 v35, 3, v35
	v_lshlrev_b32_e32 v34, 3, v34
	v_lshlrev_b32_e32 v132, 3, v33
	v_lshlrev_b32_e32 v139, 3, v13
	v_lshlrev_b32_e32 v140, 3, v15
	v_add_nc_u32_e32 v10, 0x1000, v53
	v_add_nc_u32_e32 v14, 0x1800, v53
	v_or_b32_e32 v16, 0x2000, v53
	v_add_nc_u32_e32 v17, 0x2800, v53
	v_add_nc_u32_e32 v18, 0x3000, v53
	v_add_nc_u32_e32 v19, 0x3800, v53
	v_or_b32_e32 v20, 0x4000, v53
	v_add_nc_u32_e32 v21, 0x4800, v53
	v_add_nc_u32_e32 v30, 0x5000, v53
	v_add_nc_u32_e32 v33, 0x5800, v53
	v_or_b32_e32 v133, 0x6000, v53
	v_add_nc_u32_e32 v134, 0x6800, v53
	v_add_nc_u32_e32 v135, 0x7000, v53
	v_add_nc_u32_e32 v136, 0x7800, v53
	s_add_i32 s2, s2, -1
	s_delay_alu instid0(SALU_CYCLE_1)
	s_cmp_eq_u32 s15, s2
	s_cselect_b32 s2, -1, 0
	s_waitcnt vmcnt(0)
	v_add_co_u32 v5, vcc_lo, v11, v5
	v_add_co_ci_u32_e32 v6, vcc_lo, v12, v6, vcc_lo
	v_add_co_u32 v11, vcc_lo, 0x1000, v45
	v_add_co_ci_u32_e32 v12, vcc_lo, 0, v46, vcc_lo
	ds_store_b64 v53, v[5:6]
	s_waitcnt lgkmcnt(0)
	s_waitcnt_vscnt null, 0x0
	s_barrier
	buffer_gl0_inv
	ds_load_u8 v51, v1 offset:2048
	ds_load_u8 v141, v1 offset:2304
	;; [unrolled: 1-line block ×22, first 2 shown]
	s_clause 0x15
	global_load_b64 v[5:6], v[45:46], off
	global_load_b64 v[47:48], v[45:46], off offset:256
	global_load_b64 v[49:50], v[45:46], off offset:512
	;; [unrolled: 1-line block ×15, first 2 shown]
	global_load_b64 v[78:79], v[11:12], off
	global_load_b64 v[80:81], v[11:12], off offset:256
	global_load_b64 v[82:83], v[11:12], off offset:512
	;; [unrolled: 1-line block ×5, first 2 shown]
	s_waitcnt lgkmcnt(21)
	v_and_b32_e32 v88, 1, v51
	s_waitcnt lgkmcnt(20)
	v_and_b32_e32 v89, 1, v141
	;; [unrolled: 2-line block ×22, first 2 shown]
	v_lshrrev_b32_e32 v88, s60, v88
	v_lshrrev_b32_e32 v89, s60, v89
	;; [unrolled: 1-line block ×22, first 2 shown]
	v_and_b32_e32 v88, s1, v88
	v_and_b32_e32 v89, s1, v89
	;; [unrolled: 1-line block ×22, first 2 shown]
	v_lshlrev_b32_e32 v162, 3, v88
	v_lshlrev_b32_e32 v163, 3, v89
	v_lshlrev_b32_e32 v164, 3, v90
	v_lshlrev_b32_e32 v165, 3, v91
	v_lshlrev_b32_e32 v166, 3, v92
	v_lshlrev_b32_e32 v167, 3, v93
	v_lshlrev_b32_e32 v168, 3, v94
	v_lshlrev_b32_e32 v169, 3, v95
	v_lshlrev_b32_e32 v170, 3, v96
	v_lshlrev_b32_e32 v171, 3, v97
	v_lshlrev_b32_e32 v172, 3, v98
	v_lshlrev_b32_e32 v173, 3, v99
	v_lshlrev_b32_e32 v174, 3, v100
	v_lshlrev_b32_e32 v175, 3, v101
	v_lshlrev_b32_e32 v176, 3, v102
	v_lshlrev_b32_e32 v177, 3, v103
	v_lshlrev_b32_e32 v178, 3, v104
	v_lshlrev_b32_e32 v179, 3, v105
	v_lshlrev_b32_e32 v180, 3, v106
	v_lshlrev_b32_e32 v181, 3, v107
	v_lshlrev_b32_e32 v182, 3, v108
	v_lshlrev_b32_e32 v183, 3, v109
	ds_load_b64 v[88:89], v162
	ds_load_b64 v[90:91], v163
	;; [unrolled: 1-line block ×22, first 2 shown]
	s_waitcnt lgkmcnt(21)
	v_add_co_u32 v88, vcc_lo, s50, v88
	v_add_co_ci_u32_e32 v89, vcc_lo, s51, v89, vcc_lo
	s_waitcnt lgkmcnt(20)
	v_add_co_u32 v90, vcc_lo, s50, v90
	v_add_co_ci_u32_e32 v91, vcc_lo, s51, v91, vcc_lo
	;; [unrolled: 3-line block ×22, first 2 shown]
	v_add_co_u32 v88, vcc_lo, v88, v1
	v_add_co_ci_u32_e32 v89, vcc_lo, 0, v89, vcc_lo
	v_add_co_u32 v90, vcc_lo, v90, v1
	v_add_co_ci_u32_e32 v91, vcc_lo, 0, v91, vcc_lo
	;; [unrolled: 2-line block ×22, first 2 shown]
	s_clause 0x15
	global_store_b8 v[88:89], v51, off
	global_store_b8 v[90:91], v141, off offset:256
	global_store_b8 v[92:93], v142, off offset:512
	;; [unrolled: 1-line block ×15, first 2 shown]
	global_store_b8 v[120:121], v156, off
	global_store_b8 v[8:9], v157, off
	;; [unrolled: 1-line block ×6, first 2 shown]
	s_waitcnt vmcnt(0)
	s_waitcnt_vscnt null, 0x0
	s_barrier
	buffer_gl0_inv
	v_lshlrev_b32_e32 v0, 3, v0
	v_lshlrev_b32_e32 v7, 3, v7
	ds_store_b64 v22, v[5:6] offset:2048
	ds_store_b64 v23, v[47:48] offset:2048
	;; [unrolled: 1-line block ×22, first 2 shown]
	s_waitcnt lgkmcnt(0)
	s_barrier
	buffer_gl0_inv
	ds_load_2addr_stride64_b64 v[22:25], v53 offset0:4 offset1:8
	ds_load_2addr_stride64_b64 v[26:29], v53 offset0:12 offset1:16
	ds_load_b64 v[5:6], v162
	ds_load_b64 v[8:9], v163
	ds_load_b64 v[11:12], v164
	ds_load_b64 v[31:32], v165
	ds_load_2addr_stride64_b64 v[34:37], v53 offset0:20 offset1:24
	ds_load_2addr_stride64_b64 v[38:41], v53 offset0:28 offset1:32
	ds_load_b64 v[50:51], v166
	ds_load_b64 v[70:71], v167
	ds_load_b64 v[72:73], v168
	ds_load_b64 v[74:75], v169
	;; [unrolled: 6-line block ×5, first 2 shown]
	ds_load_b64 v[100:101], v182
	ds_load_b64 v[102:103], v183
	s_waitcnt lgkmcnt(29)
	v_lshlrev_b64 v[5:6], 3, v[5:6]
	s_waitcnt lgkmcnt(28)
	v_lshlrev_b64 v[8:9], 3, v[8:9]
	;; [unrolled: 2-line block ×6, first 2 shown]
	v_add_co_u32 v5, vcc_lo, s54, v5
	v_add_co_ci_u32_e32 v6, vcc_lo, s55, v6, vcc_lo
	v_add_co_u32 v8, vcc_lo, s54, v8
	v_add_co_ci_u32_e32 v9, vcc_lo, s55, v9, vcc_lo
	;; [unrolled: 2-line block ×4, first 2 shown]
	s_waitcnt lgkmcnt(21)
	v_lshlrev_b64 v[72:73], 3, v[72:73]
	v_add_co_u32 v31, vcc_lo, s54, v50
	v_add_co_ci_u32_e32 v32, vcc_lo, s55, v51, vcc_lo
	s_waitcnt lgkmcnt(20)
	v_lshlrev_b64 v[74:75], 3, v[74:75]
	v_add_co_u32 v50, vcc_lo, s54, v70
	v_add_co_ci_u32_e32 v51, vcc_lo, s55, v71, vcc_lo
	;; [unrolled: 4-line block ×14, first 2 shown]
	v_add_co_u32 v94, vcc_lo, s54, v96
	v_add_co_ci_u32_e32 v95, vcc_lo, s55, v97, vcc_lo
	v_add_co_u32 v96, vcc_lo, s54, v98
	v_add_co_ci_u32_e32 v97, vcc_lo, s55, v99, vcc_lo
	;; [unrolled: 2-line block ×20, first 2 shown]
	v_add_co_u32 v86, vcc_lo, v94, v139
	s_waitcnt lgkmcnt(1)
	v_lshlrev_b64 v[100:101], 3, v[100:101]
	v_add_co_ci_u32_e32 v87, vcc_lo, 0, v95, vcc_lo
	s_clause 0x12
	global_store_b64 v[5:6], v[22:23], off
	global_store_b64 v[8:9], v[24:25], off offset:2048
	global_store_b64 v[10:11], v[26:27], off
	global_store_b64 v[12:13], v[28:29], off
	;; [unrolled: 1-line block ×17, first 2 shown]
	ds_load_2addr_stride64_b64 v[8:11], v53 offset0:84 offset1:88
	v_add_co_u32 v5, vcc_lo, v96, v140
	s_waitcnt lgkmcnt(1)
	v_lshlrev_b64 v[12:13], 3, v[102:103]
	v_add_co_ci_u32_e32 v6, vcc_lo, 0, v97, vcc_lo
	v_add_co_u32 v14, vcc_lo, s54, v100
	v_add_co_ci_u32_e32 v15, vcc_lo, s55, v101, vcc_lo
	s_delay_alu instid0(VALU_DEP_4) | instskip(SKIP_1) | instid1(VALU_DEP_4)
	v_add_co_u32 v16, vcc_lo, s54, v12
	v_add_co_ci_u32_e32 v17, vcc_lo, s55, v13, vcc_lo
	v_add_co_u32 v12, vcc_lo, v14, v0
	s_delay_alu instid0(VALU_DEP_4) | instskip(NEXT) | instid1(VALU_DEP_4)
	v_add_co_ci_u32_e32 v13, vcc_lo, 0, v15, vcc_lo
	v_add_co_u32 v14, vcc_lo, v16, v7
	s_delay_alu instid0(VALU_DEP_4)
	v_add_co_ci_u32_e32 v15, vcc_lo, 0, v17, vcc_lo
	global_store_b64 v[5:6], v[68:69], off
	s_waitcnt lgkmcnt(0)
	s_clause 0x1
	global_store_b64 v[12:13], v[8:9], off
	global_store_b64 v[14:15], v[10:11], off
.LBB180_280:
	s_and_b32 vcc_lo, exec_lo, s2
	s_cbranch_vccnz .LBB180_282
; %bb.281:
	s_nop 0
	s_sendmsg sendmsg(MSG_DEALLOC_VGPRS)
	s_endpgm
.LBB180_282:
	ds_load_b64 v[5:6], v53
	v_lshlrev_b64 v[0:1], 3, v[1:2]
	v_add_co_u32 v2, vcc_lo, v3, v52
	v_add_co_ci_u32_e32 v3, vcc_lo, 0, v4, vcc_lo
	s_delay_alu instid0(VALU_DEP_3) | instskip(NEXT) | instid1(VALU_DEP_4)
	v_add_co_u32 v0, vcc_lo, s58, v0
	v_add_co_ci_u32_e32 v1, vcc_lo, s59, v1, vcc_lo
	s_waitcnt lgkmcnt(0)
	v_add_co_u32 v2, vcc_lo, v2, v5
	v_add_co_ci_u32_e32 v3, vcc_lo, v3, v6, vcc_lo
	global_store_b64 v[0:1], v[2:3], off
	s_nop 0
	s_sendmsg sendmsg(MSG_DEALLOC_VGPRS)
	s_endpgm
.LBB180_283:
	global_load_b64 v[5:6], v[49:50], off
	s_or_b32 exec_lo, exec_lo, s47
                                        ; implicit-def: $vgpr7_vgpr8
	s_and_saveexec_b32 s47, s2
	s_cbranch_execz .LBB180_151
.LBB180_284:
	global_load_b64 v[7:8], v[49:50], off offset:256
	s_or_b32 exec_lo, exec_lo, s47
                                        ; implicit-def: $vgpr9_vgpr10
	s_and_saveexec_b32 s2, s3
	s_cbranch_execz .LBB180_152
.LBB180_285:
	global_load_b64 v[9:10], v[49:50], off offset:512
	s_or_b32 exec_lo, exec_lo, s2
                                        ; implicit-def: $vgpr11_vgpr12
	s_and_saveexec_b32 s2, s4
	s_cbranch_execz .LBB180_153
.LBB180_286:
	global_load_b64 v[11:12], v[49:50], off offset:768
	s_or_b32 exec_lo, exec_lo, s2
                                        ; implicit-def: $vgpr13_vgpr14
	s_and_saveexec_b32 s2, s5
	s_cbranch_execz .LBB180_154
.LBB180_287:
	global_load_b64 v[13:14], v[49:50], off offset:1024
	s_or_b32 exec_lo, exec_lo, s2
                                        ; implicit-def: $vgpr15_vgpr16
	s_and_saveexec_b32 s2, s6
	s_cbranch_execz .LBB180_155
.LBB180_288:
	global_load_b64 v[15:16], v[49:50], off offset:1280
	s_or_b32 exec_lo, exec_lo, s2
                                        ; implicit-def: $vgpr17_vgpr18
	s_and_saveexec_b32 s2, s7
	s_cbranch_execz .LBB180_156
.LBB180_289:
	global_load_b64 v[17:18], v[49:50], off offset:1536
	s_or_b32 exec_lo, exec_lo, s2
                                        ; implicit-def: $vgpr19_vgpr20
	s_and_saveexec_b32 s2, s8
	s_cbranch_execz .LBB180_157
.LBB180_290:
	global_load_b64 v[19:20], v[49:50], off offset:1792
	s_or_b32 exec_lo, exec_lo, s2
                                        ; implicit-def: $vgpr21_vgpr22
	s_and_saveexec_b32 s2, s9
	s_cbranch_execz .LBB180_158
.LBB180_291:
	global_load_b64 v[21:22], v[49:50], off offset:2048
	s_or_b32 exec_lo, exec_lo, s2
                                        ; implicit-def: $vgpr23_vgpr24
	s_and_saveexec_b32 s2, s10
	s_cbranch_execz .LBB180_159
.LBB180_292:
	global_load_b64 v[23:24], v[49:50], off offset:2304
	s_or_b32 exec_lo, exec_lo, s2
                                        ; implicit-def: $vgpr25_vgpr26
	s_and_saveexec_b32 s2, s11
	s_cbranch_execz .LBB180_160
.LBB180_293:
	global_load_b64 v[25:26], v[49:50], off offset:2560
	s_or_b32 exec_lo, exec_lo, s2
                                        ; implicit-def: $vgpr27_vgpr28
	s_and_saveexec_b32 s2, s12
	s_cbranch_execz .LBB180_161
.LBB180_294:
	global_load_b64 v[27:28], v[49:50], off offset:2816
	s_or_b32 exec_lo, exec_lo, s2
                                        ; implicit-def: $vgpr29_vgpr30
	s_and_saveexec_b32 s2, s13
	s_cbranch_execz .LBB180_162
.LBB180_295:
	global_load_b64 v[29:30], v[49:50], off offset:3072
	s_or_b32 exec_lo, exec_lo, s2
                                        ; implicit-def: $vgpr31_vgpr32
	s_and_saveexec_b32 s2, s14
	s_cbranch_execz .LBB180_163
.LBB180_296:
	global_load_b64 v[31:32], v[49:50], off offset:3328
	s_or_b32 exec_lo, exec_lo, s2
                                        ; implicit-def: $vgpr33_vgpr34
	s_and_saveexec_b32 s2, s16
	s_cbranch_execz .LBB180_164
.LBB180_297:
	global_load_b64 v[33:34], v[49:50], off offset:3584
	s_or_b32 exec_lo, exec_lo, s2
                                        ; implicit-def: $vgpr35_vgpr36
	s_and_saveexec_b32 s2, s18
	s_cbranch_execz .LBB180_165
.LBB180_298:
	global_load_b64 v[35:36], v[49:50], off offset:3840
	s_or_b32 exec_lo, exec_lo, s2
                                        ; implicit-def: $vgpr37_vgpr38
	s_and_saveexec_b32 s2, s23
	s_cbranch_execz .LBB180_166
.LBB180_299:
	v_add_co_u32 v37, vcc_lo, 0x1000, v49
	v_add_co_ci_u32_e32 v38, vcc_lo, 0, v50, vcc_lo
	global_load_b64 v[37:38], v[37:38], off
	s_or_b32 exec_lo, exec_lo, s2
                                        ; implicit-def: $vgpr39_vgpr40
	s_and_saveexec_b32 s2, s21
	s_cbranch_execz .LBB180_167
.LBB180_300:
	v_add_co_u32 v39, vcc_lo, 0x1000, v49
	v_add_co_ci_u32_e32 v40, vcc_lo, 0, v50, vcc_lo
	global_load_b64 v[39:40], v[39:40], off offset:256
	s_or_b32 exec_lo, exec_lo, s2
                                        ; implicit-def: $vgpr41_vgpr42
	s_and_saveexec_b32 s2, s22
	s_cbranch_execz .LBB180_168
.LBB180_301:
	v_add_co_u32 v41, vcc_lo, 0x1000, v49
	v_add_co_ci_u32_e32 v42, vcc_lo, 0, v50, vcc_lo
	global_load_b64 v[41:42], v[41:42], off offset:512
	s_or_b32 exec_lo, exec_lo, s2
                                        ; implicit-def: $vgpr43_vgpr44
	s_and_saveexec_b32 s2, s19
	s_cbranch_execz .LBB180_169
.LBB180_302:
	v_add_co_u32 v43, vcc_lo, 0x1000, v49
	v_add_co_ci_u32_e32 v44, vcc_lo, 0, v50, vcc_lo
	global_load_b64 v[43:44], v[43:44], off offset:768
	s_or_b32 exec_lo, exec_lo, s2
                                        ; implicit-def: $vgpr45_vgpr46
	s_and_saveexec_b32 s2, s20
	s_cbranch_execz .LBB180_170
.LBB180_303:
	v_add_co_u32 v45, vcc_lo, 0x1000, v49
	v_add_co_ci_u32_e32 v46, vcc_lo, 0, v50, vcc_lo
	global_load_b64 v[45:46], v[45:46], off offset:1024
	s_or_b32 exec_lo, exec_lo, s2
                                        ; implicit-def: $vgpr47_vgpr48
	s_and_saveexec_b32 s2, s17
	s_cbranch_execz .LBB180_171
.LBB180_304:
	v_add_co_u32 v47, vcc_lo, 0x1000, v49
	v_add_co_ci_u32_e32 v48, vcc_lo, 0, v50, vcc_lo
	global_load_b64 v[47:48], v[47:48], off offset:1280
	s_or_b32 exec_lo, exec_lo, s2
                                        ; implicit-def: $vgpr115
	s_and_saveexec_b32 s2, s40
	s_cbranch_execz .LBB180_172
.LBB180_305:
	ds_load_u8 v49, v1 offset:2048
	s_waitcnt lgkmcnt(0)
	v_lshrrev_b32_e32 v49, s60, v49
	s_delay_alu instid0(VALU_DEP_1)
	v_and_b32_e32 v115, s68, v49
	s_or_b32 exec_lo, exec_lo, s2
                                        ; implicit-def: $vgpr114
	s_and_saveexec_b32 s2, s45
	s_cbranch_execz .LBB180_173
.LBB180_306:
	ds_load_u8 v49, v1 offset:2304
	s_waitcnt lgkmcnt(0)
	v_lshrrev_b32_e32 v49, s60, v49
	s_delay_alu instid0(VALU_DEP_1)
	v_and_b32_e32 v114, s68, v49
	s_or_b32 exec_lo, exec_lo, s2
                                        ; implicit-def: $vgpr113
	s_and_saveexec_b32 s2, s46
	s_cbranch_execz .LBB180_174
.LBB180_307:
	ds_load_u8 v49, v1 offset:2560
	s_waitcnt lgkmcnt(0)
	v_lshrrev_b32_e32 v49, s60, v49
	s_delay_alu instid0(VALU_DEP_1)
	v_and_b32_e32 v113, s68, v49
	s_or_b32 exec_lo, exec_lo, s2
                                        ; implicit-def: $vgpr112
	s_and_saveexec_b32 s2, s44
	s_cbranch_execz .LBB180_175
.LBB180_308:
	ds_load_u8 v49, v1 offset:2816
	s_waitcnt lgkmcnt(0)
	v_lshrrev_b32_e32 v49, s60, v49
	s_delay_alu instid0(VALU_DEP_1)
	v_and_b32_e32 v112, s68, v49
	s_or_b32 exec_lo, exec_lo, s2
                                        ; implicit-def: $vgpr111
	s_and_saveexec_b32 s2, s43
	s_cbranch_execz .LBB180_176
.LBB180_309:
	ds_load_u8 v49, v1 offset:3072
	s_waitcnt lgkmcnt(0)
	v_lshrrev_b32_e32 v49, s60, v49
	s_delay_alu instid0(VALU_DEP_1)
	v_and_b32_e32 v111, s68, v49
	s_or_b32 exec_lo, exec_lo, s2
                                        ; implicit-def: $vgpr110
	s_and_saveexec_b32 s2, s42
	s_cbranch_execz .LBB180_177
.LBB180_310:
	ds_load_u8 v49, v1 offset:3328
	s_waitcnt lgkmcnt(0)
	v_lshrrev_b32_e32 v49, s60, v49
	s_delay_alu instid0(VALU_DEP_1)
	v_and_b32_e32 v110, s68, v49
	s_or_b32 exec_lo, exec_lo, s2
                                        ; implicit-def: $vgpr109
	s_and_saveexec_b32 s2, s41
	s_cbranch_execz .LBB180_178
.LBB180_311:
	ds_load_u8 v49, v1 offset:3584
	s_waitcnt lgkmcnt(0)
	v_lshrrev_b32_e32 v49, s60, v49
	s_delay_alu instid0(VALU_DEP_1)
	v_and_b32_e32 v109, s68, v49
	s_or_b32 exec_lo, exec_lo, s2
                                        ; implicit-def: $vgpr108
	s_and_saveexec_b32 s2, s39
	s_cbranch_execz .LBB180_179
.LBB180_312:
	ds_load_u8 v49, v1 offset:3840
	s_waitcnt lgkmcnt(0)
	v_lshrrev_b32_e32 v49, s60, v49
	s_delay_alu instid0(VALU_DEP_1)
	v_and_b32_e32 v108, s68, v49
	s_or_b32 exec_lo, exec_lo, s2
                                        ; implicit-def: $vgpr107
	s_and_saveexec_b32 s2, s38
	s_cbranch_execz .LBB180_180
.LBB180_313:
	ds_load_u8 v49, v1 offset:4096
	s_waitcnt lgkmcnt(0)
	v_lshrrev_b32_e32 v49, s60, v49
	s_delay_alu instid0(VALU_DEP_1)
	v_and_b32_e32 v107, s68, v49
	s_or_b32 exec_lo, exec_lo, s2
                                        ; implicit-def: $vgpr106
	s_and_saveexec_b32 s2, s37
	s_cbranch_execz .LBB180_181
.LBB180_314:
	ds_load_u8 v49, v1 offset:4352
	s_waitcnt lgkmcnt(0)
	v_lshrrev_b32_e32 v49, s60, v49
	s_delay_alu instid0(VALU_DEP_1)
	v_and_b32_e32 v106, s68, v49
	s_or_b32 exec_lo, exec_lo, s2
                                        ; implicit-def: $vgpr105
	s_and_saveexec_b32 s2, s36
	s_cbranch_execz .LBB180_182
.LBB180_315:
	ds_load_u8 v49, v1 offset:4608
	s_waitcnt lgkmcnt(0)
	v_lshrrev_b32_e32 v49, s60, v49
	s_delay_alu instid0(VALU_DEP_1)
	v_and_b32_e32 v105, s68, v49
	s_or_b32 exec_lo, exec_lo, s2
                                        ; implicit-def: $vgpr104
	s_and_saveexec_b32 s2, s35
	s_cbranch_execz .LBB180_183
.LBB180_316:
	ds_load_u8 v49, v1 offset:4864
	s_waitcnt lgkmcnt(0)
	v_lshrrev_b32_e32 v49, s60, v49
	s_delay_alu instid0(VALU_DEP_1)
	v_and_b32_e32 v104, s68, v49
	s_or_b32 exec_lo, exec_lo, s2
                                        ; implicit-def: $vgpr103
	s_and_saveexec_b32 s2, s34
	s_cbranch_execz .LBB180_184
.LBB180_317:
	ds_load_u8 v49, v1 offset:5120
	s_waitcnt lgkmcnt(0)
	v_lshrrev_b32_e32 v49, s60, v49
	s_delay_alu instid0(VALU_DEP_1)
	v_and_b32_e32 v103, s68, v49
	s_or_b32 exec_lo, exec_lo, s2
                                        ; implicit-def: $vgpr102
	s_and_saveexec_b32 s2, s33
	s_cbranch_execz .LBB180_185
.LBB180_318:
	ds_load_u8 v49, v1 offset:5376
	s_waitcnt lgkmcnt(0)
	v_lshrrev_b32_e32 v49, s60, v49
	s_delay_alu instid0(VALU_DEP_1)
	v_and_b32_e32 v102, s68, v49
	s_or_b32 exec_lo, exec_lo, s2
                                        ; implicit-def: $vgpr101
	s_and_saveexec_b32 s2, s31
	s_cbranch_execz .LBB180_186
.LBB180_319:
	ds_load_u8 v49, v1 offset:5632
	s_waitcnt lgkmcnt(0)
	v_lshrrev_b32_e32 v49, s60, v49
	s_delay_alu instid0(VALU_DEP_1)
	v_and_b32_e32 v101, s68, v49
	s_or_b32 exec_lo, exec_lo, s2
                                        ; implicit-def: $vgpr100
	s_and_saveexec_b32 s2, s30
	s_cbranch_execz .LBB180_187
.LBB180_320:
	ds_load_u8 v49, v1 offset:5888
	s_waitcnt lgkmcnt(0)
	v_lshrrev_b32_e32 v49, s60, v49
	s_delay_alu instid0(VALU_DEP_1)
	v_and_b32_e32 v100, s68, v49
	s_or_b32 exec_lo, exec_lo, s2
                                        ; implicit-def: $vgpr99
	s_and_saveexec_b32 s2, s29
	s_cbranch_execz .LBB180_188
.LBB180_321:
	ds_load_u8 v49, v1 offset:6144
	s_waitcnt lgkmcnt(0)
	v_lshrrev_b32_e32 v49, s60, v49
	s_delay_alu instid0(VALU_DEP_1)
	v_and_b32_e32 v99, s68, v49
	s_or_b32 exec_lo, exec_lo, s2
                                        ; implicit-def: $vgpr98
	s_and_saveexec_b32 s2, s28
	s_cbranch_execz .LBB180_189
.LBB180_322:
	ds_load_u8 v49, v1 offset:6400
	s_waitcnt lgkmcnt(0)
	v_lshrrev_b32_e32 v49, s60, v49
	s_delay_alu instid0(VALU_DEP_1)
	v_and_b32_e32 v98, s68, v49
	s_or_b32 exec_lo, exec_lo, s2
                                        ; implicit-def: $vgpr97
	s_and_saveexec_b32 s2, s27
	s_cbranch_execz .LBB180_190
.LBB180_323:
	ds_load_u8 v49, v1 offset:6656
	s_waitcnt lgkmcnt(0)
	v_lshrrev_b32_e32 v49, s60, v49
	s_delay_alu instid0(VALU_DEP_1)
	v_and_b32_e32 v97, s68, v49
	s_or_b32 exec_lo, exec_lo, s2
                                        ; implicit-def: $vgpr96
	s_and_saveexec_b32 s2, s26
	s_cbranch_execz .LBB180_191
.LBB180_324:
	ds_load_u8 v49, v1 offset:6912
	s_waitcnt lgkmcnt(0)
	v_lshrrev_b32_e32 v49, s60, v49
	s_delay_alu instid0(VALU_DEP_1)
	v_and_b32_e32 v96, s68, v49
	s_or_b32 exec_lo, exec_lo, s2
                                        ; implicit-def: $vgpr50
	s_and_saveexec_b32 s2, s25
	s_cbranch_execz .LBB180_192
.LBB180_325:
	ds_load_u8 v49, v1 offset:7168
	s_waitcnt lgkmcnt(0)
	v_lshrrev_b32_e32 v49, s60, v49
	s_delay_alu instid0(VALU_DEP_1)
	v_and_b32_e32 v50, s68, v49
	s_or_b32 exec_lo, exec_lo, s2
                                        ; implicit-def: $vgpr49
	s_and_saveexec_b32 s2, s24
	s_cbranch_execnz .LBB180_193
	s_branch .LBB180_194
.LBB180_326:
	v_lshlrev_b32_e32 v5, 3, v115
	ds_load_b64 v[5:6], v5
	ds_load_b64 v[7:8], v53 offset:2048
	s_waitcnt lgkmcnt(1)
	v_lshlrev_b64 v[5:6], 3, v[5:6]
	s_delay_alu instid0(VALU_DEP_1) | instskip(NEXT) | instid1(VALU_DEP_2)
	v_add_co_u32 v5, vcc_lo, s54, v5
	v_add_co_ci_u32_e32 v6, vcc_lo, s55, v6, vcc_lo
	s_delay_alu instid0(VALU_DEP_2) | instskip(NEXT) | instid1(VALU_DEP_2)
	v_add_co_u32 v5, vcc_lo, v5, v53
	v_add_co_ci_u32_e32 v6, vcc_lo, 0, v6, vcc_lo
	s_waitcnt lgkmcnt(0)
	global_store_b64 v[5:6], v[7:8], off
	s_or_b32 exec_lo, exec_lo, s2
	s_and_saveexec_b32 s2, s45
	s_cbranch_execz .LBB180_196
.LBB180_327:
	v_lshlrev_b32_e32 v5, 3, v114
	v_lshlrev_b32_e32 v9, 3, v1
	ds_load_b64 v[5:6], v5
	ds_load_b64 v[7:8], v9 offset:4096
	s_waitcnt lgkmcnt(1)
	v_lshlrev_b64 v[5:6], 3, v[5:6]
	s_delay_alu instid0(VALU_DEP_1) | instskip(NEXT) | instid1(VALU_DEP_2)
	v_add_co_u32 v5, vcc_lo, s54, v5
	v_add_co_ci_u32_e32 v6, vcc_lo, s55, v6, vcc_lo
	s_delay_alu instid0(VALU_DEP_2) | instskip(NEXT) | instid1(VALU_DEP_2)
	v_add_co_u32 v5, vcc_lo, v5, v9
	v_add_co_ci_u32_e32 v6, vcc_lo, 0, v6, vcc_lo
	s_waitcnt lgkmcnt(0)
	global_store_b64 v[5:6], v[7:8], off offset:2048
	s_or_b32 exec_lo, exec_lo, s2
	s_and_saveexec_b32 s2, s46
	s_cbranch_execz .LBB180_197
.LBB180_328:
	v_lshlrev_b32_e32 v5, 3, v113
	v_lshlrev_b32_e32 v7, 3, v1
	;; [unrolled: 1-line block ×3, first 2 shown]
	ds_load_b64 v[5:6], v5
	ds_load_b64 v[7:8], v7 offset:6144
	s_waitcnt lgkmcnt(1)
	v_lshlrev_b64 v[5:6], 3, v[5:6]
	s_delay_alu instid0(VALU_DEP_1) | instskip(NEXT) | instid1(VALU_DEP_2)
	v_add_co_u32 v5, vcc_lo, s54, v5
	v_add_co_ci_u32_e32 v6, vcc_lo, s55, v6, vcc_lo
	s_delay_alu instid0(VALU_DEP_2) | instskip(NEXT) | instid1(VALU_DEP_2)
	v_add_co_u32 v5, vcc_lo, v5, v9
	v_add_co_ci_u32_e32 v6, vcc_lo, 0, v6, vcc_lo
	s_waitcnt lgkmcnt(0)
	global_store_b64 v[5:6], v[7:8], off
	s_or_b32 exec_lo, exec_lo, s2
	s_and_saveexec_b32 s2, s44
	s_cbranch_execz .LBB180_198
.LBB180_329:
	v_lshlrev_b32_e32 v5, 3, v112
	v_lshlrev_b32_e32 v7, 3, v1
	;; [unrolled: 1-line block ×3, first 2 shown]
	ds_load_b64 v[5:6], v5
	ds_load_b64 v[7:8], v7 offset:8192
	s_waitcnt lgkmcnt(1)
	v_lshlrev_b64 v[5:6], 3, v[5:6]
	s_delay_alu instid0(VALU_DEP_1) | instskip(NEXT) | instid1(VALU_DEP_2)
	v_add_co_u32 v5, vcc_lo, s54, v5
	v_add_co_ci_u32_e32 v6, vcc_lo, s55, v6, vcc_lo
	s_delay_alu instid0(VALU_DEP_2) | instskip(NEXT) | instid1(VALU_DEP_2)
	v_add_co_u32 v5, vcc_lo, v5, v9
	v_add_co_ci_u32_e32 v6, vcc_lo, 0, v6, vcc_lo
	s_waitcnt lgkmcnt(0)
	global_store_b64 v[5:6], v[7:8], off
	s_or_b32 exec_lo, exec_lo, s2
	s_and_saveexec_b32 s2, s43
	s_cbranch_execz .LBB180_199
.LBB180_330:
	v_lshlrev_b32_e32 v5, 3, v111
	v_lshlrev_b32_e32 v7, 3, v1
	;; [unrolled: 1-line block ×3, first 2 shown]
	ds_load_b64 v[5:6], v5
	ds_load_b64 v[7:8], v7 offset:10240
	s_waitcnt lgkmcnt(1)
	v_lshlrev_b64 v[5:6], 3, v[5:6]
	s_delay_alu instid0(VALU_DEP_1) | instskip(NEXT) | instid1(VALU_DEP_2)
	v_add_co_u32 v5, vcc_lo, s54, v5
	v_add_co_ci_u32_e32 v6, vcc_lo, s55, v6, vcc_lo
	s_delay_alu instid0(VALU_DEP_2) | instskip(NEXT) | instid1(VALU_DEP_2)
	v_add_co_u32 v5, vcc_lo, v5, v9
	v_add_co_ci_u32_e32 v6, vcc_lo, 0, v6, vcc_lo
	s_waitcnt lgkmcnt(0)
	global_store_b64 v[5:6], v[7:8], off
	s_or_b32 exec_lo, exec_lo, s2
	s_and_saveexec_b32 s2, s42
	s_cbranch_execz .LBB180_200
.LBB180_331:
	v_lshlrev_b32_e32 v5, 3, v110
	v_lshlrev_b32_e32 v7, 3, v1
	;; [unrolled: 1-line block ×3, first 2 shown]
	ds_load_b64 v[5:6], v5
	ds_load_b64 v[7:8], v7 offset:12288
	s_waitcnt lgkmcnt(1)
	v_lshlrev_b64 v[5:6], 3, v[5:6]
	s_delay_alu instid0(VALU_DEP_1) | instskip(NEXT) | instid1(VALU_DEP_2)
	v_add_co_u32 v5, vcc_lo, s54, v5
	v_add_co_ci_u32_e32 v6, vcc_lo, s55, v6, vcc_lo
	s_delay_alu instid0(VALU_DEP_2) | instskip(NEXT) | instid1(VALU_DEP_2)
	v_add_co_u32 v5, vcc_lo, v5, v9
	v_add_co_ci_u32_e32 v6, vcc_lo, 0, v6, vcc_lo
	s_waitcnt lgkmcnt(0)
	global_store_b64 v[5:6], v[7:8], off
	s_or_b32 exec_lo, exec_lo, s2
	s_and_saveexec_b32 s2, s41
	s_cbranch_execz .LBB180_201
.LBB180_332:
	v_lshlrev_b32_e32 v5, 3, v109
	v_lshlrev_b32_e32 v7, 3, v1
	;; [unrolled: 1-line block ×3, first 2 shown]
	ds_load_b64 v[5:6], v5
	ds_load_b64 v[7:8], v7 offset:14336
	s_waitcnt lgkmcnt(1)
	v_lshlrev_b64 v[5:6], 3, v[5:6]
	s_delay_alu instid0(VALU_DEP_1) | instskip(NEXT) | instid1(VALU_DEP_2)
	v_add_co_u32 v5, vcc_lo, s54, v5
	v_add_co_ci_u32_e32 v6, vcc_lo, s55, v6, vcc_lo
	s_delay_alu instid0(VALU_DEP_2) | instskip(NEXT) | instid1(VALU_DEP_2)
	v_add_co_u32 v5, vcc_lo, v5, v9
	v_add_co_ci_u32_e32 v6, vcc_lo, 0, v6, vcc_lo
	s_waitcnt lgkmcnt(0)
	global_store_b64 v[5:6], v[7:8], off
	s_or_b32 exec_lo, exec_lo, s2
	s_and_saveexec_b32 s2, s39
	s_cbranch_execz .LBB180_202
.LBB180_333:
	v_lshlrev_b32_e32 v5, 3, v108
	v_lshlrev_b32_e32 v7, 3, v1
	;; [unrolled: 1-line block ×3, first 2 shown]
	ds_load_b64 v[5:6], v5
	ds_load_b64 v[7:8], v7 offset:16384
	s_waitcnt lgkmcnt(1)
	v_lshlrev_b64 v[5:6], 3, v[5:6]
	s_delay_alu instid0(VALU_DEP_1) | instskip(NEXT) | instid1(VALU_DEP_2)
	v_add_co_u32 v5, vcc_lo, s54, v5
	v_add_co_ci_u32_e32 v6, vcc_lo, s55, v6, vcc_lo
	s_delay_alu instid0(VALU_DEP_2) | instskip(NEXT) | instid1(VALU_DEP_2)
	v_add_co_u32 v5, vcc_lo, v5, v9
	v_add_co_ci_u32_e32 v6, vcc_lo, 0, v6, vcc_lo
	s_waitcnt lgkmcnt(0)
	global_store_b64 v[5:6], v[7:8], off
	s_or_b32 exec_lo, exec_lo, s2
	s_and_saveexec_b32 s2, s38
	s_cbranch_execz .LBB180_203
.LBB180_334:
	v_lshlrev_b32_e32 v5, 3, v107
	v_lshlrev_b32_e32 v7, 3, v1
	;; [unrolled: 1-line block ×3, first 2 shown]
	ds_load_b64 v[5:6], v5
	ds_load_b64 v[7:8], v7 offset:18432
	s_waitcnt lgkmcnt(1)
	v_lshlrev_b64 v[5:6], 3, v[5:6]
	s_delay_alu instid0(VALU_DEP_1) | instskip(NEXT) | instid1(VALU_DEP_2)
	v_add_co_u32 v5, vcc_lo, s54, v5
	v_add_co_ci_u32_e32 v6, vcc_lo, s55, v6, vcc_lo
	s_delay_alu instid0(VALU_DEP_2) | instskip(NEXT) | instid1(VALU_DEP_2)
	v_add_co_u32 v5, vcc_lo, v5, v9
	v_add_co_ci_u32_e32 v6, vcc_lo, 0, v6, vcc_lo
	s_waitcnt lgkmcnt(0)
	global_store_b64 v[5:6], v[7:8], off
	s_or_b32 exec_lo, exec_lo, s2
	s_and_saveexec_b32 s2, s37
	s_cbranch_execz .LBB180_204
.LBB180_335:
	v_lshlrev_b32_e32 v5, 3, v106
	v_lshlrev_b32_e32 v7, 3, v1
	;; [unrolled: 1-line block ×3, first 2 shown]
	ds_load_b64 v[5:6], v5
	ds_load_b64 v[7:8], v7 offset:20480
	s_waitcnt lgkmcnt(1)
	v_lshlrev_b64 v[5:6], 3, v[5:6]
	s_delay_alu instid0(VALU_DEP_1) | instskip(NEXT) | instid1(VALU_DEP_2)
	v_add_co_u32 v5, vcc_lo, s54, v5
	v_add_co_ci_u32_e32 v6, vcc_lo, s55, v6, vcc_lo
	s_delay_alu instid0(VALU_DEP_2) | instskip(NEXT) | instid1(VALU_DEP_2)
	v_add_co_u32 v5, vcc_lo, v5, v9
	v_add_co_ci_u32_e32 v6, vcc_lo, 0, v6, vcc_lo
	s_waitcnt lgkmcnt(0)
	global_store_b64 v[5:6], v[7:8], off
	s_or_b32 exec_lo, exec_lo, s2
	s_and_saveexec_b32 s2, s36
	s_cbranch_execz .LBB180_205
.LBB180_336:
	v_lshlrev_b32_e32 v5, 3, v105
	v_lshlrev_b32_e32 v7, 3, v1
	;; [unrolled: 1-line block ×3, first 2 shown]
	ds_load_b64 v[5:6], v5
	ds_load_b64 v[7:8], v7 offset:22528
	s_waitcnt lgkmcnt(1)
	v_lshlrev_b64 v[5:6], 3, v[5:6]
	s_delay_alu instid0(VALU_DEP_1) | instskip(NEXT) | instid1(VALU_DEP_2)
	v_add_co_u32 v5, vcc_lo, s54, v5
	v_add_co_ci_u32_e32 v6, vcc_lo, s55, v6, vcc_lo
	s_delay_alu instid0(VALU_DEP_2) | instskip(NEXT) | instid1(VALU_DEP_2)
	v_add_co_u32 v5, vcc_lo, v5, v9
	v_add_co_ci_u32_e32 v6, vcc_lo, 0, v6, vcc_lo
	s_waitcnt lgkmcnt(0)
	global_store_b64 v[5:6], v[7:8], off
	s_or_b32 exec_lo, exec_lo, s2
	s_and_saveexec_b32 s2, s35
	s_cbranch_execz .LBB180_206
.LBB180_337:
	v_lshlrev_b32_e32 v5, 3, v104
	v_lshlrev_b32_e32 v7, 3, v1
	;; [unrolled: 1-line block ×3, first 2 shown]
	ds_load_b64 v[5:6], v5
	ds_load_b64 v[7:8], v7 offset:24576
	s_waitcnt lgkmcnt(1)
	v_lshlrev_b64 v[5:6], 3, v[5:6]
	s_delay_alu instid0(VALU_DEP_1) | instskip(NEXT) | instid1(VALU_DEP_2)
	v_add_co_u32 v5, vcc_lo, s54, v5
	v_add_co_ci_u32_e32 v6, vcc_lo, s55, v6, vcc_lo
	s_delay_alu instid0(VALU_DEP_2) | instskip(NEXT) | instid1(VALU_DEP_2)
	v_add_co_u32 v5, vcc_lo, v5, v9
	v_add_co_ci_u32_e32 v6, vcc_lo, 0, v6, vcc_lo
	s_waitcnt lgkmcnt(0)
	global_store_b64 v[5:6], v[7:8], off
	s_or_b32 exec_lo, exec_lo, s2
	s_and_saveexec_b32 s2, s34
	s_cbranch_execz .LBB180_207
.LBB180_338:
	v_lshlrev_b32_e32 v5, 3, v103
	v_lshlrev_b32_e32 v7, 3, v1
	;; [unrolled: 1-line block ×3, first 2 shown]
	ds_load_b64 v[5:6], v5
	ds_load_b64 v[7:8], v7 offset:26624
	s_waitcnt lgkmcnt(1)
	v_lshlrev_b64 v[5:6], 3, v[5:6]
	s_delay_alu instid0(VALU_DEP_1) | instskip(NEXT) | instid1(VALU_DEP_2)
	v_add_co_u32 v5, vcc_lo, s54, v5
	v_add_co_ci_u32_e32 v6, vcc_lo, s55, v6, vcc_lo
	s_delay_alu instid0(VALU_DEP_2) | instskip(NEXT) | instid1(VALU_DEP_2)
	v_add_co_u32 v5, vcc_lo, v5, v9
	v_add_co_ci_u32_e32 v6, vcc_lo, 0, v6, vcc_lo
	s_waitcnt lgkmcnt(0)
	global_store_b64 v[5:6], v[7:8], off
	s_or_b32 exec_lo, exec_lo, s2
	s_and_saveexec_b32 s2, s33
	s_cbranch_execz .LBB180_208
.LBB180_339:
	v_lshlrev_b32_e32 v5, 3, v102
	v_lshlrev_b32_e32 v7, 3, v1
	;; [unrolled: 1-line block ×3, first 2 shown]
	ds_load_b64 v[5:6], v5
	ds_load_b64 v[7:8], v7 offset:28672
	s_waitcnt lgkmcnt(1)
	v_lshlrev_b64 v[5:6], 3, v[5:6]
	s_delay_alu instid0(VALU_DEP_1) | instskip(NEXT) | instid1(VALU_DEP_2)
	v_add_co_u32 v5, vcc_lo, s54, v5
	v_add_co_ci_u32_e32 v6, vcc_lo, s55, v6, vcc_lo
	s_delay_alu instid0(VALU_DEP_2) | instskip(NEXT) | instid1(VALU_DEP_2)
	v_add_co_u32 v5, vcc_lo, v5, v9
	v_add_co_ci_u32_e32 v6, vcc_lo, 0, v6, vcc_lo
	s_waitcnt lgkmcnt(0)
	global_store_b64 v[5:6], v[7:8], off
	s_or_b32 exec_lo, exec_lo, s2
	s_and_saveexec_b32 s2, s31
	s_cbranch_execz .LBB180_209
.LBB180_340:
	v_lshlrev_b32_e32 v5, 3, v101
	v_lshlrev_b32_e32 v7, 3, v1
	;; [unrolled: 1-line block ×3, first 2 shown]
	ds_load_b64 v[5:6], v5
	ds_load_b64 v[7:8], v7 offset:30720
	s_waitcnt lgkmcnt(1)
	v_lshlrev_b64 v[5:6], 3, v[5:6]
	s_delay_alu instid0(VALU_DEP_1) | instskip(NEXT) | instid1(VALU_DEP_2)
	v_add_co_u32 v5, vcc_lo, s54, v5
	v_add_co_ci_u32_e32 v6, vcc_lo, s55, v6, vcc_lo
	s_delay_alu instid0(VALU_DEP_2) | instskip(NEXT) | instid1(VALU_DEP_2)
	v_add_co_u32 v5, vcc_lo, v5, v9
	v_add_co_ci_u32_e32 v6, vcc_lo, 0, v6, vcc_lo
	s_waitcnt lgkmcnt(0)
	global_store_b64 v[5:6], v[7:8], off
	s_or_b32 exec_lo, exec_lo, s2
	s_and_saveexec_b32 s2, s30
	s_cbranch_execz .LBB180_210
.LBB180_341:
	v_lshlrev_b32_e32 v5, 3, v100
	v_lshlrev_b32_e32 v7, 3, v1
	;; [unrolled: 1-line block ×3, first 2 shown]
	ds_load_b64 v[5:6], v5
	ds_load_b64 v[7:8], v7 offset:32768
	s_waitcnt lgkmcnt(1)
	v_lshlrev_b64 v[5:6], 3, v[5:6]
	s_delay_alu instid0(VALU_DEP_1) | instskip(NEXT) | instid1(VALU_DEP_2)
	v_add_co_u32 v5, vcc_lo, s54, v5
	v_add_co_ci_u32_e32 v6, vcc_lo, s55, v6, vcc_lo
	s_delay_alu instid0(VALU_DEP_2) | instskip(NEXT) | instid1(VALU_DEP_2)
	v_add_co_u32 v5, vcc_lo, v5, v9
	v_add_co_ci_u32_e32 v6, vcc_lo, 0, v6, vcc_lo
	s_waitcnt lgkmcnt(0)
	global_store_b64 v[5:6], v[7:8], off
	s_or_b32 exec_lo, exec_lo, s2
	s_and_saveexec_b32 s2, s29
	s_cbranch_execz .LBB180_211
.LBB180_342:
	v_lshlrev_b32_e32 v5, 3, v99
	v_lshlrev_b32_e32 v7, 3, v1
	;; [unrolled: 1-line block ×3, first 2 shown]
	ds_load_b64 v[5:6], v5
	ds_load_b64 v[7:8], v7 offset:34816
	s_waitcnt lgkmcnt(1)
	v_lshlrev_b64 v[5:6], 3, v[5:6]
	s_delay_alu instid0(VALU_DEP_1) | instskip(NEXT) | instid1(VALU_DEP_2)
	v_add_co_u32 v5, vcc_lo, s54, v5
	v_add_co_ci_u32_e32 v6, vcc_lo, s55, v6, vcc_lo
	s_delay_alu instid0(VALU_DEP_2) | instskip(NEXT) | instid1(VALU_DEP_2)
	v_add_co_u32 v5, vcc_lo, v5, v9
	v_add_co_ci_u32_e32 v6, vcc_lo, 0, v6, vcc_lo
	s_waitcnt lgkmcnt(0)
	global_store_b64 v[5:6], v[7:8], off
	s_or_b32 exec_lo, exec_lo, s2
	s_and_saveexec_b32 s2, s28
	s_cbranch_execz .LBB180_212
.LBB180_343:
	v_lshlrev_b32_e32 v5, 3, v98
	v_lshlrev_b32_e32 v7, 3, v1
	;; [unrolled: 1-line block ×3, first 2 shown]
	ds_load_b64 v[5:6], v5
	ds_load_b64 v[7:8], v7 offset:36864
	s_waitcnt lgkmcnt(1)
	v_lshlrev_b64 v[5:6], 3, v[5:6]
	s_delay_alu instid0(VALU_DEP_1) | instskip(NEXT) | instid1(VALU_DEP_2)
	v_add_co_u32 v5, vcc_lo, s54, v5
	v_add_co_ci_u32_e32 v6, vcc_lo, s55, v6, vcc_lo
	s_delay_alu instid0(VALU_DEP_2) | instskip(NEXT) | instid1(VALU_DEP_2)
	v_add_co_u32 v5, vcc_lo, v5, v9
	v_add_co_ci_u32_e32 v6, vcc_lo, 0, v6, vcc_lo
	s_waitcnt lgkmcnt(0)
	global_store_b64 v[5:6], v[7:8], off
	s_or_b32 exec_lo, exec_lo, s2
	s_and_saveexec_b32 s2, s27
	s_cbranch_execz .LBB180_213
.LBB180_344:
	v_lshlrev_b32_e32 v5, 3, v97
	v_lshlrev_b32_e32 v7, 3, v1
	;; [unrolled: 1-line block ×3, first 2 shown]
	ds_load_b64 v[5:6], v5
	ds_load_b64 v[7:8], v7 offset:38912
	s_waitcnt lgkmcnt(1)
	v_lshlrev_b64 v[5:6], 3, v[5:6]
	s_delay_alu instid0(VALU_DEP_1) | instskip(NEXT) | instid1(VALU_DEP_2)
	v_add_co_u32 v5, vcc_lo, s54, v5
	v_add_co_ci_u32_e32 v6, vcc_lo, s55, v6, vcc_lo
	s_delay_alu instid0(VALU_DEP_2) | instskip(NEXT) | instid1(VALU_DEP_2)
	v_add_co_u32 v5, vcc_lo, v5, v9
	v_add_co_ci_u32_e32 v6, vcc_lo, 0, v6, vcc_lo
	s_waitcnt lgkmcnt(0)
	global_store_b64 v[5:6], v[7:8], off
	s_or_b32 exec_lo, exec_lo, s2
	s_and_saveexec_b32 s2, s26
	s_cbranch_execz .LBB180_214
.LBB180_345:
	v_lshlrev_b32_e32 v5, 3, v96
	v_lshlrev_b32_e32 v7, 3, v1
	;; [unrolled: 1-line block ×3, first 2 shown]
	ds_load_b64 v[5:6], v5
	ds_load_b64 v[7:8], v7 offset:40960
	s_waitcnt lgkmcnt(1)
	v_lshlrev_b64 v[5:6], 3, v[5:6]
	s_delay_alu instid0(VALU_DEP_1) | instskip(NEXT) | instid1(VALU_DEP_2)
	v_add_co_u32 v5, vcc_lo, s54, v5
	v_add_co_ci_u32_e32 v6, vcc_lo, s55, v6, vcc_lo
	s_delay_alu instid0(VALU_DEP_2) | instskip(NEXT) | instid1(VALU_DEP_2)
	v_add_co_u32 v5, vcc_lo, v5, v9
	v_add_co_ci_u32_e32 v6, vcc_lo, 0, v6, vcc_lo
	s_waitcnt lgkmcnt(0)
	global_store_b64 v[5:6], v[7:8], off
	s_or_b32 exec_lo, exec_lo, s2
	s_and_saveexec_b32 s2, s25
	s_cbranch_execz .LBB180_215
.LBB180_346:
	v_lshlrev_b32_e32 v5, 3, v50
	v_lshlrev_b32_e32 v7, 3, v1
	;; [unrolled: 1-line block ×3, first 2 shown]
	ds_load_b64 v[5:6], v5
	ds_load_b64 v[7:8], v7 offset:43008
	s_waitcnt lgkmcnt(1)
	v_lshlrev_b64 v[5:6], 3, v[5:6]
	s_delay_alu instid0(VALU_DEP_1) | instskip(NEXT) | instid1(VALU_DEP_2)
	v_add_co_u32 v5, vcc_lo, s54, v5
	v_add_co_ci_u32_e32 v6, vcc_lo, s55, v6, vcc_lo
	s_delay_alu instid0(VALU_DEP_2) | instskip(NEXT) | instid1(VALU_DEP_2)
	v_add_co_u32 v5, vcc_lo, v5, v9
	v_add_co_ci_u32_e32 v6, vcc_lo, 0, v6, vcc_lo
	s_waitcnt lgkmcnt(0)
	global_store_b64 v[5:6], v[7:8], off
	s_or_b32 exec_lo, exec_lo, s2
	s_and_saveexec_b32 s2, s24
	s_cbranch_execnz .LBB180_216
	s_branch .LBB180_217
	.section	.rodata,"a",@progbits
	.p2align	6, 0x0
	.amdhsa_kernel _ZN7rocprim17ROCPRIM_304000_NS6detail25onesweep_iteration_kernelINS1_34wrapped_radix_sort_onesweep_configINS0_14default_configEbN2at4cuda3cub6detail10OpaqueTypeILi8EEEEELb0EPKbPbPKSA_PSA_mNS0_19identity_decomposerEEEvT1_T2_T3_T4_jPT5_SO_PNS1_23onesweep_lookback_stateET6_jjj
		.amdhsa_group_segment_fixed_size 47104
		.amdhsa_private_segment_fixed_size 0
		.amdhsa_kernarg_size 336
		.amdhsa_user_sgpr_count 15
		.amdhsa_user_sgpr_dispatch_ptr 0
		.amdhsa_user_sgpr_queue_ptr 0
		.amdhsa_user_sgpr_kernarg_segment_ptr 1
		.amdhsa_user_sgpr_dispatch_id 0
		.amdhsa_user_sgpr_private_segment_size 0
		.amdhsa_wavefront_size32 1
		.amdhsa_uses_dynamic_stack 0
		.amdhsa_enable_private_segment 0
		.amdhsa_system_sgpr_workgroup_id_x 1
		.amdhsa_system_sgpr_workgroup_id_y 0
		.amdhsa_system_sgpr_workgroup_id_z 0
		.amdhsa_system_sgpr_workgroup_info 0
		.amdhsa_system_vgpr_workitem_id 2
		.amdhsa_next_free_vgpr 184
		.amdhsa_next_free_sgpr 72
		.amdhsa_reserve_vcc 1
		.amdhsa_float_round_mode_32 0
		.amdhsa_float_round_mode_16_64 0
		.amdhsa_float_denorm_mode_32 3
		.amdhsa_float_denorm_mode_16_64 3
		.amdhsa_dx10_clamp 1
		.amdhsa_ieee_mode 1
		.amdhsa_fp16_overflow 0
		.amdhsa_workgroup_processor_mode 1
		.amdhsa_memory_ordered 1
		.amdhsa_forward_progress 0
		.amdhsa_shared_vgpr_count 0
		.amdhsa_exception_fp_ieee_invalid_op 0
		.amdhsa_exception_fp_denorm_src 0
		.amdhsa_exception_fp_ieee_div_zero 0
		.amdhsa_exception_fp_ieee_overflow 0
		.amdhsa_exception_fp_ieee_underflow 0
		.amdhsa_exception_fp_ieee_inexact 0
		.amdhsa_exception_int_div_zero 0
	.end_amdhsa_kernel
	.section	.text._ZN7rocprim17ROCPRIM_304000_NS6detail25onesweep_iteration_kernelINS1_34wrapped_radix_sort_onesweep_configINS0_14default_configEbN2at4cuda3cub6detail10OpaqueTypeILi8EEEEELb0EPKbPbPKSA_PSA_mNS0_19identity_decomposerEEEvT1_T2_T3_T4_jPT5_SO_PNS1_23onesweep_lookback_stateET6_jjj,"axG",@progbits,_ZN7rocprim17ROCPRIM_304000_NS6detail25onesweep_iteration_kernelINS1_34wrapped_radix_sort_onesweep_configINS0_14default_configEbN2at4cuda3cub6detail10OpaqueTypeILi8EEEEELb0EPKbPbPKSA_PSA_mNS0_19identity_decomposerEEEvT1_T2_T3_T4_jPT5_SO_PNS1_23onesweep_lookback_stateET6_jjj,comdat
.Lfunc_end180:
	.size	_ZN7rocprim17ROCPRIM_304000_NS6detail25onesweep_iteration_kernelINS1_34wrapped_radix_sort_onesweep_configINS0_14default_configEbN2at4cuda3cub6detail10OpaqueTypeILi8EEEEELb0EPKbPbPKSA_PSA_mNS0_19identity_decomposerEEEvT1_T2_T3_T4_jPT5_SO_PNS1_23onesweep_lookback_stateET6_jjj, .Lfunc_end180-_ZN7rocprim17ROCPRIM_304000_NS6detail25onesweep_iteration_kernelINS1_34wrapped_radix_sort_onesweep_configINS0_14default_configEbN2at4cuda3cub6detail10OpaqueTypeILi8EEEEELb0EPKbPbPKSA_PSA_mNS0_19identity_decomposerEEEvT1_T2_T3_T4_jPT5_SO_PNS1_23onesweep_lookback_stateET6_jjj
                                        ; -- End function
	.section	.AMDGPU.csdata,"",@progbits
; Kernel info:
; codeLenInByte = 22600
; NumSgprs: 74
; NumVgprs: 184
; ScratchSize: 0
; MemoryBound: 0
; FloatMode: 240
; IeeeMode: 1
; LDSByteSize: 47104 bytes/workgroup (compile time only)
; SGPRBlocks: 9
; VGPRBlocks: 22
; NumSGPRsForWavesPerEU: 74
; NumVGPRsForWavesPerEU: 184
; Occupancy: 4
; WaveLimiterHint : 1
; COMPUTE_PGM_RSRC2:SCRATCH_EN: 0
; COMPUTE_PGM_RSRC2:USER_SGPR: 15
; COMPUTE_PGM_RSRC2:TRAP_HANDLER: 0
; COMPUTE_PGM_RSRC2:TGID_X_EN: 1
; COMPUTE_PGM_RSRC2:TGID_Y_EN: 0
; COMPUTE_PGM_RSRC2:TGID_Z_EN: 0
; COMPUTE_PGM_RSRC2:TIDIG_COMP_CNT: 2
	.section	.text._ZN7rocprim17ROCPRIM_304000_NS6detail25onesweep_iteration_kernelINS1_34wrapped_radix_sort_onesweep_configINS0_14default_configEbN2at4cuda3cub6detail10OpaqueTypeILi8EEEEELb0EPbSC_PSA_SD_mNS0_19identity_decomposerEEEvT1_T2_T3_T4_jPT5_SK_PNS1_23onesweep_lookback_stateET6_jjj,"axG",@progbits,_ZN7rocprim17ROCPRIM_304000_NS6detail25onesweep_iteration_kernelINS1_34wrapped_radix_sort_onesweep_configINS0_14default_configEbN2at4cuda3cub6detail10OpaqueTypeILi8EEEEELb0EPbSC_PSA_SD_mNS0_19identity_decomposerEEEvT1_T2_T3_T4_jPT5_SK_PNS1_23onesweep_lookback_stateET6_jjj,comdat
	.protected	_ZN7rocprim17ROCPRIM_304000_NS6detail25onesweep_iteration_kernelINS1_34wrapped_radix_sort_onesweep_configINS0_14default_configEbN2at4cuda3cub6detail10OpaqueTypeILi8EEEEELb0EPbSC_PSA_SD_mNS0_19identity_decomposerEEEvT1_T2_T3_T4_jPT5_SK_PNS1_23onesweep_lookback_stateET6_jjj ; -- Begin function _ZN7rocprim17ROCPRIM_304000_NS6detail25onesweep_iteration_kernelINS1_34wrapped_radix_sort_onesweep_configINS0_14default_configEbN2at4cuda3cub6detail10OpaqueTypeILi8EEEEELb0EPbSC_PSA_SD_mNS0_19identity_decomposerEEEvT1_T2_T3_T4_jPT5_SK_PNS1_23onesweep_lookback_stateET6_jjj
	.globl	_ZN7rocprim17ROCPRIM_304000_NS6detail25onesweep_iteration_kernelINS1_34wrapped_radix_sort_onesweep_configINS0_14default_configEbN2at4cuda3cub6detail10OpaqueTypeILi8EEEEELb0EPbSC_PSA_SD_mNS0_19identity_decomposerEEEvT1_T2_T3_T4_jPT5_SK_PNS1_23onesweep_lookback_stateET6_jjj
	.p2align	8
	.type	_ZN7rocprim17ROCPRIM_304000_NS6detail25onesweep_iteration_kernelINS1_34wrapped_radix_sort_onesweep_configINS0_14default_configEbN2at4cuda3cub6detail10OpaqueTypeILi8EEEEELb0EPbSC_PSA_SD_mNS0_19identity_decomposerEEEvT1_T2_T3_T4_jPT5_SK_PNS1_23onesweep_lookback_stateET6_jjj,@function
_ZN7rocprim17ROCPRIM_304000_NS6detail25onesweep_iteration_kernelINS1_34wrapped_radix_sort_onesweep_configINS0_14default_configEbN2at4cuda3cub6detail10OpaqueTypeILi8EEEEELb0EPbSC_PSA_SD_mNS0_19identity_decomposerEEEvT1_T2_T3_T4_jPT5_SK_PNS1_23onesweep_lookback_stateET6_jjj: ; @_ZN7rocprim17ROCPRIM_304000_NS6detail25onesweep_iteration_kernelINS1_34wrapped_radix_sort_onesweep_configINS0_14default_configEbN2at4cuda3cub6detail10OpaqueTypeILi8EEEEELb0EPbSC_PSA_SD_mNS0_19identity_decomposerEEEvT1_T2_T3_T4_jPT5_SK_PNS1_23onesweep_lookback_stateET6_jjj
; %bb.0:
	s_clause 0x3
	s_load_b128 s[60:63], s[0:1], 0x44
	s_load_b256 s[48:55], s[0:1], 0x0
	s_load_b128 s[56:59], s[0:1], 0x28
	s_load_b64 s[66:67], s[0:1], 0x38
	v_and_b32_e32 v1, 0x3ff, v0
	v_mbcnt_lo_u32_b32 v51, -1, 0
	s_waitcnt lgkmcnt(0)
	s_mov_b32 s63, s15
	s_mul_i32 s64, s15, 0x1600
	s_cmp_ge_u32 s15, s62
	s_cbranch_scc0 .LBB181_218
; %bb.1:
	s_load_b32 s2, s[0:1], 0x20
	v_dual_mov_b32 v12, 1 :: v_dual_and_b32 v21, 0xe0, v1
	s_mul_i32 s47, s62, 0xffffea00
	v_mov_b32_e32 v11, 1
	s_mov_b32 s65, 0
	s_delay_alu instid0(VALU_DEP_2) | instskip(NEXT) | instid1(VALU_DEP_1)
	v_mul_u32_u24_e32 v10, 22, v21
	v_or_b32_e32 v4, v51, v10
	s_waitcnt lgkmcnt(0)
	s_add_i32 s47, s47, s2
	s_add_u32 s2, s48, s64
	s_addc_u32 s3, s49, 0
	v_add_co_u32 v2, s2, s2, v51
	s_delay_alu instid0(VALU_DEP_1) | instskip(SKIP_1) | instid1(VALU_DEP_3)
	v_add_co_ci_u32_e64 v3, null, s3, 0, s2
	v_cmp_gt_u32_e32 vcc_lo, s47, v4
	v_add_co_u32 v2, s2, v2, v10
	s_delay_alu instid0(VALU_DEP_1)
	v_add_co_ci_u32_e64 v3, s2, 0, v3, s2
	s_and_saveexec_b32 s2, vcc_lo
	s_cbranch_execz .LBB181_3
; %bb.2:
	global_load_u8 v12, v[2:3], off
.LBB181_3:
	s_or_b32 exec_lo, exec_lo, s2
	v_add_nc_u32_e32 v5, 32, v4
	s_delay_alu instid0(VALU_DEP_1) | instskip(NEXT) | instid1(VALU_DEP_1)
	v_cmp_gt_u32_e64 s2, s47, v5
	s_and_saveexec_b32 s3, s2
	s_cbranch_execz .LBB181_5
; %bb.4:
	global_load_u8 v11, v[2:3], off offset:32
.LBB181_5:
	s_or_b32 exec_lo, exec_lo, s3
	v_dual_mov_b32 v14, 1 :: v_dual_add_nc_u32 v5, 64, v4
	v_mov_b32_e32 v13, 1
	s_delay_alu instid0(VALU_DEP_2) | instskip(NEXT) | instid1(VALU_DEP_1)
	v_cmp_gt_u32_e64 s3, s47, v5
	s_and_saveexec_b32 s4, s3
	s_cbranch_execz .LBB181_7
; %bb.6:
	global_load_u8 v14, v[2:3], off offset:64
.LBB181_7:
	s_or_b32 exec_lo, exec_lo, s4
	v_add_nc_u32_e32 v5, 0x60, v4
	s_delay_alu instid0(VALU_DEP_1) | instskip(NEXT) | instid1(VALU_DEP_1)
	v_cmp_gt_u32_e64 s4, s47, v5
	s_and_saveexec_b32 s5, s4
	s_cbranch_execz .LBB181_9
; %bb.8:
	global_load_u8 v13, v[2:3], off offset:96
.LBB181_9:
	s_or_b32 exec_lo, exec_lo, s5
	v_dual_mov_b32 v16, 1 :: v_dual_add_nc_u32 v5, 0x80, v4
	v_mov_b32_e32 v15, 1
	s_delay_alu instid0(VALU_DEP_2) | instskip(NEXT) | instid1(VALU_DEP_1)
	v_cmp_gt_u32_e64 s5, s47, v5
	s_and_saveexec_b32 s6, s5
	s_cbranch_execz .LBB181_11
; %bb.10:
	global_load_u8 v16, v[2:3], off offset:128
.LBB181_11:
	;; [unrolled: 19-line block ×10, first 2 shown]
	s_or_b32 exec_lo, exec_lo, s17
	v_add_nc_u32_e32 v4, 0x2a0, v4
	s_delay_alu instid0(VALU_DEP_1) | instskip(NEXT) | instid1(VALU_DEP_1)
	v_cmp_gt_u32_e64 s17, s47, v4
	s_and_saveexec_b32 s24, s17
	s_cbranch_execz .LBB181_45
; %bb.44:
	global_load_u8 v32, v[2:3], off offset:672
.LBB181_45:
	s_or_b32 exec_lo, exec_lo, s24
	s_clause 0x1
	s_load_b32 s24, s[0:1], 0x5c
	s_load_b32 s62, s[0:1], 0x50
	s_add_u32 s25, s0, 0x50
	s_addc_u32 s26, s1, 0
	v_mov_b32_e32 v4, 0
	s_waitcnt vmcnt(0)
	v_and_b32_e32 v2, 0xff, v12
	v_bfe_u32 v7, v0, 10, 10
	v_bfe_u32 v8, v0, 20, 10
	s_delay_alu instid0(VALU_DEP_3)
	v_lshrrev_b32_e32 v2, s60, v2
	s_waitcnt lgkmcnt(0)
	s_lshr_b32 s27, s24, 16
	s_cmp_lt_u32 s15, s62
	v_mad_u32_u24 v7, v8, s27, v7
	s_cselect_b32 s24, 12, 18
	s_delay_alu instid0(SALU_CYCLE_1) | instskip(SKIP_3) | instid1(SALU_CYCLE_1)
	s_add_u32 s24, s25, s24
	s_addc_u32 s25, s26, 0
	global_load_u16 v5, v4, s[24:25]
	s_lshl_b32 s24, -1, s61
	s_not_b32 s68, s24
	s_delay_alu instid0(SALU_CYCLE_1) | instskip(NEXT) | instid1(VALU_DEP_1)
	v_and_b32_e32 v6, s68, v2
	v_add_co_u32 v2, s24, v6, -1
	s_delay_alu instid0(VALU_DEP_1) | instskip(NEXT) | instid1(VALU_DEP_1)
	v_cndmask_b32_e64 v3, 0, 1, s24
	v_cmp_ne_u32_e64 s24, 0, v3
	v_mul_u32_u24_e32 v3, 9, v1
	s_delay_alu instid0(VALU_DEP_2) | instskip(NEXT) | instid1(VALU_DEP_2)
	v_xor_b32_e32 v8, s24, v2
	v_lshlrev_b32_e32 v35, 2, v3
	ds_store_2addr_b32 v35, v4, v4 offset0:8 offset1:9
	ds_store_2addr_b32 v35, v4, v4 offset0:10 offset1:11
	;; [unrolled: 1-line block ×4, first 2 shown]
	ds_store_b32 v35, v4 offset:64
	v_mul_u32_u24_e32 v4, 9, v6
	s_waitcnt vmcnt(0) lgkmcnt(0)
	s_barrier
	buffer_gl0_inv
	; wave barrier
	v_mad_u64_u32 v[2:3], null, v7, v5, v[1:2]
	v_and_b32_e32 v3, exec_lo, v8
	s_delay_alu instid0(VALU_DEP_1) | instskip(NEXT) | instid1(VALU_DEP_3)
	v_mbcnt_lo_u32_b32 v34, v3, 0
	v_lshrrev_b32_e32 v2, 5, v2
	v_cmp_ne_u32_e64 s25, 0, v3
	s_delay_alu instid0(VALU_DEP_3) | instskip(NEXT) | instid1(VALU_DEP_3)
	v_cmp_eq_u32_e64 s24, 0, v34
	v_add_lshl_u32 v36, v2, v4, 2
	s_delay_alu instid0(VALU_DEP_2) | instskip(NEXT) | instid1(SALU_CYCLE_1)
	s_and_b32 s25, s25, s24
	s_and_saveexec_b32 s24, s25
	s_cbranch_execz .LBB181_47
; %bb.46:
	v_bcnt_u32_b32 v3, v3, 0
	ds_store_b32 v36, v3 offset:32
.LBB181_47:
	s_or_b32 exec_lo, exec_lo, s24
	v_and_b32_e32 v3, 0xff, v11
	; wave barrier
	s_delay_alu instid0(VALU_DEP_1) | instskip(NEXT) | instid1(VALU_DEP_1)
	v_lshrrev_b32_e32 v3, s60, v3
	v_and_b32_e32 v3, s68, v3
	s_delay_alu instid0(VALU_DEP_1) | instskip(NEXT) | instid1(VALU_DEP_1)
	v_add_co_u32 v4, s24, v3, -1
	v_cndmask_b32_e64 v5, 0, 1, s24
	v_mul_u32_u24_e32 v3, 9, v3
	s_delay_alu instid0(VALU_DEP_2) | instskip(NEXT) | instid1(VALU_DEP_2)
	v_cmp_ne_u32_e64 s24, 0, v5
	v_add_lshl_u32 v39, v2, v3, 2
	s_delay_alu instid0(VALU_DEP_2) | instskip(SKIP_2) | instid1(VALU_DEP_1)
	v_xor_b32_e32 v3, s24, v4
	ds_load_b32 v37, v39 offset:32
	; wave barrier
	v_and_b32_e32 v3, exec_lo, v3
	v_mbcnt_lo_u32_b32 v38, v3, 0
	v_cmp_ne_u32_e64 s25, 0, v3
	s_delay_alu instid0(VALU_DEP_2) | instskip(NEXT) | instid1(VALU_DEP_1)
	v_cmp_eq_u32_e64 s24, 0, v38
	s_and_b32 s25, s25, s24
	s_delay_alu instid0(SALU_CYCLE_1)
	s_and_saveexec_b32 s24, s25
	s_cbranch_execz .LBB181_49
; %bb.48:
	s_waitcnt lgkmcnt(0)
	v_bcnt_u32_b32 v3, v3, v37
	ds_store_b32 v39, v3 offset:32
.LBB181_49:
	s_or_b32 exec_lo, exec_lo, s24
	v_and_b32_e32 v3, 0xff, v14
	; wave barrier
	s_delay_alu instid0(VALU_DEP_1) | instskip(NEXT) | instid1(VALU_DEP_1)
	v_lshrrev_b32_e32 v3, s60, v3
	v_and_b32_e32 v3, s68, v3
	s_delay_alu instid0(VALU_DEP_1) | instskip(NEXT) | instid1(VALU_DEP_1)
	v_add_co_u32 v4, s24, v3, -1
	v_cndmask_b32_e64 v5, 0, 1, s24
	v_mul_u32_u24_e32 v3, 9, v3
	s_delay_alu instid0(VALU_DEP_2) | instskip(NEXT) | instid1(VALU_DEP_2)
	v_cmp_ne_u32_e64 s24, 0, v5
	v_add_lshl_u32 v42, v2, v3, 2
	s_delay_alu instid0(VALU_DEP_2) | instskip(SKIP_2) | instid1(VALU_DEP_1)
	v_xor_b32_e32 v3, s24, v4
	ds_load_b32 v40, v42 offset:32
	; wave barrier
	v_and_b32_e32 v3, exec_lo, v3
	v_mbcnt_lo_u32_b32 v41, v3, 0
	v_cmp_ne_u32_e64 s25, 0, v3
	s_delay_alu instid0(VALU_DEP_2) | instskip(NEXT) | instid1(VALU_DEP_1)
	v_cmp_eq_u32_e64 s24, 0, v41
	s_and_b32 s25, s25, s24
	s_delay_alu instid0(SALU_CYCLE_1)
	s_and_saveexec_b32 s24, s25
	s_cbranch_execz .LBB181_51
; %bb.50:
	s_waitcnt lgkmcnt(0)
	v_bcnt_u32_b32 v3, v3, v40
	ds_store_b32 v42, v3 offset:32
.LBB181_51:
	;; [unrolled: 31-line block ×20, first 2 shown]
	s_or_b32 exec_lo, exec_lo, s24
	v_and_b32_e32 v3, 0xff, v32
	; wave barrier
	v_add_nc_u32_e32 v101, 32, v35
	s_delay_alu instid0(VALU_DEP_2) | instskip(NEXT) | instid1(VALU_DEP_1)
	v_lshrrev_b32_e32 v3, s60, v3
	v_and_b32_e32 v3, s68, v3
	s_delay_alu instid0(VALU_DEP_1) | instskip(NEXT) | instid1(VALU_DEP_1)
	v_add_co_u32 v4, s24, v3, -1
	v_cndmask_b32_e64 v5, 0, 1, s24
	v_mul_u32_u24_e32 v3, 9, v3
	s_delay_alu instid0(VALU_DEP_2) | instskip(NEXT) | instid1(VALU_DEP_2)
	v_cmp_ne_u32_e64 s24, 0, v5
	v_add_lshl_u32 v100, v2, v3, 2
	s_delay_alu instid0(VALU_DEP_2) | instskip(SKIP_2) | instid1(VALU_DEP_1)
	v_xor_b32_e32 v2, s24, v4
	ds_load_b32 v98, v100 offset:32
	; wave barrier
	v_and_b32_e32 v2, exec_lo, v2
	v_mbcnt_lo_u32_b32 v99, v2, 0
	v_cmp_ne_u32_e64 s25, 0, v2
	s_delay_alu instid0(VALU_DEP_2) | instskip(NEXT) | instid1(VALU_DEP_1)
	v_cmp_eq_u32_e64 s24, 0, v99
	s_and_b32 s25, s25, s24
	s_delay_alu instid0(SALU_CYCLE_1)
	s_and_saveexec_b32 s24, s25
	s_cbranch_execz .LBB181_89
; %bb.88:
	s_waitcnt lgkmcnt(0)
	v_bcnt_u32_b32 v2, v2, v98
	ds_store_b32 v100, v2 offset:32
.LBB181_89:
	s_or_b32 exec_lo, exec_lo, s24
	; wave barrier
	s_waitcnt lgkmcnt(0)
	s_barrier
	buffer_gl0_inv
	ds_load_2addr_b32 v[8:9], v35 offset0:8 offset1:9
	ds_load_2addr_b32 v[6:7], v101 offset0:2 offset1:3
	;; [unrolled: 1-line block ×4, first 2 shown]
	ds_load_b32 v102, v101 offset:32
	v_min_u32_e32 v21, 0xe0, v21
	s_mov_b32 s25, exec_lo
	s_delay_alu instid0(VALU_DEP_1) | instskip(SKIP_3) | instid1(VALU_DEP_1)
	v_or_b32_e32 v105, 31, v21
	s_waitcnt lgkmcnt(3)
	v_add3_u32 v103, v9, v8, v6
	s_waitcnt lgkmcnt(2)
	v_add3_u32 v103, v103, v7, v4
	s_waitcnt lgkmcnt(1)
	s_delay_alu instid0(VALU_DEP_1) | instskip(SKIP_1) | instid1(VALU_DEP_1)
	v_add3_u32 v103, v103, v5, v2
	s_waitcnt lgkmcnt(0)
	v_add3_u32 v102, v103, v3, v102
	v_and_b32_e32 v103, 15, v51
	s_delay_alu instid0(VALU_DEP_2) | instskip(NEXT) | instid1(VALU_DEP_2)
	v_mov_b32_dpp v104, v102 row_shr:1 row_mask:0xf bank_mask:0xf
	v_cmp_ne_u32_e64 s24, 0, v103
	s_delay_alu instid0(VALU_DEP_1) | instskip(SKIP_1) | instid1(VALU_DEP_2)
	v_cndmask_b32_e64 v104, 0, v104, s24
	v_cmp_lt_u32_e64 s24, 1, v103
	v_add_nc_u32_e32 v102, v104, v102
	s_delay_alu instid0(VALU_DEP_1) | instskip(NEXT) | instid1(VALU_DEP_1)
	v_mov_b32_dpp v104, v102 row_shr:2 row_mask:0xf bank_mask:0xf
	v_cndmask_b32_e64 v104, 0, v104, s24
	v_cmp_lt_u32_e64 s24, 3, v103
	s_delay_alu instid0(VALU_DEP_2) | instskip(NEXT) | instid1(VALU_DEP_1)
	v_add_nc_u32_e32 v102, v102, v104
	v_mov_b32_dpp v104, v102 row_shr:4 row_mask:0xf bank_mask:0xf
	s_delay_alu instid0(VALU_DEP_1) | instskip(SKIP_1) | instid1(VALU_DEP_2)
	v_cndmask_b32_e64 v104, 0, v104, s24
	v_cmp_lt_u32_e64 s24, 7, v103
	v_add_nc_u32_e32 v102, v102, v104
	s_delay_alu instid0(VALU_DEP_1) | instskip(NEXT) | instid1(VALU_DEP_1)
	v_mov_b32_dpp v104, v102 row_shr:8 row_mask:0xf bank_mask:0xf
	v_cndmask_b32_e64 v103, 0, v104, s24
	v_bfe_i32 v104, v51, 4, 1
	s_delay_alu instid0(VALU_DEP_2) | instskip(SKIP_4) | instid1(VALU_DEP_2)
	v_add_nc_u32_e32 v103, v102, v103
	ds_swizzle_b32 v102, v103 offset:swizzle(BROADCAST,32,15)
	s_waitcnt lgkmcnt(0)
	v_and_b32_e32 v104, v104, v102
	v_lshrrev_b32_e32 v102, 5, v1
	v_add_nc_u32_e32 v21, v103, v104
	v_cmpx_eq_u32_e64 v105, v1
	s_cbranch_execz .LBB181_91
; %bb.90:
	s_delay_alu instid0(VALU_DEP_3)
	v_lshlrev_b32_e32 v103, 2, v102
	ds_store_b32 v103, v21
.LBB181_91:
	s_or_b32 exec_lo, exec_lo, s25
	s_delay_alu instid0(SALU_CYCLE_1)
	s_mov_b32 s25, exec_lo
	s_waitcnt lgkmcnt(0)
	s_barrier
	buffer_gl0_inv
	v_cmpx_gt_u32_e32 8, v1
	s_cbranch_execz .LBB181_93
; %bb.92:
	v_lshlrev_b32_e32 v103, 2, v1
	v_and_b32_e32 v105, 7, v51
	ds_load_b32 v104, v103
	v_cmp_ne_u32_e64 s24, 0, v105
	s_waitcnt lgkmcnt(0)
	v_mov_b32_dpp v106, v104 row_shr:1 row_mask:0xf bank_mask:0xf
	s_delay_alu instid0(VALU_DEP_1) | instskip(SKIP_1) | instid1(VALU_DEP_2)
	v_cndmask_b32_e64 v106, 0, v106, s24
	v_cmp_lt_u32_e64 s24, 1, v105
	v_add_nc_u32_e32 v104, v106, v104
	s_delay_alu instid0(VALU_DEP_1) | instskip(NEXT) | instid1(VALU_DEP_1)
	v_mov_b32_dpp v106, v104 row_shr:2 row_mask:0xf bank_mask:0xf
	v_cndmask_b32_e64 v106, 0, v106, s24
	v_cmp_lt_u32_e64 s24, 3, v105
	s_delay_alu instid0(VALU_DEP_2) | instskip(NEXT) | instid1(VALU_DEP_1)
	v_add_nc_u32_e32 v104, v104, v106
	v_mov_b32_dpp v106, v104 row_shr:4 row_mask:0xf bank_mask:0xf
	s_delay_alu instid0(VALU_DEP_1) | instskip(NEXT) | instid1(VALU_DEP_1)
	v_cndmask_b32_e64 v105, 0, v106, s24
	v_add_nc_u32_e32 v104, v104, v105
	ds_store_b32 v103, v104
.LBB181_93:
	s_or_b32 exec_lo, exec_lo, s25
	v_mov_b32_e32 v103, 0
	s_mov_b32 s25, exec_lo
	s_waitcnt lgkmcnt(0)
	s_barrier
	buffer_gl0_inv
	v_cmpx_lt_u32_e32 31, v1
	s_cbranch_execz .LBB181_95
; %bb.94:
	v_lshl_add_u32 v102, v102, 2, -4
	ds_load_b32 v103, v102
.LBB181_95:
	s_or_b32 exec_lo, exec_lo, s25
	v_add_nc_u32_e32 v102, -1, v51
	s_waitcnt lgkmcnt(0)
	v_add_nc_u32_e32 v21, v103, v21
	s_mov_b32 s25, 0
	s_mov_b32 s26, exec_lo
	v_cmp_gt_i32_e64 s24, 0, v102
	s_delay_alu instid0(VALU_DEP_1) | instskip(SKIP_1) | instid1(VALU_DEP_2)
	v_cndmask_b32_e64 v102, v102, v51, s24
	v_cmp_eq_u32_e64 s24, 0, v51
	v_lshlrev_b32_e32 v102, 2, v102
	ds_bpermute_b32 v21, v102, v21
	s_waitcnt lgkmcnt(0)
	v_cndmask_b32_e64 v21, v21, v103, s24
	v_cmp_ne_u32_e64 s24, 0, v1
	s_delay_alu instid0(VALU_DEP_1) | instskip(NEXT) | instid1(VALU_DEP_1)
	v_cndmask_b32_e64 v21, 0, v21, s24
	v_add_nc_u32_e32 v8, v21, v8
	s_delay_alu instid0(VALU_DEP_1) | instskip(NEXT) | instid1(VALU_DEP_1)
	v_add_nc_u32_e32 v9, v8, v9
	v_add_nc_u32_e32 v6, v9, v6
	s_delay_alu instid0(VALU_DEP_1) | instskip(NEXT) | instid1(VALU_DEP_1)
	v_add_nc_u32_e32 v7, v6, v7
	;; [unrolled: 3-line block ×3, first 2 shown]
	v_add_nc_u32_e32 v2, v5, v2
	s_delay_alu instid0(VALU_DEP_1)
	v_add_nc_u32_e32 v3, v2, v3
	ds_store_2addr_b32 v35, v21, v8 offset0:8 offset1:9
	ds_store_2addr_b32 v101, v9, v6 offset0:2 offset1:3
	;; [unrolled: 1-line block ×4, first 2 shown]
	ds_store_b32 v101, v3 offset:32
	v_mov_b32_e32 v2, 0x1600
	s_waitcnt lgkmcnt(0)
	s_barrier
	buffer_gl0_inv
	ds_load_b32 v4, v39 offset:32
	ds_load_b32 v5, v42 offset:32
	;; [unrolled: 1-line block ×23, first 2 shown]
	v_add_nc_u32_e32 v35, 1, v1
	s_delay_alu instid0(VALU_DEP_1)
	v_cmpx_ne_u32_e32 0x100, v35
	s_cbranch_execz .LBB181_97
; %bb.96:
	v_mul_u32_u24_e32 v2, 9, v35
	s_delay_alu instid0(VALU_DEP_1)
	v_lshlrev_b32_e32 v2, 2, v2
	ds_load_b32 v2, v2 offset:32
.LBB181_97:
	s_or_b32 exec_lo, exec_lo, s26
	s_waitcnt lgkmcnt(22)
	v_add3_u32 v74, v38, v37, v4
	s_waitcnt lgkmcnt(21)
	v_add3_u32 v73, v41, v40, v5
	v_lshl_add_u32 v4, s15, 8, v1
	v_mov_b32_e32 v5, 0
	s_waitcnt lgkmcnt(20)
	v_add3_u32 v72, v44, v43, v6
	s_waitcnt lgkmcnt(19)
	v_add3_u32 v71, v47, v46, v7
	;; [unrolled: 2-line block ×4, first 2 shown]
	v_lshlrev_b64 v[6:7], 2, v[4:5]
	s_waitcnt lgkmcnt(0)
	v_sub_nc_u32_e32 v52, v2, v3
	v_dual_mov_b32 v2, 0 :: v_dual_add_nc_u32 v75, v36, v34
	v_add3_u32 v70, v50, v49, v8
	v_add3_u32 v69, v54, v53, v9
	v_add_co_u32 v6, s24, s66, v6
	v_add3_u32 v68, v57, v56, v21
	v_add3_u32 v67, v60, v59, v39
	;; [unrolled: 1-line block ×13, first 2 shown]
	v_add_co_ci_u32_e64 v7, s24, s67, v7, s24
	v_or_b32_e32 v4, 2.0, v52
	s_mov_b32 s26, s63
	s_barrier
	buffer_gl0_inv
	ds_store_b8 v75, v12 offset:2048
	ds_store_b8 v74, v11 offset:2048
	;; [unrolled: 1-line block ×22, first 2 shown]
	s_waitcnt lgkmcnt(0)
	s_barrier
	buffer_gl0_inv
	global_store_b32 v[6:7], v4, off
                                        ; implicit-def: $sgpr24
	s_branch .LBB181_99
	.p2align	6
.LBB181_98:                             ;   in Loop: Header=BB181_99 Depth=1
	s_or_b32 exec_lo, exec_lo, s27
	v_and_b32_e32 v8, 0x3fffffff, v11
	v_cmp_eq_u32_e64 s24, 0x80000000, v4
	s_delay_alu instid0(VALU_DEP_2) | instskip(NEXT) | instid1(VALU_DEP_2)
	v_add_nc_u32_e32 v2, v8, v2
	s_and_b32 s27, exec_lo, s24
	s_delay_alu instid0(SALU_CYCLE_1) | instskip(NEXT) | instid1(SALU_CYCLE_1)
	s_or_b32 s25, s27, s25
	s_and_not1_b32 exec_lo, exec_lo, s25
	s_cbranch_execz .LBB181_105
.LBB181_99:                             ; =>This Loop Header: Depth=1
                                        ;     Child Loop BB181_102 Depth 2
	s_or_b32 s24, s24, exec_lo
	s_cmp_eq_u32 s26, 0
	s_cbranch_scc1 .LBB181_104
; %bb.100:                              ;   in Loop: Header=BB181_99 Depth=1
	s_add_i32 s26, s26, -1
	s_mov_b32 s27, exec_lo
	v_lshl_add_u32 v4, s26, 8, v1
	s_delay_alu instid0(VALU_DEP_1) | instskip(NEXT) | instid1(VALU_DEP_1)
	v_lshlrev_b64 v[8:9], 2, v[4:5]
	v_add_co_u32 v8, s24, s66, v8
	s_delay_alu instid0(VALU_DEP_1) | instskip(SKIP_3) | instid1(VALU_DEP_1)
	v_add_co_ci_u32_e64 v9, s24, s67, v9, s24
	global_load_b32 v11, v[8:9], off glc
	s_waitcnt vmcnt(0)
	v_and_b32_e32 v4, -2.0, v11
	v_cmpx_eq_u32_e32 0, v4
	s_cbranch_execz .LBB181_98
; %bb.101:                              ;   in Loop: Header=BB181_99 Depth=1
	s_mov_b32 s28, 0
.LBB181_102:                            ;   Parent Loop BB181_99 Depth=1
                                        ; =>  This Inner Loop Header: Depth=2
	global_load_b32 v11, v[8:9], off glc
	s_waitcnt vmcnt(0)
	v_and_b32_e32 v4, -2.0, v11
	s_delay_alu instid0(VALU_DEP_1) | instskip(NEXT) | instid1(VALU_DEP_1)
	v_cmp_ne_u32_e64 s24, 0, v4
	s_or_b32 s28, s24, s28
	s_delay_alu instid0(SALU_CYCLE_1)
	s_and_not1_b32 exec_lo, exec_lo, s28
	s_cbranch_execnz .LBB181_102
; %bb.103:                              ;   in Loop: Header=BB181_99 Depth=1
	s_or_b32 exec_lo, exec_lo, s28
	s_branch .LBB181_98
.LBB181_104:                            ;   in Loop: Header=BB181_99 Depth=1
                                        ; implicit-def: $sgpr26
	s_and_b32 s27, exec_lo, s24
	s_delay_alu instid0(SALU_CYCLE_1) | instskip(NEXT) | instid1(SALU_CYCLE_1)
	s_or_b32 s25, s27, s25
	s_and_not1_b32 exec_lo, exec_lo, s25
	s_cbranch_execnz .LBB181_99
.LBB181_105:
	s_or_b32 exec_lo, exec_lo, s25
	v_add_nc_u32_e32 v4, v2, v52
	v_lshlrev_b32_e32 v53, 3, v1
	v_cmp_gt_u32_e64 s40, s47, v1
	s_delay_alu instid0(VALU_DEP_3)
	v_or_b32_e32 v4, 0x80000000, v4
	global_store_b32 v[6:7], v4, off
	v_sub_co_u32 v6, s24, v2, v3
	v_mov_b32_e32 v2, 0
	global_load_b64 v[4:5], v53, s[56:57]
	v_sub_co_ci_u32_e64 v7, null, 0, 0, s24
	s_waitcnt vmcnt(0)
	v_add_co_u32 v6, s24, v6, v4
	s_delay_alu instid0(VALU_DEP_1)
	v_add_co_ci_u32_e64 v7, s24, v7, v5, s24
	v_mov_b32_e32 v4, v2
	ds_store_b64 v53, v[6:7]
	s_waitcnt lgkmcnt(0)
	s_waitcnt_vscnt null, 0x0
	s_barrier
	buffer_gl0_inv
	s_and_saveexec_b32 s25, s40
	s_cbranch_execz .LBB181_107
; %bb.106:
	ds_load_u8 v7, v1 offset:2048
	s_waitcnt lgkmcnt(0)
	v_and_b32_e32 v5, 1, v7
	s_delay_alu instid0(VALU_DEP_1) | instskip(NEXT) | instid1(VALU_DEP_1)
	v_lshrrev_b32_e32 v5, s60, v5
	v_and_b32_e32 v5, s68, v5
	s_delay_alu instid0(VALU_DEP_1) | instskip(SKIP_3) | instid1(VALU_DEP_1)
	v_lshlrev_b32_e32 v5, 3, v5
	ds_load_b64 v[5:6], v5
	s_waitcnt lgkmcnt(0)
	v_add_co_u32 v5, s24, s50, v5
	v_add_co_ci_u32_e64 v6, s24, s51, v6, s24
	s_delay_alu instid0(VALU_DEP_2) | instskip(NEXT) | instid1(VALU_DEP_1)
	v_add_co_u32 v5, s24, v5, v1
	v_add_co_ci_u32_e64 v6, s24, 0, v6, s24
	global_store_b8 v[5:6], v7, off
.LBB181_107:
	s_or_b32 exec_lo, exec_lo, s25
	v_add_nc_u32_e32 v5, 0x100, v1
	s_delay_alu instid0(VALU_DEP_1) | instskip(NEXT) | instid1(VALU_DEP_1)
	v_cmp_gt_u32_e64 s45, s47, v5
	s_and_saveexec_b32 s25, s45
	s_cbranch_execz .LBB181_109
; %bb.108:
	ds_load_u8 v7, v1 offset:2304
	s_waitcnt lgkmcnt(0)
	v_and_b32_e32 v5, 1, v7
	s_delay_alu instid0(VALU_DEP_1) | instskip(NEXT) | instid1(VALU_DEP_1)
	v_lshrrev_b32_e32 v5, s60, v5
	v_and_b32_e32 v5, s68, v5
	s_delay_alu instid0(VALU_DEP_1) | instskip(SKIP_3) | instid1(VALU_DEP_1)
	v_lshlrev_b32_e32 v5, 3, v5
	ds_load_b64 v[5:6], v5
	s_waitcnt lgkmcnt(0)
	v_add_co_u32 v5, s24, s50, v5
	v_add_co_ci_u32_e64 v6, s24, s51, v6, s24
	s_delay_alu instid0(VALU_DEP_2) | instskip(NEXT) | instid1(VALU_DEP_1)
	v_add_co_u32 v5, s24, v5, v1
	v_add_co_ci_u32_e64 v6, s24, 0, v6, s24
	global_store_b8 v[5:6], v7, off offset:256
.LBB181_109:
	s_or_b32 exec_lo, exec_lo, s25
	v_add_nc_u32_e32 v95, 0x200, v1
	s_delay_alu instid0(VALU_DEP_1) | instskip(NEXT) | instid1(VALU_DEP_1)
	v_cmp_gt_u32_e64 s46, s47, v95
	s_and_saveexec_b32 s25, s46
	s_cbranch_execz .LBB181_111
; %bb.110:
	ds_load_u8 v7, v1 offset:2560
	s_waitcnt lgkmcnt(0)
	v_and_b32_e32 v5, 1, v7
	s_delay_alu instid0(VALU_DEP_1) | instskip(NEXT) | instid1(VALU_DEP_1)
	v_lshrrev_b32_e32 v5, s60, v5
	v_and_b32_e32 v5, s68, v5
	s_delay_alu instid0(VALU_DEP_1) | instskip(SKIP_3) | instid1(VALU_DEP_1)
	v_lshlrev_b32_e32 v5, 3, v5
	ds_load_b64 v[5:6], v5
	s_waitcnt lgkmcnt(0)
	v_add_co_u32 v5, s24, s50, v5
	v_add_co_ci_u32_e64 v6, s24, s51, v6, s24
	s_delay_alu instid0(VALU_DEP_2) | instskip(NEXT) | instid1(VALU_DEP_1)
	v_add_co_u32 v5, s24, v5, v1
	v_add_co_ci_u32_e64 v6, s24, 0, v6, s24
	global_store_b8 v[5:6], v7, off offset:512
.LBB181_111:
	;; [unrolled: 24-line block ×3, first 2 shown]
	s_or_b32 exec_lo, exec_lo, s25
	v_or_b32_e32 v93, 0x400, v1
	s_delay_alu instid0(VALU_DEP_1) | instskip(NEXT) | instid1(VALU_DEP_1)
	v_cmp_gt_u32_e64 s43, s47, v93
	s_and_saveexec_b32 s25, s43
	s_cbranch_execz .LBB181_115
; %bb.114:
	ds_load_u8 v7, v1 offset:3072
	s_waitcnt lgkmcnt(0)
	v_and_b32_e32 v5, 1, v7
	s_delay_alu instid0(VALU_DEP_1) | instskip(NEXT) | instid1(VALU_DEP_1)
	v_lshrrev_b32_e32 v5, s60, v5
	v_and_b32_e32 v5, s68, v5
	s_delay_alu instid0(VALU_DEP_1) | instskip(SKIP_3) | instid1(VALU_DEP_1)
	v_lshlrev_b32_e32 v5, 3, v5
	ds_load_b64 v[5:6], v5
	s_waitcnt lgkmcnt(0)
	v_add_co_u32 v5, s24, s50, v5
	v_add_co_ci_u32_e64 v6, s24, s51, v6, s24
	s_delay_alu instid0(VALU_DEP_2) | instskip(NEXT) | instid1(VALU_DEP_1)
	v_add_co_u32 v5, s24, v5, v1
	v_add_co_ci_u32_e64 v6, s24, 0, v6, s24
	global_store_b8 v[5:6], v7, off offset:1024
.LBB181_115:
	s_or_b32 exec_lo, exec_lo, s25
	v_add_nc_u32_e32 v92, 0x500, v1
	s_delay_alu instid0(VALU_DEP_1) | instskip(NEXT) | instid1(VALU_DEP_1)
	v_cmp_gt_u32_e64 s42, s47, v92
	s_and_saveexec_b32 s25, s42
	s_cbranch_execz .LBB181_117
; %bb.116:
	ds_load_u8 v7, v1 offset:3328
	s_waitcnt lgkmcnt(0)
	v_and_b32_e32 v5, 1, v7
	s_delay_alu instid0(VALU_DEP_1) | instskip(NEXT) | instid1(VALU_DEP_1)
	v_lshrrev_b32_e32 v5, s60, v5
	v_and_b32_e32 v5, s68, v5
	s_delay_alu instid0(VALU_DEP_1) | instskip(SKIP_3) | instid1(VALU_DEP_1)
	v_lshlrev_b32_e32 v5, 3, v5
	ds_load_b64 v[5:6], v5
	s_waitcnt lgkmcnt(0)
	v_add_co_u32 v5, s24, s50, v5
	v_add_co_ci_u32_e64 v6, s24, s51, v6, s24
	s_delay_alu instid0(VALU_DEP_2) | instskip(NEXT) | instid1(VALU_DEP_1)
	v_add_co_u32 v5, s24, v5, v1
	v_add_co_ci_u32_e64 v6, s24, 0, v6, s24
	global_store_b8 v[5:6], v7, off offset:1280
.LBB181_117:
	s_or_b32 exec_lo, exec_lo, s25
	v_add_nc_u32_e32 v91, 0x600, v1
	;; [unrolled: 24-line block ×3, first 2 shown]
	s_delay_alu instid0(VALU_DEP_1) | instskip(NEXT) | instid1(VALU_DEP_1)
	v_cmp_gt_u32_e64 s39, s47, v90
	s_and_saveexec_b32 s25, s39
	s_cbranch_execz .LBB181_121
; %bb.120:
	ds_load_u8 v7, v1 offset:3840
	s_waitcnt lgkmcnt(0)
	v_and_b32_e32 v5, 1, v7
	s_delay_alu instid0(VALU_DEP_1) | instskip(NEXT) | instid1(VALU_DEP_1)
	v_lshrrev_b32_e32 v5, s60, v5
	v_and_b32_e32 v5, s68, v5
	s_delay_alu instid0(VALU_DEP_1) | instskip(SKIP_3) | instid1(VALU_DEP_1)
	v_lshlrev_b32_e32 v5, 3, v5
	ds_load_b64 v[5:6], v5
	s_waitcnt lgkmcnt(0)
	v_add_co_u32 v5, s24, s50, v5
	v_add_co_ci_u32_e64 v6, s24, s51, v6, s24
	s_delay_alu instid0(VALU_DEP_2) | instskip(NEXT) | instid1(VALU_DEP_1)
	v_add_co_u32 v5, s24, v5, v1
	v_add_co_ci_u32_e64 v6, s24, 0, v6, s24
	global_store_b8 v[5:6], v7, off offset:1792
.LBB181_121:
	s_or_b32 exec_lo, exec_lo, s25
	v_or_b32_e32 v89, 0x800, v1
	s_delay_alu instid0(VALU_DEP_1) | instskip(NEXT) | instid1(VALU_DEP_1)
	v_cmp_gt_u32_e64 s38, s47, v89
	s_and_saveexec_b32 s25, s38
	s_cbranch_execz .LBB181_123
; %bb.122:
	ds_load_u8 v7, v1 offset:4096
	s_waitcnt lgkmcnt(0)
	v_and_b32_e32 v5, 1, v7
	s_delay_alu instid0(VALU_DEP_1) | instskip(NEXT) | instid1(VALU_DEP_1)
	v_lshrrev_b32_e32 v5, s60, v5
	v_and_b32_e32 v5, s68, v5
	s_delay_alu instid0(VALU_DEP_1) | instskip(SKIP_3) | instid1(VALU_DEP_1)
	v_lshlrev_b32_e32 v5, 3, v5
	ds_load_b64 v[5:6], v5
	s_waitcnt lgkmcnt(0)
	v_add_co_u32 v5, s24, s50, v5
	v_add_co_ci_u32_e64 v6, s24, s51, v6, s24
	s_delay_alu instid0(VALU_DEP_2) | instskip(NEXT) | instid1(VALU_DEP_1)
	v_add_co_u32 v5, s24, v5, v1
	v_add_co_ci_u32_e64 v6, s24, 0, v6, s24
	global_store_b8 v[5:6], v7, off offset:2048
.LBB181_123:
	s_or_b32 exec_lo, exec_lo, s25
	v_add_nc_u32_e32 v88, 0x900, v1
	s_delay_alu instid0(VALU_DEP_1) | instskip(NEXT) | instid1(VALU_DEP_1)
	v_cmp_gt_u32_e64 s37, s47, v88
	s_and_saveexec_b32 s25, s37
	s_cbranch_execz .LBB181_125
; %bb.124:
	ds_load_u8 v7, v1 offset:4352
	s_waitcnt lgkmcnt(0)
	v_and_b32_e32 v5, 1, v7
	s_delay_alu instid0(VALU_DEP_1) | instskip(NEXT) | instid1(VALU_DEP_1)
	v_lshrrev_b32_e32 v5, s60, v5
	v_and_b32_e32 v5, s68, v5
	s_delay_alu instid0(VALU_DEP_1) | instskip(SKIP_3) | instid1(VALU_DEP_1)
	v_lshlrev_b32_e32 v5, 3, v5
	ds_load_b64 v[5:6], v5
	s_waitcnt lgkmcnt(0)
	v_add_co_u32 v5, s24, s50, v5
	v_add_co_ci_u32_e64 v6, s24, s51, v6, s24
	s_delay_alu instid0(VALU_DEP_2) | instskip(NEXT) | instid1(VALU_DEP_1)
	v_add_co_u32 v5, s24, v5, v1
	v_add_co_ci_u32_e64 v6, s24, 0, v6, s24
	global_store_b8 v[5:6], v7, off offset:2304
.LBB181_125:
	s_or_b32 exec_lo, exec_lo, s25
	v_add_nc_u32_e32 v87, 0xa00, v1
	;; [unrolled: 24-line block ×3, first 2 shown]
	s_delay_alu instid0(VALU_DEP_1) | instskip(NEXT) | instid1(VALU_DEP_1)
	v_cmp_gt_u32_e64 s35, s47, v86
	s_and_saveexec_b32 s25, s35
	s_cbranch_execz .LBB181_129
; %bb.128:
	ds_load_u8 v7, v1 offset:4864
	s_waitcnt lgkmcnt(0)
	v_and_b32_e32 v5, 1, v7
	s_delay_alu instid0(VALU_DEP_1) | instskip(NEXT) | instid1(VALU_DEP_1)
	v_lshrrev_b32_e32 v5, s60, v5
	v_and_b32_e32 v5, s68, v5
	s_delay_alu instid0(VALU_DEP_1) | instskip(SKIP_3) | instid1(VALU_DEP_1)
	v_lshlrev_b32_e32 v5, 3, v5
	ds_load_b64 v[5:6], v5
	s_waitcnt lgkmcnt(0)
	v_add_co_u32 v5, s24, s50, v5
	v_add_co_ci_u32_e64 v6, s24, s51, v6, s24
	s_delay_alu instid0(VALU_DEP_2) | instskip(NEXT) | instid1(VALU_DEP_1)
	v_add_co_u32 v5, s24, v5, v1
	v_add_co_ci_u32_e64 v6, s24, 0, v6, s24
	global_store_b8 v[5:6], v7, off offset:2816
.LBB181_129:
	s_or_b32 exec_lo, exec_lo, s25
	v_or_b32_e32 v85, 0xc00, v1
	s_delay_alu instid0(VALU_DEP_1) | instskip(NEXT) | instid1(VALU_DEP_1)
	v_cmp_gt_u32_e64 s34, s47, v85
	s_and_saveexec_b32 s25, s34
	s_cbranch_execz .LBB181_131
; %bb.130:
	ds_load_u8 v7, v1 offset:5120
	s_waitcnt lgkmcnt(0)
	v_and_b32_e32 v5, 1, v7
	s_delay_alu instid0(VALU_DEP_1) | instskip(NEXT) | instid1(VALU_DEP_1)
	v_lshrrev_b32_e32 v5, s60, v5
	v_and_b32_e32 v5, s68, v5
	s_delay_alu instid0(VALU_DEP_1) | instskip(SKIP_3) | instid1(VALU_DEP_1)
	v_lshlrev_b32_e32 v5, 3, v5
	ds_load_b64 v[5:6], v5
	s_waitcnt lgkmcnt(0)
	v_add_co_u32 v5, s24, s50, v5
	v_add_co_ci_u32_e64 v6, s24, s51, v6, s24
	s_delay_alu instid0(VALU_DEP_2) | instskip(NEXT) | instid1(VALU_DEP_1)
	v_add_co_u32 v5, s24, v5, v1
	v_add_co_ci_u32_e64 v6, s24, 0, v6, s24
	global_store_b8 v[5:6], v7, off offset:3072
.LBB181_131:
	s_or_b32 exec_lo, exec_lo, s25
	v_add_nc_u32_e32 v84, 0xd00, v1
	s_delay_alu instid0(VALU_DEP_1) | instskip(NEXT) | instid1(VALU_DEP_1)
	v_cmp_gt_u32_e64 s33, s47, v84
	s_and_saveexec_b32 s25, s33
	s_cbranch_execz .LBB181_133
; %bb.132:
	ds_load_u8 v7, v1 offset:5376
	s_waitcnt lgkmcnt(0)
	v_and_b32_e32 v5, 1, v7
	s_delay_alu instid0(VALU_DEP_1) | instskip(NEXT) | instid1(VALU_DEP_1)
	v_lshrrev_b32_e32 v5, s60, v5
	v_and_b32_e32 v5, s68, v5
	s_delay_alu instid0(VALU_DEP_1) | instskip(SKIP_3) | instid1(VALU_DEP_1)
	v_lshlrev_b32_e32 v5, 3, v5
	ds_load_b64 v[5:6], v5
	s_waitcnt lgkmcnt(0)
	v_add_co_u32 v5, s24, s50, v5
	v_add_co_ci_u32_e64 v6, s24, s51, v6, s24
	s_delay_alu instid0(VALU_DEP_2) | instskip(NEXT) | instid1(VALU_DEP_1)
	v_add_co_u32 v5, s24, v5, v1
	v_add_co_ci_u32_e64 v6, s24, 0, v6, s24
	global_store_b8 v[5:6], v7, off offset:3328
.LBB181_133:
	s_or_b32 exec_lo, exec_lo, s25
	v_add_nc_u32_e32 v83, 0xe00, v1
	;; [unrolled: 24-line block ×3, first 2 shown]
	s_delay_alu instid0(VALU_DEP_1) | instskip(NEXT) | instid1(VALU_DEP_1)
	v_cmp_gt_u32_e64 s30, s47, v82
	s_and_saveexec_b32 s25, s30
	s_cbranch_execz .LBB181_137
; %bb.136:
	ds_load_u8 v7, v1 offset:5888
	s_waitcnt lgkmcnt(0)
	v_and_b32_e32 v5, 1, v7
	s_delay_alu instid0(VALU_DEP_1) | instskip(NEXT) | instid1(VALU_DEP_1)
	v_lshrrev_b32_e32 v5, s60, v5
	v_and_b32_e32 v5, s68, v5
	s_delay_alu instid0(VALU_DEP_1) | instskip(SKIP_3) | instid1(VALU_DEP_1)
	v_lshlrev_b32_e32 v5, 3, v5
	ds_load_b64 v[5:6], v5
	s_waitcnt lgkmcnt(0)
	v_add_co_u32 v5, s24, s50, v5
	v_add_co_ci_u32_e64 v6, s24, s51, v6, s24
	s_delay_alu instid0(VALU_DEP_2) | instskip(NEXT) | instid1(VALU_DEP_1)
	v_add_co_u32 v5, s24, v5, v1
	v_add_co_ci_u32_e64 v6, s24, 0, v6, s24
	global_store_b8 v[5:6], v7, off offset:3840
.LBB181_137:
	s_or_b32 exec_lo, exec_lo, s25
	v_or_b32_e32 v81, 0x1000, v1
	s_delay_alu instid0(VALU_DEP_1) | instskip(NEXT) | instid1(VALU_DEP_1)
	v_cmp_gt_u32_e64 s29, s47, v81
	s_and_saveexec_b32 s25, s29
	s_cbranch_execz .LBB181_139
; %bb.138:
	ds_load_u8 v7, v1 offset:6144
	s_waitcnt lgkmcnt(0)
	v_and_b32_e32 v5, 1, v7
	s_delay_alu instid0(VALU_DEP_1) | instskip(NEXT) | instid1(VALU_DEP_1)
	v_lshrrev_b32_e32 v5, s60, v5
	v_and_b32_e32 v5, s68, v5
	s_delay_alu instid0(VALU_DEP_1) | instskip(SKIP_3) | instid1(VALU_DEP_1)
	v_lshlrev_b32_e32 v5, 3, v5
	ds_load_b64 v[5:6], v5
	s_waitcnt lgkmcnt(0)
	v_add_co_u32 v5, s24, s50, v5
	v_add_co_ci_u32_e64 v6, s24, s51, v6, s24
	s_delay_alu instid0(VALU_DEP_2) | instskip(NEXT) | instid1(VALU_DEP_1)
	v_add_co_u32 v5, s24, v5, v81
	v_add_co_ci_u32_e64 v6, s24, 0, v6, s24
	global_store_b8 v[5:6], v7, off
.LBB181_139:
	s_or_b32 exec_lo, exec_lo, s25
	v_add_nc_u32_e32 v80, 0x1100, v1
	s_delay_alu instid0(VALU_DEP_1) | instskip(NEXT) | instid1(VALU_DEP_1)
	v_cmp_gt_u32_e64 s28, s47, v80
	s_and_saveexec_b32 s25, s28
	s_cbranch_execz .LBB181_141
; %bb.140:
	ds_load_u8 v7, v1 offset:6400
	s_waitcnt lgkmcnt(0)
	v_and_b32_e32 v5, 1, v7
	s_delay_alu instid0(VALU_DEP_1) | instskip(NEXT) | instid1(VALU_DEP_1)
	v_lshrrev_b32_e32 v5, s60, v5
	v_and_b32_e32 v5, s68, v5
	s_delay_alu instid0(VALU_DEP_1) | instskip(SKIP_3) | instid1(VALU_DEP_1)
	v_lshlrev_b32_e32 v5, 3, v5
	ds_load_b64 v[5:6], v5
	s_waitcnt lgkmcnt(0)
	v_add_co_u32 v5, s24, s50, v5
	v_add_co_ci_u32_e64 v6, s24, s51, v6, s24
	s_delay_alu instid0(VALU_DEP_2) | instskip(NEXT) | instid1(VALU_DEP_1)
	v_add_co_u32 v5, s24, v5, v80
	v_add_co_ci_u32_e64 v6, s24, 0, v6, s24
	global_store_b8 v[5:6], v7, off
.LBB181_141:
	s_or_b32 exec_lo, exec_lo, s25
	v_add_nc_u32_e32 v79, 0x1200, v1
	;; [unrolled: 24-line block ×3, first 2 shown]
	s_delay_alu instid0(VALU_DEP_1) | instskip(NEXT) | instid1(VALU_DEP_1)
	v_cmp_gt_u32_e64 s26, s47, v78
	s_and_saveexec_b32 s25, s26
	s_cbranch_execz .LBB181_145
; %bb.144:
	ds_load_u8 v7, v1 offset:6912
	s_waitcnt lgkmcnt(0)
	v_and_b32_e32 v5, 1, v7
	s_delay_alu instid0(VALU_DEP_1) | instskip(NEXT) | instid1(VALU_DEP_1)
	v_lshrrev_b32_e32 v5, s60, v5
	v_and_b32_e32 v5, s68, v5
	s_delay_alu instid0(VALU_DEP_1) | instskip(SKIP_3) | instid1(VALU_DEP_1)
	v_lshlrev_b32_e32 v5, 3, v5
	ds_load_b64 v[5:6], v5
	s_waitcnt lgkmcnt(0)
	v_add_co_u32 v5, s24, s50, v5
	v_add_co_ci_u32_e64 v6, s24, s51, v6, s24
	s_delay_alu instid0(VALU_DEP_2) | instskip(NEXT) | instid1(VALU_DEP_1)
	v_add_co_u32 v5, s24, v5, v78
	v_add_co_ci_u32_e64 v6, s24, 0, v6, s24
	global_store_b8 v[5:6], v7, off
.LBB181_145:
	s_or_b32 exec_lo, exec_lo, s25
	v_or_b32_e32 v77, 0x1400, v1
	s_delay_alu instid0(VALU_DEP_1) | instskip(NEXT) | instid1(VALU_DEP_1)
	v_cmp_gt_u32_e64 s25, s47, v77
	s_and_saveexec_b32 s69, s25
	s_cbranch_execz .LBB181_147
; %bb.146:
	ds_load_u8 v7, v1 offset:7168
	s_waitcnt lgkmcnt(0)
	v_and_b32_e32 v5, 1, v7
	s_delay_alu instid0(VALU_DEP_1) | instskip(NEXT) | instid1(VALU_DEP_1)
	v_lshrrev_b32_e32 v5, s60, v5
	v_and_b32_e32 v5, s68, v5
	s_delay_alu instid0(VALU_DEP_1) | instskip(SKIP_3) | instid1(VALU_DEP_1)
	v_lshlrev_b32_e32 v5, 3, v5
	ds_load_b64 v[5:6], v5
	s_waitcnt lgkmcnt(0)
	v_add_co_u32 v5, s24, s50, v5
	v_add_co_ci_u32_e64 v6, s24, s51, v6, s24
	s_delay_alu instid0(VALU_DEP_2) | instskip(NEXT) | instid1(VALU_DEP_1)
	v_add_co_u32 v5, s24, v5, v77
	v_add_co_ci_u32_e64 v6, s24, 0, v6, s24
	global_store_b8 v[5:6], v7, off
.LBB181_147:
	s_or_b32 exec_lo, exec_lo, s69
	v_add_nc_u32_e32 v76, 0x1500, v1
	s_delay_alu instid0(VALU_DEP_1) | instskip(NEXT) | instid1(VALU_DEP_1)
	v_cmp_gt_u32_e64 s24, s47, v76
	s_and_saveexec_b32 s69, s24
	s_cbranch_execz .LBB181_149
; %bb.148:
	ds_load_u8 v7, v1 offset:7424
	s_waitcnt lgkmcnt(0)
	v_and_b32_e32 v5, 1, v7
	s_delay_alu instid0(VALU_DEP_1) | instskip(NEXT) | instid1(VALU_DEP_1)
	v_lshrrev_b32_e32 v5, s60, v5
	v_and_b32_e32 v5, s68, v5
	s_delay_alu instid0(VALU_DEP_1) | instskip(SKIP_3) | instid1(VALU_DEP_1)
	v_lshlrev_b32_e32 v5, 3, v5
	ds_load_b64 v[5:6], v5
	s_waitcnt lgkmcnt(0)
	v_add_co_u32 v5, s47, s50, v5
	v_add_co_ci_u32_e64 v6, s47, s51, v6, s47
	s_delay_alu instid0(VALU_DEP_2) | instskip(NEXT) | instid1(VALU_DEP_1)
	v_add_co_u32 v5, s47, v5, v76
	v_add_co_ci_u32_e64 v6, s47, 0, v6, s47
	global_store_b8 v[5:6], v7, off
.LBB181_149:
	s_or_b32 exec_lo, exec_lo, s69
	v_lshlrev_b32_e32 v5, 3, v51
	s_lshl_b64 s[70:71], s[64:65], 3
	v_lshlrev_b32_e32 v6, 3, v10
	s_add_u32 s47, s52, s70
	s_addc_u32 s65, s53, s71
	v_add_co_u32 v5, s47, s47, v5
	s_delay_alu instid0(VALU_DEP_1) | instskip(NEXT) | instid1(VALU_DEP_2)
	v_add_co_ci_u32_e64 v7, null, s65, 0, s47
	v_add_co_u32 v49, s47, v5, v6
	s_delay_alu instid0(VALU_DEP_1) | instskip(SKIP_1) | instid1(SALU_CYCLE_1)
	v_add_co_ci_u32_e64 v50, s47, 0, v7, s47
                                        ; implicit-def: $vgpr5_vgpr6
	s_and_saveexec_b32 s47, vcc_lo
	s_xor_b32 s47, exec_lo, s47
	s_cbranch_execnz .LBB181_283
; %bb.150:
	s_or_b32 exec_lo, exec_lo, s47
                                        ; implicit-def: $vgpr7_vgpr8
	s_and_saveexec_b32 s47, s2
	s_cbranch_execnz .LBB181_284
.LBB181_151:
	s_or_b32 exec_lo, exec_lo, s47
                                        ; implicit-def: $vgpr9_vgpr10
	s_and_saveexec_b32 s2, s3
	s_cbranch_execnz .LBB181_285
.LBB181_152:
	s_or_b32 exec_lo, exec_lo, s2
                                        ; implicit-def: $vgpr11_vgpr12
	s_and_saveexec_b32 s2, s4
	s_cbranch_execnz .LBB181_286
.LBB181_153:
	s_or_b32 exec_lo, exec_lo, s2
                                        ; implicit-def: $vgpr13_vgpr14
	s_and_saveexec_b32 s2, s5
	s_cbranch_execnz .LBB181_287
.LBB181_154:
	s_or_b32 exec_lo, exec_lo, s2
                                        ; implicit-def: $vgpr15_vgpr16
	s_and_saveexec_b32 s2, s6
	s_cbranch_execnz .LBB181_288
.LBB181_155:
	s_or_b32 exec_lo, exec_lo, s2
                                        ; implicit-def: $vgpr17_vgpr18
	s_and_saveexec_b32 s2, s7
	s_cbranch_execnz .LBB181_289
.LBB181_156:
	s_or_b32 exec_lo, exec_lo, s2
                                        ; implicit-def: $vgpr19_vgpr20
	s_and_saveexec_b32 s2, s8
	s_cbranch_execnz .LBB181_290
.LBB181_157:
	s_or_b32 exec_lo, exec_lo, s2
                                        ; implicit-def: $vgpr21_vgpr22
	s_and_saveexec_b32 s2, s9
	s_cbranch_execnz .LBB181_291
.LBB181_158:
	s_or_b32 exec_lo, exec_lo, s2
                                        ; implicit-def: $vgpr23_vgpr24
	s_and_saveexec_b32 s2, s10
	s_cbranch_execnz .LBB181_292
.LBB181_159:
	s_or_b32 exec_lo, exec_lo, s2
                                        ; implicit-def: $vgpr25_vgpr26
	s_and_saveexec_b32 s2, s11
	s_cbranch_execnz .LBB181_293
.LBB181_160:
	s_or_b32 exec_lo, exec_lo, s2
                                        ; implicit-def: $vgpr27_vgpr28
	s_and_saveexec_b32 s2, s12
	s_cbranch_execnz .LBB181_294
.LBB181_161:
	s_or_b32 exec_lo, exec_lo, s2
                                        ; implicit-def: $vgpr29_vgpr30
	s_and_saveexec_b32 s2, s13
	s_cbranch_execnz .LBB181_295
.LBB181_162:
	s_or_b32 exec_lo, exec_lo, s2
                                        ; implicit-def: $vgpr31_vgpr32
	s_and_saveexec_b32 s2, s14
	s_cbranch_execnz .LBB181_296
.LBB181_163:
	s_or_b32 exec_lo, exec_lo, s2
                                        ; implicit-def: $vgpr33_vgpr34
	s_and_saveexec_b32 s2, s16
	s_cbranch_execnz .LBB181_297
.LBB181_164:
	s_or_b32 exec_lo, exec_lo, s2
                                        ; implicit-def: $vgpr35_vgpr36
	s_and_saveexec_b32 s2, s18
	s_cbranch_execnz .LBB181_298
.LBB181_165:
	s_or_b32 exec_lo, exec_lo, s2
                                        ; implicit-def: $vgpr37_vgpr38
	s_and_saveexec_b32 s2, s23
	s_cbranch_execnz .LBB181_299
.LBB181_166:
	s_or_b32 exec_lo, exec_lo, s2
                                        ; implicit-def: $vgpr39_vgpr40
	s_and_saveexec_b32 s2, s21
	s_cbranch_execnz .LBB181_300
.LBB181_167:
	s_or_b32 exec_lo, exec_lo, s2
                                        ; implicit-def: $vgpr41_vgpr42
	s_and_saveexec_b32 s2, s22
	s_cbranch_execnz .LBB181_301
.LBB181_168:
	s_or_b32 exec_lo, exec_lo, s2
                                        ; implicit-def: $vgpr43_vgpr44
	s_and_saveexec_b32 s2, s19
	s_cbranch_execnz .LBB181_302
.LBB181_169:
	s_or_b32 exec_lo, exec_lo, s2
                                        ; implicit-def: $vgpr45_vgpr46
	s_and_saveexec_b32 s2, s20
	s_cbranch_execnz .LBB181_303
.LBB181_170:
	s_or_b32 exec_lo, exec_lo, s2
                                        ; implicit-def: $vgpr47_vgpr48
	s_and_saveexec_b32 s2, s17
	s_cbranch_execnz .LBB181_304
.LBB181_171:
	s_or_b32 exec_lo, exec_lo, s2
                                        ; implicit-def: $vgpr115
	s_and_saveexec_b32 s2, s40
	s_cbranch_execnz .LBB181_305
.LBB181_172:
	s_or_b32 exec_lo, exec_lo, s2
                                        ; implicit-def: $vgpr114
	s_and_saveexec_b32 s2, s45
	s_cbranch_execnz .LBB181_306
.LBB181_173:
	s_or_b32 exec_lo, exec_lo, s2
                                        ; implicit-def: $vgpr113
	s_and_saveexec_b32 s2, s46
	s_cbranch_execnz .LBB181_307
.LBB181_174:
	s_or_b32 exec_lo, exec_lo, s2
                                        ; implicit-def: $vgpr112
	s_and_saveexec_b32 s2, s44
	s_cbranch_execnz .LBB181_308
.LBB181_175:
	s_or_b32 exec_lo, exec_lo, s2
                                        ; implicit-def: $vgpr111
	s_and_saveexec_b32 s2, s43
	s_cbranch_execnz .LBB181_309
.LBB181_176:
	s_or_b32 exec_lo, exec_lo, s2
                                        ; implicit-def: $vgpr110
	s_and_saveexec_b32 s2, s42
	s_cbranch_execnz .LBB181_310
.LBB181_177:
	s_or_b32 exec_lo, exec_lo, s2
                                        ; implicit-def: $vgpr109
	s_and_saveexec_b32 s2, s41
	s_cbranch_execnz .LBB181_311
.LBB181_178:
	s_or_b32 exec_lo, exec_lo, s2
                                        ; implicit-def: $vgpr108
	s_and_saveexec_b32 s2, s39
	s_cbranch_execnz .LBB181_312
.LBB181_179:
	s_or_b32 exec_lo, exec_lo, s2
                                        ; implicit-def: $vgpr107
	s_and_saveexec_b32 s2, s38
	s_cbranch_execnz .LBB181_313
.LBB181_180:
	s_or_b32 exec_lo, exec_lo, s2
                                        ; implicit-def: $vgpr106
	s_and_saveexec_b32 s2, s37
	s_cbranch_execnz .LBB181_314
.LBB181_181:
	s_or_b32 exec_lo, exec_lo, s2
                                        ; implicit-def: $vgpr105
	s_and_saveexec_b32 s2, s36
	s_cbranch_execnz .LBB181_315
.LBB181_182:
	s_or_b32 exec_lo, exec_lo, s2
                                        ; implicit-def: $vgpr104
	s_and_saveexec_b32 s2, s35
	s_cbranch_execnz .LBB181_316
.LBB181_183:
	s_or_b32 exec_lo, exec_lo, s2
                                        ; implicit-def: $vgpr103
	s_and_saveexec_b32 s2, s34
	s_cbranch_execnz .LBB181_317
.LBB181_184:
	s_or_b32 exec_lo, exec_lo, s2
                                        ; implicit-def: $vgpr102
	s_and_saveexec_b32 s2, s33
	s_cbranch_execnz .LBB181_318
.LBB181_185:
	s_or_b32 exec_lo, exec_lo, s2
                                        ; implicit-def: $vgpr101
	s_and_saveexec_b32 s2, s31
	s_cbranch_execnz .LBB181_319
.LBB181_186:
	s_or_b32 exec_lo, exec_lo, s2
                                        ; implicit-def: $vgpr100
	s_and_saveexec_b32 s2, s30
	s_cbranch_execnz .LBB181_320
.LBB181_187:
	s_or_b32 exec_lo, exec_lo, s2
                                        ; implicit-def: $vgpr99
	s_and_saveexec_b32 s2, s29
	s_cbranch_execnz .LBB181_321
.LBB181_188:
	s_or_b32 exec_lo, exec_lo, s2
                                        ; implicit-def: $vgpr98
	s_and_saveexec_b32 s2, s28
	s_cbranch_execnz .LBB181_322
.LBB181_189:
	s_or_b32 exec_lo, exec_lo, s2
                                        ; implicit-def: $vgpr97
	s_and_saveexec_b32 s2, s27
	s_cbranch_execnz .LBB181_323
.LBB181_190:
	s_or_b32 exec_lo, exec_lo, s2
                                        ; implicit-def: $vgpr96
	s_and_saveexec_b32 s2, s26
	s_cbranch_execnz .LBB181_324
.LBB181_191:
	s_or_b32 exec_lo, exec_lo, s2
                                        ; implicit-def: $vgpr50
	s_and_saveexec_b32 s2, s25
	s_cbranch_execnz .LBB181_325
.LBB181_192:
	s_or_b32 exec_lo, exec_lo, s2
                                        ; implicit-def: $vgpr49
	s_and_saveexec_b32 s2, s24
	s_cbranch_execz .LBB181_194
.LBB181_193:
	ds_load_u8 v49, v1 offset:7424
	s_waitcnt lgkmcnt(0)
	v_lshrrev_b32_e32 v49, s60, v49
	s_delay_alu instid0(VALU_DEP_1)
	v_and_b32_e32 v49, s68, v49
.LBB181_194:
	s_or_b32 exec_lo, exec_lo, s2
	v_lshlrev_b32_e32 v75, 3, v75
	v_lshlrev_b32_e32 v74, 3, v74
	s_waitcnt vmcnt(0)
	s_waitcnt_vscnt null, 0x0
	s_barrier
	buffer_gl0_inv
	ds_store_b64 v75, v[5:6] offset:2048
	ds_store_b64 v74, v[7:8] offset:2048
	v_lshlrev_b32_e32 v5, 3, v73
	v_lshlrev_b32_e32 v6, 3, v72
	v_lshlrev_b32_e32 v7, 3, v71
	v_lshlrev_b32_e32 v8, 3, v70
	v_lshlrev_b32_e32 v69, 3, v69
	ds_store_b64 v5, v[9:10] offset:2048
	ds_store_b64 v6, v[11:12] offset:2048
	ds_store_b64 v7, v[13:14] offset:2048
	ds_store_b64 v8, v[15:16] offset:2048
	ds_store_b64 v69, v[17:18] offset:2048
	v_lshlrev_b32_e32 v5, 3, v68
	v_lshlrev_b32_e32 v6, 3, v67
	v_lshlrev_b32_e32 v7, 3, v66
	v_lshlrev_b32_e32 v8, 3, v65
	v_lshlrev_b32_e32 v9, 3, v64
	ds_store_b64 v5, v[19:20] offset:2048
	ds_store_b64 v6, v[21:22] offset:2048
	ds_store_b64 v7, v[23:24] offset:2048
	ds_store_b64 v8, v[25:26] offset:2048
	ds_store_b64 v9, v[27:28] offset:2048
	v_lshlrev_b32_e32 v5, 3, v63
	v_lshlrev_b32_e32 v6, 3, v62
	v_lshlrev_b32_e32 v7, 3, v61
	v_lshlrev_b32_e32 v8, 3, v60
	v_lshlrev_b32_e32 v9, 3, v59
	ds_store_b64 v5, v[29:30] offset:2048
	ds_store_b64 v6, v[31:32] offset:2048
	ds_store_b64 v7, v[33:34] offset:2048
	ds_store_b64 v8, v[35:36] offset:2048
	ds_store_b64 v9, v[37:38] offset:2048
	v_lshlrev_b32_e32 v5, 3, v58
	v_lshlrev_b32_e32 v6, 3, v57
	v_lshlrev_b32_e32 v7, 3, v56
	v_lshlrev_b32_e32 v8, 3, v55
	v_lshlrev_b32_e32 v9, 3, v54
	ds_store_b64 v5, v[39:40] offset:2048
	ds_store_b64 v6, v[41:42] offset:2048
	ds_store_b64 v7, v[43:44] offset:2048
	ds_store_b64 v8, v[45:46] offset:2048
	ds_store_b64 v9, v[47:48] offset:2048
	s_waitcnt lgkmcnt(0)
	s_barrier
	buffer_gl0_inv
	s_and_saveexec_b32 s2, s40
	s_cbranch_execnz .LBB181_326
; %bb.195:
	s_or_b32 exec_lo, exec_lo, s2
	s_and_saveexec_b32 s2, s45
	s_cbranch_execnz .LBB181_327
.LBB181_196:
	s_or_b32 exec_lo, exec_lo, s2
	s_and_saveexec_b32 s2, s46
	s_cbranch_execnz .LBB181_328
.LBB181_197:
	s_or_b32 exec_lo, exec_lo, s2
	s_and_saveexec_b32 s2, s44
	s_cbranch_execnz .LBB181_329
.LBB181_198:
	s_or_b32 exec_lo, exec_lo, s2
	s_and_saveexec_b32 s2, s43
	s_cbranch_execnz .LBB181_330
.LBB181_199:
	s_or_b32 exec_lo, exec_lo, s2
	s_and_saveexec_b32 s2, s42
	s_cbranch_execnz .LBB181_331
.LBB181_200:
	s_or_b32 exec_lo, exec_lo, s2
	s_and_saveexec_b32 s2, s41
	s_cbranch_execnz .LBB181_332
.LBB181_201:
	s_or_b32 exec_lo, exec_lo, s2
	s_and_saveexec_b32 s2, s39
	s_cbranch_execnz .LBB181_333
.LBB181_202:
	s_or_b32 exec_lo, exec_lo, s2
	s_and_saveexec_b32 s2, s38
	s_cbranch_execnz .LBB181_334
.LBB181_203:
	s_or_b32 exec_lo, exec_lo, s2
	s_and_saveexec_b32 s2, s37
	s_cbranch_execnz .LBB181_335
.LBB181_204:
	s_or_b32 exec_lo, exec_lo, s2
	s_and_saveexec_b32 s2, s36
	s_cbranch_execnz .LBB181_336
.LBB181_205:
	s_or_b32 exec_lo, exec_lo, s2
	s_and_saveexec_b32 s2, s35
	s_cbranch_execnz .LBB181_337
.LBB181_206:
	s_or_b32 exec_lo, exec_lo, s2
	s_and_saveexec_b32 s2, s34
	s_cbranch_execnz .LBB181_338
.LBB181_207:
	s_or_b32 exec_lo, exec_lo, s2
	s_and_saveexec_b32 s2, s33
	s_cbranch_execnz .LBB181_339
.LBB181_208:
	s_or_b32 exec_lo, exec_lo, s2
	s_and_saveexec_b32 s2, s31
	s_cbranch_execnz .LBB181_340
.LBB181_209:
	s_or_b32 exec_lo, exec_lo, s2
	s_and_saveexec_b32 s2, s30
	s_cbranch_execnz .LBB181_341
.LBB181_210:
	s_or_b32 exec_lo, exec_lo, s2
	s_and_saveexec_b32 s2, s29
	s_cbranch_execnz .LBB181_342
.LBB181_211:
	s_or_b32 exec_lo, exec_lo, s2
	s_and_saveexec_b32 s2, s28
	s_cbranch_execnz .LBB181_343
.LBB181_212:
	s_or_b32 exec_lo, exec_lo, s2
	s_and_saveexec_b32 s2, s27
	s_cbranch_execnz .LBB181_344
.LBB181_213:
	s_or_b32 exec_lo, exec_lo, s2
	s_and_saveexec_b32 s2, s26
	s_cbranch_execnz .LBB181_345
.LBB181_214:
	s_or_b32 exec_lo, exec_lo, s2
	s_and_saveexec_b32 s2, s25
	s_cbranch_execnz .LBB181_346
.LBB181_215:
	s_or_b32 exec_lo, exec_lo, s2
	s_and_saveexec_b32 s2, s24
	s_cbranch_execz .LBB181_217
.LBB181_216:
	v_lshlrev_b32_e32 v5, 3, v49
	v_lshlrev_b32_e32 v7, 3, v1
	;; [unrolled: 1-line block ×3, first 2 shown]
	ds_load_b64 v[5:6], v5
	ds_load_b64 v[7:8], v7 offset:45056
	s_waitcnt lgkmcnt(1)
	v_lshlrev_b64 v[5:6], 3, v[5:6]
	s_delay_alu instid0(VALU_DEP_1) | instskip(NEXT) | instid1(VALU_DEP_2)
	v_add_co_u32 v5, vcc_lo, s54, v5
	v_add_co_ci_u32_e32 v6, vcc_lo, s55, v6, vcc_lo
	s_delay_alu instid0(VALU_DEP_2) | instskip(NEXT) | instid1(VALU_DEP_2)
	v_add_co_u32 v5, vcc_lo, v5, v9
	v_add_co_ci_u32_e32 v6, vcc_lo, 0, v6, vcc_lo
	s_waitcnt lgkmcnt(0)
	global_store_b64 v[5:6], v[7:8], off
.LBB181_217:
	s_or_b32 exec_lo, exec_lo, s2
	s_add_i32 s62, s62, -1
	s_delay_alu instid0(SALU_CYCLE_1)
	s_cmp_eq_u32 s15, s62
	s_cselect_b32 s2, -1, 0
	s_branch .LBB181_280
.LBB181_218:
	s_mov_b32 s2, 0
                                        ; implicit-def: $vgpr53
                                        ; implicit-def: $vgpr3_vgpr4
                                        ; implicit-def: $vgpr52
	s_cbranch_execz .LBB181_280
; %bb.219:
	v_and_b32_e32 v34, 0xe0, v1
	s_add_u32 s2, s48, s64
	s_addc_u32 s3, s49, 0
	v_add_co_u32 v2, s2, s2, v51
	s_delay_alu instid0(VALU_DEP_2)
	v_mul_u32_u24_e32 v10, 22, v34
	v_add_co_ci_u32_e64 v3, null, s3, 0, s2
	s_clause 0x1
	s_load_b32 s3, s[0:1], 0x5c
	s_load_b32 s2, s[0:1], 0x50
	v_add_co_u32 v2, vcc_lo, v2, v10
	v_add_co_ci_u32_e32 v3, vcc_lo, 0, v3, vcc_lo
	s_add_u32 s0, s0, 0x50
	s_addc_u32 s1, s1, 0
	v_mov_b32_e32 v4, 0
	global_load_u8 v18, v[2:3], off
	v_bfe_u32 v7, v0, 10, 10
	v_bfe_u32 v0, v0, 20, 10
	s_mov_b32 s65, 0
	s_waitcnt lgkmcnt(0)
	s_lshr_b32 s3, s3, 16
	s_cmp_lt_u32 s15, s2
	v_mad_u32_u24 v0, v0, s3, v7
	s_cselect_b32 s4, 12, 18
	s_delay_alu instid0(SALU_CYCLE_1)
	s_add_u32 s0, s0, s4
	s_addc_u32 s1, s1, 0
	global_load_u16 v5, v4, s[0:1]
	s_clause 0x14
	global_load_u8 v19, v[2:3], off offset:32
	global_load_u8 v20, v[2:3], off offset:64
	;; [unrolled: 1-line block ×21, first 2 shown]
	s_lshl_b32 s0, -1, s61
	s_delay_alu instid0(SALU_CYCLE_1) | instskip(SKIP_2) | instid1(VALU_DEP_1)
	s_not_b32 s1, s0
	s_waitcnt vmcnt(22)
	v_and_b32_e32 v2, 1, v18
	v_lshrrev_b32_e32 v2, s60, v2
	s_delay_alu instid0(VALU_DEP_1) | instskip(NEXT) | instid1(VALU_DEP_1)
	v_and_b32_e32 v6, s1, v2
	v_add_co_u32 v2, s0, v6, -1
	s_delay_alu instid0(VALU_DEP_1) | instskip(NEXT) | instid1(VALU_DEP_1)
	v_cndmask_b32_e64 v3, 0, 1, s0
	v_cmp_ne_u32_e32 vcc_lo, 0, v3
	v_mul_u32_u24_e32 v3, 9, v1
	s_delay_alu instid0(VALU_DEP_4) | instskip(NEXT) | instid1(VALU_DEP_2)
	v_xor_b32_e32 v7, vcc_lo, v2
	v_lshlrev_b32_e32 v33, 2, v3
	s_waitcnt vmcnt(21)
	v_mad_u64_u32 v[2:3], null, v0, v5, v[1:2]
	ds_store_2addr_b32 v33, v4, v4 offset0:8 offset1:9
	ds_store_2addr_b32 v33, v4, v4 offset0:10 offset1:11
	;; [unrolled: 1-line block ×4, first 2 shown]
	v_and_b32_e32 v3, exec_lo, v7
	ds_store_b32 v33, v4 offset:64
	v_mul_u32_u24_e32 v4, 9, v6
	v_lshrrev_b32_e32 v2, 5, v2
	s_waitcnt vmcnt(0) lgkmcnt(0)
	s_waitcnt_vscnt null, 0x0
	v_mbcnt_lo_u32_b32 v0, v3, 0
	v_cmp_ne_u32_e64 s0, 0, v3
	s_barrier
	v_add_lshl_u32 v35, v2, v4, 2
	buffer_gl0_inv
	v_cmp_eq_u32_e32 vcc_lo, 0, v0
	; wave barrier
	s_and_b32 s3, s0, vcc_lo
	s_delay_alu instid0(SALU_CYCLE_1)
	s_and_saveexec_b32 s0, s3
	s_cbranch_execz .LBB181_221
; %bb.220:
	v_bcnt_u32_b32 v3, v3, 0
	ds_store_b32 v35, v3 offset:32
.LBB181_221:
	s_or_b32 exec_lo, exec_lo, s0
	v_and_b32_e32 v3, 0xff, v19
	; wave barrier
	s_delay_alu instid0(VALU_DEP_1) | instskip(NEXT) | instid1(VALU_DEP_1)
	v_lshrrev_b32_e32 v3, s60, v3
	v_and_b32_e32 v3, s1, v3
	s_delay_alu instid0(VALU_DEP_1) | instskip(NEXT) | instid1(VALU_DEP_1)
	v_add_co_u32 v4, s0, v3, -1
	v_cndmask_b32_e64 v5, 0, 1, s0
	v_mul_u32_u24_e32 v3, 9, v3
	s_delay_alu instid0(VALU_DEP_2) | instskip(NEXT) | instid1(VALU_DEP_2)
	v_cmp_ne_u32_e32 vcc_lo, 0, v5
	v_add_lshl_u32 v38, v2, v3, 2
	v_xor_b32_e32 v3, vcc_lo, v4
	ds_load_b32 v36, v38 offset:32
	; wave barrier
	v_and_b32_e32 v3, exec_lo, v3
	s_delay_alu instid0(VALU_DEP_1) | instskip(SKIP_1) | instid1(VALU_DEP_2)
	v_mbcnt_lo_u32_b32 v37, v3, 0
	v_cmp_ne_u32_e64 s0, 0, v3
	v_cmp_eq_u32_e32 vcc_lo, 0, v37
	s_delay_alu instid0(VALU_DEP_2) | instskip(NEXT) | instid1(SALU_CYCLE_1)
	s_and_b32 s3, s0, vcc_lo
	s_and_saveexec_b32 s0, s3
	s_cbranch_execz .LBB181_223
; %bb.222:
	s_waitcnt lgkmcnt(0)
	v_bcnt_u32_b32 v3, v3, v36
	ds_store_b32 v38, v3 offset:32
.LBB181_223:
	s_or_b32 exec_lo, exec_lo, s0
	v_and_b32_e32 v3, 0xff, v20
	; wave barrier
	s_delay_alu instid0(VALU_DEP_1) | instskip(NEXT) | instid1(VALU_DEP_1)
	v_lshrrev_b32_e32 v3, s60, v3
	v_and_b32_e32 v3, s1, v3
	s_delay_alu instid0(VALU_DEP_1) | instskip(NEXT) | instid1(VALU_DEP_1)
	v_add_co_u32 v4, s0, v3, -1
	v_cndmask_b32_e64 v5, 0, 1, s0
	v_mul_u32_u24_e32 v3, 9, v3
	s_delay_alu instid0(VALU_DEP_2) | instskip(NEXT) | instid1(VALU_DEP_2)
	v_cmp_ne_u32_e32 vcc_lo, 0, v5
	v_add_lshl_u32 v41, v2, v3, 2
	v_xor_b32_e32 v3, vcc_lo, v4
	ds_load_b32 v39, v41 offset:32
	; wave barrier
	v_and_b32_e32 v3, exec_lo, v3
	s_delay_alu instid0(VALU_DEP_1) | instskip(SKIP_1) | instid1(VALU_DEP_2)
	v_mbcnt_lo_u32_b32 v40, v3, 0
	v_cmp_ne_u32_e64 s0, 0, v3
	v_cmp_eq_u32_e32 vcc_lo, 0, v40
	s_delay_alu instid0(VALU_DEP_2) | instskip(NEXT) | instid1(SALU_CYCLE_1)
	s_and_b32 s3, s0, vcc_lo
	s_and_saveexec_b32 s0, s3
	s_cbranch_execz .LBB181_225
; %bb.224:
	s_waitcnt lgkmcnt(0)
	v_bcnt_u32_b32 v3, v3, v39
	ds_store_b32 v41, v3 offset:32
.LBB181_225:
	;; [unrolled: 30-line block ×20, first 2 shown]
	s_or_b32 exec_lo, exec_lo, s0
	v_and_b32_e32 v3, 0xff, v13
	; wave barrier
	v_add_nc_u32_e32 v100, 32, v33
	s_delay_alu instid0(VALU_DEP_2) | instskip(NEXT) | instid1(VALU_DEP_1)
	v_lshrrev_b32_e32 v3, s60, v3
	v_and_b32_e32 v3, s1, v3
	s_delay_alu instid0(VALU_DEP_1) | instskip(NEXT) | instid1(VALU_DEP_1)
	v_add_co_u32 v4, s0, v3, -1
	v_cndmask_b32_e64 v5, 0, 1, s0
	v_mul_u32_u24_e32 v3, 9, v3
	s_delay_alu instid0(VALU_DEP_2) | instskip(NEXT) | instid1(VALU_DEP_2)
	v_cmp_ne_u32_e32 vcc_lo, 0, v5
	v_add_lshl_u32 v99, v2, v3, 2
	v_xor_b32_e32 v2, vcc_lo, v4
	ds_load_b32 v97, v99 offset:32
	; wave barrier
	v_and_b32_e32 v2, exec_lo, v2
	s_delay_alu instid0(VALU_DEP_1) | instskip(SKIP_1) | instid1(VALU_DEP_2)
	v_mbcnt_lo_u32_b32 v98, v2, 0
	v_cmp_ne_u32_e64 s0, 0, v2
	v_cmp_eq_u32_e32 vcc_lo, 0, v98
	s_delay_alu instid0(VALU_DEP_2) | instskip(NEXT) | instid1(SALU_CYCLE_1)
	s_and_b32 s3, s0, vcc_lo
	s_and_saveexec_b32 s0, s3
	s_cbranch_execz .LBB181_263
; %bb.262:
	s_waitcnt lgkmcnt(0)
	v_bcnt_u32_b32 v2, v2, v97
	ds_store_b32 v99, v2 offset:32
.LBB181_263:
	s_or_b32 exec_lo, exec_lo, s0
	; wave barrier
	s_waitcnt lgkmcnt(0)
	s_barrier
	buffer_gl0_inv
	ds_load_2addr_b32 v[8:9], v33 offset0:8 offset1:9
	ds_load_2addr_b32 v[6:7], v100 offset0:2 offset1:3
	;; [unrolled: 1-line block ×4, first 2 shown]
	ds_load_b32 v101, v100 offset:32
	v_min_u32_e32 v34, 0xe0, v34
	s_mov_b32 s0, exec_lo
	s_delay_alu instid0(VALU_DEP_1) | instskip(SKIP_3) | instid1(VALU_DEP_1)
	v_or_b32_e32 v104, 31, v34
	s_waitcnt lgkmcnt(3)
	v_add3_u32 v102, v9, v8, v6
	s_waitcnt lgkmcnt(2)
	v_add3_u32 v102, v102, v7, v4
	s_waitcnt lgkmcnt(1)
	s_delay_alu instid0(VALU_DEP_1) | instskip(SKIP_1) | instid1(VALU_DEP_1)
	v_add3_u32 v102, v102, v5, v2
	s_waitcnt lgkmcnt(0)
	v_add3_u32 v101, v102, v3, v101
	v_and_b32_e32 v102, 15, v51
	s_delay_alu instid0(VALU_DEP_2) | instskip(NEXT) | instid1(VALU_DEP_2)
	v_mov_b32_dpp v103, v101 row_shr:1 row_mask:0xf bank_mask:0xf
	v_cmp_ne_u32_e32 vcc_lo, 0, v102
	s_delay_alu instid0(VALU_DEP_2) | instskip(SKIP_1) | instid1(VALU_DEP_2)
	v_cndmask_b32_e32 v103, 0, v103, vcc_lo
	v_cmp_lt_u32_e32 vcc_lo, 1, v102
	v_add_nc_u32_e32 v101, v103, v101
	s_delay_alu instid0(VALU_DEP_1) | instskip(NEXT) | instid1(VALU_DEP_1)
	v_mov_b32_dpp v103, v101 row_shr:2 row_mask:0xf bank_mask:0xf
	v_cndmask_b32_e32 v103, 0, v103, vcc_lo
	v_cmp_lt_u32_e32 vcc_lo, 3, v102
	s_delay_alu instid0(VALU_DEP_2) | instskip(NEXT) | instid1(VALU_DEP_1)
	v_add_nc_u32_e32 v101, v101, v103
	v_mov_b32_dpp v103, v101 row_shr:4 row_mask:0xf bank_mask:0xf
	s_delay_alu instid0(VALU_DEP_1) | instskip(SKIP_1) | instid1(VALU_DEP_2)
	v_cndmask_b32_e32 v103, 0, v103, vcc_lo
	v_cmp_lt_u32_e32 vcc_lo, 7, v102
	v_add_nc_u32_e32 v101, v101, v103
	s_delay_alu instid0(VALU_DEP_1) | instskip(NEXT) | instid1(VALU_DEP_1)
	v_mov_b32_dpp v103, v101 row_shr:8 row_mask:0xf bank_mask:0xf
	v_cndmask_b32_e32 v102, 0, v103, vcc_lo
	v_bfe_i32 v103, v51, 4, 1
	s_delay_alu instid0(VALU_DEP_2) | instskip(SKIP_4) | instid1(VALU_DEP_2)
	v_add_nc_u32_e32 v102, v101, v102
	ds_swizzle_b32 v101, v102 offset:swizzle(BROADCAST,32,15)
	s_waitcnt lgkmcnt(0)
	v_and_b32_e32 v103, v103, v101
	v_lshrrev_b32_e32 v101, 5, v1
	v_add_nc_u32_e32 v34, v102, v103
	v_cmpx_eq_u32_e64 v104, v1
	s_cbranch_execz .LBB181_265
; %bb.264:
	s_delay_alu instid0(VALU_DEP_3)
	v_lshlrev_b32_e32 v102, 2, v101
	ds_store_b32 v102, v34
.LBB181_265:
	s_or_b32 exec_lo, exec_lo, s0
	s_delay_alu instid0(SALU_CYCLE_1)
	s_mov_b32 s0, exec_lo
	s_waitcnt lgkmcnt(0)
	s_barrier
	buffer_gl0_inv
	v_cmpx_gt_u32_e32 8, v1
	s_cbranch_execz .LBB181_267
; %bb.266:
	v_lshlrev_b32_e32 v102, 2, v1
	ds_load_b32 v103, v102
	s_waitcnt lgkmcnt(0)
	v_mov_b32_dpp v105, v103 row_shr:1 row_mask:0xf bank_mask:0xf
	v_and_b32_e32 v104, 7, v51
	s_delay_alu instid0(VALU_DEP_1) | instskip(NEXT) | instid1(VALU_DEP_3)
	v_cmp_ne_u32_e32 vcc_lo, 0, v104
	v_cndmask_b32_e32 v105, 0, v105, vcc_lo
	v_cmp_lt_u32_e32 vcc_lo, 1, v104
	s_delay_alu instid0(VALU_DEP_2) | instskip(NEXT) | instid1(VALU_DEP_1)
	v_add_nc_u32_e32 v103, v105, v103
	v_mov_b32_dpp v105, v103 row_shr:2 row_mask:0xf bank_mask:0xf
	s_delay_alu instid0(VALU_DEP_1) | instskip(SKIP_1) | instid1(VALU_DEP_2)
	v_cndmask_b32_e32 v105, 0, v105, vcc_lo
	v_cmp_lt_u32_e32 vcc_lo, 3, v104
	v_add_nc_u32_e32 v103, v103, v105
	s_delay_alu instid0(VALU_DEP_1) | instskip(NEXT) | instid1(VALU_DEP_1)
	v_mov_b32_dpp v105, v103 row_shr:4 row_mask:0xf bank_mask:0xf
	v_cndmask_b32_e32 v104, 0, v105, vcc_lo
	s_delay_alu instid0(VALU_DEP_1)
	v_add_nc_u32_e32 v103, v103, v104
	ds_store_b32 v102, v103
.LBB181_267:
	s_or_b32 exec_lo, exec_lo, s0
	v_mov_b32_e32 v102, 0
	s_mov_b32 s0, exec_lo
	s_waitcnt lgkmcnt(0)
	s_barrier
	buffer_gl0_inv
	v_cmpx_lt_u32_e32 31, v1
	s_cbranch_execz .LBB181_269
; %bb.268:
	v_lshl_add_u32 v101, v101, 2, -4
	ds_load_b32 v102, v101
.LBB181_269:
	s_or_b32 exec_lo, exec_lo, s0
	v_add_nc_u32_e32 v101, -1, v51
	s_mov_b32 s0, 0
	s_mov_b32 s3, exec_lo
	s_waitcnt lgkmcnt(0)
	v_add_nc_u32_e32 v34, v102, v34
	v_cmp_gt_i32_e32 vcc_lo, 0, v101
	v_cndmask_b32_e32 v101, v101, v51, vcc_lo
	v_cmp_eq_u32_e32 vcc_lo, 0, v51
	s_delay_alu instid0(VALU_DEP_2) | instskip(SKIP_4) | instid1(VALU_DEP_2)
	v_lshlrev_b32_e32 v101, 2, v101
	ds_bpermute_b32 v34, v101, v34
	s_waitcnt lgkmcnt(0)
	v_cndmask_b32_e32 v34, v34, v102, vcc_lo
	v_cmp_ne_u32_e32 vcc_lo, 0, v1
	v_cndmask_b32_e32 v34, 0, v34, vcc_lo
	s_delay_alu instid0(VALU_DEP_1) | instskip(NEXT) | instid1(VALU_DEP_1)
	v_add_nc_u32_e32 v8, v34, v8
	v_add_nc_u32_e32 v9, v8, v9
	s_delay_alu instid0(VALU_DEP_1) | instskip(NEXT) | instid1(VALU_DEP_1)
	v_add_nc_u32_e32 v6, v9, v6
	v_add_nc_u32_e32 v7, v6, v7
	;; [unrolled: 3-line block ×4, first 2 shown]
	ds_store_2addr_b32 v33, v34, v8 offset0:8 offset1:9
	ds_store_2addr_b32 v100, v9, v6 offset0:2 offset1:3
	;; [unrolled: 1-line block ×4, first 2 shown]
	ds_store_b32 v100, v3 offset:32
	v_mov_b32_e32 v2, 0x1600
	s_waitcnt lgkmcnt(0)
	s_barrier
	buffer_gl0_inv
	ds_load_b32 v4, v38 offset:32
	ds_load_b32 v5, v41 offset:32
	;; [unrolled: 1-line block ×23, first 2 shown]
	v_add_nc_u32_e32 v33, 1, v1
	s_delay_alu instid0(VALU_DEP_1)
	v_cmpx_ne_u32_e32 0x100, v33
	s_cbranch_execz .LBB181_271
; %bb.270:
	v_mul_u32_u24_e32 v2, 9, v33
	s_delay_alu instid0(VALU_DEP_1)
	v_lshlrev_b32_e32 v2, 2, v2
	ds_load_b32 v2, v2 offset:32
.LBB181_271:
	s_or_b32 exec_lo, exec_lo, s3
	s_waitcnt lgkmcnt(22)
	v_add3_u32 v60, v37, v36, v4
	s_waitcnt lgkmcnt(21)
	v_add3_u32 v57, v40, v39, v5
	v_lshl_add_u32 v4, s15, 8, v1
	v_mov_b32_e32 v5, 0
	s_waitcnt lgkmcnt(20)
	v_add3_u32 v54, v43, v42, v6
	s_waitcnt lgkmcnt(19)
	v_add3_u32 v50, v46, v45, v7
	s_waitcnt lgkmcnt(18)
	v_add3_u32 v49, v49, v48, v8
	s_waitcnt lgkmcnt(17)
	v_add3_u32 v48, v53, v52, v9
	v_lshlrev_b64 v[6:7], 2, v[4:5]
	s_waitcnt lgkmcnt(0)
	v_sub_nc_u32_e32 v52, v2, v3
	v_dual_mov_b32 v0, 0 :: v_dual_add_nc_u32 v63, v35, v0
	v_add3_u32 v47, v56, v55, v34
	v_add3_u32 v46, v59, v58, v38
	v_add_co_u32 v6, vcc_lo, s66, v6
	v_add3_u32 v45, v62, v61, v41
	v_add3_u32 v44, v65, v64, v44
	;; [unrolled: 1-line block ×13, first 2 shown]
	v_add_co_ci_u32_e32 v7, vcc_lo, s67, v7, vcc_lo
	v_or_b32_e32 v2, 2.0, v52
	s_barrier
	buffer_gl0_inv
	ds_store_b8 v63, v18 offset:2048
	ds_store_b8 v60, v19 offset:2048
	ds_store_b8 v57, v20 offset:2048
	ds_store_b8 v54, v21 offset:2048
	ds_store_b8 v50, v22 offset:2048
	ds_store_b8 v49, v23 offset:2048
	ds_store_b8 v48, v24 offset:2048
	ds_store_b8 v47, v25 offset:2048
	ds_store_b8 v46, v26 offset:2048
	ds_store_b8 v45, v27 offset:2048
	ds_store_b8 v44, v28 offset:2048
	ds_store_b8 v43, v29 offset:2048
	ds_store_b8 v42, v30 offset:2048
	ds_store_b8 v41, v31 offset:2048
	ds_store_b8 v40, v32 offset:2048
	ds_store_b8 v39, v14 offset:2048
	ds_store_b8 v38, v15 offset:2048
	ds_store_b8 v37, v16 offset:2048
	ds_store_b8 v36, v17 offset:2048
	ds_store_b8 v35, v11 offset:2048
	ds_store_b8 v34, v12 offset:2048
	ds_store_b8 v33, v13 offset:2048
	s_waitcnt lgkmcnt(0)
	s_barrier
	buffer_gl0_inv
	global_store_b32 v[6:7], v2, off
                                        ; implicit-def: $sgpr3
	s_branch .LBB181_274
	.p2align	6
.LBB181_272:                            ;   in Loop: Header=BB181_274 Depth=1
	s_or_b32 exec_lo, exec_lo, s4
.LBB181_273:                            ;   in Loop: Header=BB181_274 Depth=1
	s_delay_alu instid0(SALU_CYCLE_1) | instskip(SKIP_2) | instid1(VALU_DEP_2)
	s_or_b32 exec_lo, exec_lo, s3
	v_and_b32_e32 v4, 0x3fffffff, v4
	v_cmp_eq_u32_e64 s3, 0x80000000, v2
	v_add_nc_u32_e32 v0, v4, v0
	s_delay_alu instid0(VALU_DEP_2) | instskip(NEXT) | instid1(SALU_CYCLE_1)
	s_and_b32 s4, exec_lo, s3
	s_or_b32 s0, s4, s0
	s_delay_alu instid0(SALU_CYCLE_1)
	s_and_not1_b32 exec_lo, exec_lo, s0
	s_cbranch_execz .LBB181_279
.LBB181_274:                            ; =>This Loop Header: Depth=1
                                        ;     Child Loop BB181_277 Depth 2
	s_or_b32 s3, s3, exec_lo
	s_cmp_eq_u32 s63, 0
	s_cbranch_scc1 .LBB181_278
; %bb.275:                              ;   in Loop: Header=BB181_274 Depth=1
	s_add_i32 s63, s63, -1
	s_mov_b32 s3, exec_lo
	v_lshl_add_u32 v4, s63, 8, v1
	s_delay_alu instid0(VALU_DEP_1) | instskip(NEXT) | instid1(VALU_DEP_1)
	v_lshlrev_b64 v[8:9], 2, v[4:5]
	v_add_co_u32 v8, vcc_lo, s66, v8
	s_delay_alu instid0(VALU_DEP_2) | instskip(SKIP_3) | instid1(VALU_DEP_1)
	v_add_co_ci_u32_e32 v9, vcc_lo, s67, v9, vcc_lo
	global_load_b32 v4, v[8:9], off glc
	s_waitcnt vmcnt(0)
	v_and_b32_e32 v2, -2.0, v4
	v_cmpx_eq_u32_e32 0, v2
	s_cbranch_execz .LBB181_273
; %bb.276:                              ;   in Loop: Header=BB181_274 Depth=1
	s_mov_b32 s4, 0
.LBB181_277:                            ;   Parent Loop BB181_274 Depth=1
                                        ; =>  This Inner Loop Header: Depth=2
	global_load_b32 v4, v[8:9], off glc
	s_waitcnt vmcnt(0)
	v_and_b32_e32 v2, -2.0, v4
	s_delay_alu instid0(VALU_DEP_1) | instskip(SKIP_1) | instid1(SALU_CYCLE_1)
	v_cmp_ne_u32_e32 vcc_lo, 0, v2
	s_or_b32 s4, vcc_lo, s4
	s_and_not1_b32 exec_lo, exec_lo, s4
	s_cbranch_execnz .LBB181_277
	s_branch .LBB181_272
.LBB181_278:                            ;   in Loop: Header=BB181_274 Depth=1
                                        ; implicit-def: $sgpr63
	s_and_b32 s4, exec_lo, s3
	s_delay_alu instid0(SALU_CYCLE_1) | instskip(NEXT) | instid1(SALU_CYCLE_1)
	s_or_b32 s0, s4, s0
	s_and_not1_b32 exec_lo, exec_lo, s0
	s_cbranch_execnz .LBB181_274
.LBB181_279:
	s_or_b32 exec_lo, exec_lo, s0
	v_add_nc_u32_e32 v2, v0, v52
	v_lshlrev_b32_e32 v53, 3, v1
	v_lshlrev_b32_e32 v14, 3, v51
	v_sub_co_u32 v11, s0, v0, v3
	s_delay_alu instid0(VALU_DEP_4)
	v_or_b32_e32 v2, 0x80000000, v2
	s_lshl_b64 s[4:5], s[64:65], 3
	v_sub_co_ci_u32_e64 v12, null, 0, 0, s0
	s_add_u32 s0, s52, s4
	global_store_b32 v[6:7], v2, off
	v_mov_b32_e32 v2, 0
	global_load_b64 v[5:6], v53, s[56:57]
	v_lshlrev_b32_e32 v51, 3, v10
	v_lshlrev_b32_e32 v32, 3, v45
	s_addc_u32 s3, s53, s5
	v_add_co_u32 v45, s0, s0, v14
	v_lshlrev_b32_e32 v31, 3, v46
	v_add_co_ci_u32_e64 v46, null, s3, 0, s0
	s_delay_alu instid0(VALU_DEP_3) | instskip(SKIP_1) | instid1(VALU_DEP_3)
	v_add_co_u32 v45, vcc_lo, v45, v51
	v_lshlrev_b32_e32 v22, 3, v63
	v_add_co_ci_u32_e32 v46, vcc_lo, 0, v46, vcc_lo
	v_lshlrev_b32_e32 v23, 3, v60
	v_lshlrev_b32_e32 v24, 3, v57
	v_lshlrev_b32_e32 v25, 3, v54
	v_lshlrev_b32_e32 v26, 3, v50
	v_lshlrev_b32_e32 v27, 3, v49
	v_lshlrev_b32_e32 v28, 3, v48
	v_lshlrev_b32_e32 v29, 3, v47
	v_or_b32_e32 v8, 0x1000, v1
	v_dual_mov_b32 v4, v2 :: v_dual_add_nc_u32 v9, 0x1100, v1
	v_add_nc_u32_e32 v13, 0x1200, v1
	v_add_nc_u32_e32 v15, 0x1300, v1
	s_delay_alu instid0(VALU_DEP_4) | instskip(NEXT) | instid1(VALU_DEP_4)
	v_lshlrev_b32_e32 v137, 3, v8
	v_lshlrev_b32_e32 v138, 3, v9
	v_or_b32_e32 v0, 0x1400, v1
	v_add_nc_u32_e32 v7, 0x1500, v1
	v_lshlrev_b32_e32 v44, 3, v44
	v_lshlrev_b32_e32 v43, 3, v43
	;; [unrolled: 1-line block ×14, first 2 shown]
	v_add_nc_u32_e32 v10, 0x1000, v53
	v_add_nc_u32_e32 v14, 0x1800, v53
	v_or_b32_e32 v16, 0x2000, v53
	v_add_nc_u32_e32 v17, 0x2800, v53
	v_add_nc_u32_e32 v18, 0x3000, v53
	v_add_nc_u32_e32 v19, 0x3800, v53
	v_or_b32_e32 v20, 0x4000, v53
	v_add_nc_u32_e32 v21, 0x4800, v53
	;; [unrolled: 4-line block ×3, first 2 shown]
	v_add_nc_u32_e32 v135, 0x7000, v53
	v_add_nc_u32_e32 v136, 0x7800, v53
	s_add_i32 s2, s2, -1
	s_delay_alu instid0(SALU_CYCLE_1)
	s_cmp_eq_u32 s15, s2
	s_cselect_b32 s2, -1, 0
	s_waitcnt vmcnt(0)
	v_add_co_u32 v5, vcc_lo, v11, v5
	v_add_co_ci_u32_e32 v6, vcc_lo, v12, v6, vcc_lo
	v_add_co_u32 v11, vcc_lo, 0x1000, v45
	v_add_co_ci_u32_e32 v12, vcc_lo, 0, v46, vcc_lo
	ds_store_b64 v53, v[5:6]
	s_waitcnt lgkmcnt(0)
	s_waitcnt_vscnt null, 0x0
	s_barrier
	buffer_gl0_inv
	ds_load_u8 v51, v1 offset:2048
	ds_load_u8 v141, v1 offset:2304
	ds_load_u8 v142, v1 offset:2560
	ds_load_u8 v143, v1 offset:2816
	ds_load_u8 v144, v1 offset:3072
	ds_load_u8 v145, v1 offset:3328
	ds_load_u8 v146, v1 offset:3584
	ds_load_u8 v147, v1 offset:3840
	ds_load_u8 v148, v1 offset:4096
	ds_load_u8 v149, v1 offset:4352
	ds_load_u8 v150, v1 offset:4608
	ds_load_u8 v151, v1 offset:4864
	ds_load_u8 v152, v1 offset:5120
	ds_load_u8 v153, v1 offset:5376
	ds_load_u8 v154, v1 offset:5632
	ds_load_u8 v155, v1 offset:5888
	ds_load_u8 v156, v1 offset:6144
	ds_load_u8 v157, v1 offset:6400
	ds_load_u8 v158, v1 offset:6656
	ds_load_u8 v159, v1 offset:6912
	ds_load_u8 v160, v1 offset:7168
	ds_load_u8 v161, v1 offset:7424
	s_clause 0x15
	global_load_b64 v[5:6], v[45:46], off
	global_load_b64 v[47:48], v[45:46], off offset:256
	global_load_b64 v[49:50], v[45:46], off offset:512
	;; [unrolled: 1-line block ×15, first 2 shown]
	global_load_b64 v[78:79], v[11:12], off
	global_load_b64 v[80:81], v[11:12], off offset:256
	global_load_b64 v[82:83], v[11:12], off offset:512
	;; [unrolled: 1-line block ×5, first 2 shown]
	s_waitcnt lgkmcnt(21)
	v_and_b32_e32 v88, 1, v51
	s_waitcnt lgkmcnt(20)
	v_and_b32_e32 v89, 1, v141
	;; [unrolled: 2-line block ×22, first 2 shown]
	v_lshrrev_b32_e32 v88, s60, v88
	v_lshrrev_b32_e32 v89, s60, v89
	;; [unrolled: 1-line block ×22, first 2 shown]
	v_and_b32_e32 v88, s1, v88
	v_and_b32_e32 v89, s1, v89
	;; [unrolled: 1-line block ×22, first 2 shown]
	v_lshlrev_b32_e32 v162, 3, v88
	v_lshlrev_b32_e32 v163, 3, v89
	;; [unrolled: 1-line block ×22, first 2 shown]
	ds_load_b64 v[88:89], v162
	ds_load_b64 v[90:91], v163
	;; [unrolled: 1-line block ×22, first 2 shown]
	s_waitcnt lgkmcnt(21)
	v_add_co_u32 v88, vcc_lo, s50, v88
	v_add_co_ci_u32_e32 v89, vcc_lo, s51, v89, vcc_lo
	s_waitcnt lgkmcnt(20)
	v_add_co_u32 v90, vcc_lo, s50, v90
	v_add_co_ci_u32_e32 v91, vcc_lo, s51, v91, vcc_lo
	;; [unrolled: 3-line block ×22, first 2 shown]
	v_add_co_u32 v88, vcc_lo, v88, v1
	v_add_co_ci_u32_e32 v89, vcc_lo, 0, v89, vcc_lo
	v_add_co_u32 v90, vcc_lo, v90, v1
	v_add_co_ci_u32_e32 v91, vcc_lo, 0, v91, vcc_lo
	;; [unrolled: 2-line block ×22, first 2 shown]
	s_clause 0x15
	global_store_b8 v[88:89], v51, off
	global_store_b8 v[90:91], v141, off offset:256
	global_store_b8 v[92:93], v142, off offset:512
	;; [unrolled: 1-line block ×15, first 2 shown]
	global_store_b8 v[120:121], v156, off
	global_store_b8 v[8:9], v157, off
	;; [unrolled: 1-line block ×6, first 2 shown]
	s_waitcnt vmcnt(0)
	s_waitcnt_vscnt null, 0x0
	s_barrier
	buffer_gl0_inv
	v_lshlrev_b32_e32 v0, 3, v0
	v_lshlrev_b32_e32 v7, 3, v7
	ds_store_b64 v22, v[5:6] offset:2048
	ds_store_b64 v23, v[47:48] offset:2048
	;; [unrolled: 1-line block ×22, first 2 shown]
	s_waitcnt lgkmcnt(0)
	s_barrier
	buffer_gl0_inv
	ds_load_2addr_stride64_b64 v[22:25], v53 offset0:4 offset1:8
	ds_load_2addr_stride64_b64 v[26:29], v53 offset0:12 offset1:16
	ds_load_b64 v[5:6], v162
	ds_load_b64 v[8:9], v163
	ds_load_b64 v[11:12], v164
	ds_load_b64 v[31:32], v165
	ds_load_2addr_stride64_b64 v[34:37], v53 offset0:20 offset1:24
	ds_load_2addr_stride64_b64 v[38:41], v53 offset0:28 offset1:32
	ds_load_b64 v[50:51], v166
	ds_load_b64 v[70:71], v167
	ds_load_b64 v[72:73], v168
	ds_load_b64 v[74:75], v169
	;; [unrolled: 6-line block ×5, first 2 shown]
	ds_load_b64 v[100:101], v182
	ds_load_b64 v[102:103], v183
	s_waitcnt lgkmcnt(29)
	v_lshlrev_b64 v[5:6], 3, v[5:6]
	s_waitcnt lgkmcnt(28)
	v_lshlrev_b64 v[8:9], 3, v[8:9]
	;; [unrolled: 2-line block ×6, first 2 shown]
	v_add_co_u32 v5, vcc_lo, s54, v5
	v_add_co_ci_u32_e32 v6, vcc_lo, s55, v6, vcc_lo
	v_add_co_u32 v8, vcc_lo, s54, v8
	v_add_co_ci_u32_e32 v9, vcc_lo, s55, v9, vcc_lo
	;; [unrolled: 2-line block ×4, first 2 shown]
	s_waitcnt lgkmcnt(21)
	v_lshlrev_b64 v[72:73], 3, v[72:73]
	v_add_co_u32 v31, vcc_lo, s54, v50
	v_add_co_ci_u32_e32 v32, vcc_lo, s55, v51, vcc_lo
	s_waitcnt lgkmcnt(20)
	v_lshlrev_b64 v[74:75], 3, v[74:75]
	v_add_co_u32 v50, vcc_lo, s54, v70
	v_add_co_ci_u32_e32 v51, vcc_lo, s55, v71, vcc_lo
	;; [unrolled: 4-line block ×14, first 2 shown]
	v_add_co_u32 v94, vcc_lo, s54, v96
	v_add_co_ci_u32_e32 v95, vcc_lo, s55, v97, vcc_lo
	v_add_co_u32 v96, vcc_lo, s54, v98
	v_add_co_ci_u32_e32 v97, vcc_lo, s55, v99, vcc_lo
	;; [unrolled: 2-line block ×20, first 2 shown]
	v_add_co_u32 v86, vcc_lo, v94, v139
	s_waitcnt lgkmcnt(1)
	v_lshlrev_b64 v[100:101], 3, v[100:101]
	v_add_co_ci_u32_e32 v87, vcc_lo, 0, v95, vcc_lo
	s_clause 0x12
	global_store_b64 v[5:6], v[22:23], off
	global_store_b64 v[8:9], v[24:25], off offset:2048
	global_store_b64 v[10:11], v[26:27], off
	global_store_b64 v[12:13], v[28:29], off
	;; [unrolled: 1-line block ×17, first 2 shown]
	ds_load_2addr_stride64_b64 v[8:11], v53 offset0:84 offset1:88
	v_add_co_u32 v5, vcc_lo, v96, v140
	s_waitcnt lgkmcnt(1)
	v_lshlrev_b64 v[12:13], 3, v[102:103]
	v_add_co_ci_u32_e32 v6, vcc_lo, 0, v97, vcc_lo
	v_add_co_u32 v14, vcc_lo, s54, v100
	v_add_co_ci_u32_e32 v15, vcc_lo, s55, v101, vcc_lo
	s_delay_alu instid0(VALU_DEP_4) | instskip(SKIP_1) | instid1(VALU_DEP_4)
	v_add_co_u32 v16, vcc_lo, s54, v12
	v_add_co_ci_u32_e32 v17, vcc_lo, s55, v13, vcc_lo
	v_add_co_u32 v12, vcc_lo, v14, v0
	s_delay_alu instid0(VALU_DEP_4) | instskip(NEXT) | instid1(VALU_DEP_4)
	v_add_co_ci_u32_e32 v13, vcc_lo, 0, v15, vcc_lo
	v_add_co_u32 v14, vcc_lo, v16, v7
	s_delay_alu instid0(VALU_DEP_4)
	v_add_co_ci_u32_e32 v15, vcc_lo, 0, v17, vcc_lo
	global_store_b64 v[5:6], v[68:69], off
	s_waitcnt lgkmcnt(0)
	s_clause 0x1
	global_store_b64 v[12:13], v[8:9], off
	global_store_b64 v[14:15], v[10:11], off
.LBB181_280:
	s_and_b32 vcc_lo, exec_lo, s2
	s_cbranch_vccnz .LBB181_282
; %bb.281:
	s_nop 0
	s_sendmsg sendmsg(MSG_DEALLOC_VGPRS)
	s_endpgm
.LBB181_282:
	ds_load_b64 v[5:6], v53
	v_lshlrev_b64 v[0:1], 3, v[1:2]
	v_add_co_u32 v2, vcc_lo, v3, v52
	v_add_co_ci_u32_e32 v3, vcc_lo, 0, v4, vcc_lo
	s_delay_alu instid0(VALU_DEP_3) | instskip(NEXT) | instid1(VALU_DEP_4)
	v_add_co_u32 v0, vcc_lo, s58, v0
	v_add_co_ci_u32_e32 v1, vcc_lo, s59, v1, vcc_lo
	s_waitcnt lgkmcnt(0)
	v_add_co_u32 v2, vcc_lo, v2, v5
	v_add_co_ci_u32_e32 v3, vcc_lo, v3, v6, vcc_lo
	global_store_b64 v[0:1], v[2:3], off
	s_nop 0
	s_sendmsg sendmsg(MSG_DEALLOC_VGPRS)
	s_endpgm
.LBB181_283:
	global_load_b64 v[5:6], v[49:50], off
	s_or_b32 exec_lo, exec_lo, s47
                                        ; implicit-def: $vgpr7_vgpr8
	s_and_saveexec_b32 s47, s2
	s_cbranch_execz .LBB181_151
.LBB181_284:
	global_load_b64 v[7:8], v[49:50], off offset:256
	s_or_b32 exec_lo, exec_lo, s47
                                        ; implicit-def: $vgpr9_vgpr10
	s_and_saveexec_b32 s2, s3
	s_cbranch_execz .LBB181_152
.LBB181_285:
	global_load_b64 v[9:10], v[49:50], off offset:512
	s_or_b32 exec_lo, exec_lo, s2
                                        ; implicit-def: $vgpr11_vgpr12
	s_and_saveexec_b32 s2, s4
	s_cbranch_execz .LBB181_153
.LBB181_286:
	global_load_b64 v[11:12], v[49:50], off offset:768
	s_or_b32 exec_lo, exec_lo, s2
                                        ; implicit-def: $vgpr13_vgpr14
	s_and_saveexec_b32 s2, s5
	s_cbranch_execz .LBB181_154
.LBB181_287:
	global_load_b64 v[13:14], v[49:50], off offset:1024
	s_or_b32 exec_lo, exec_lo, s2
                                        ; implicit-def: $vgpr15_vgpr16
	s_and_saveexec_b32 s2, s6
	s_cbranch_execz .LBB181_155
.LBB181_288:
	global_load_b64 v[15:16], v[49:50], off offset:1280
	s_or_b32 exec_lo, exec_lo, s2
                                        ; implicit-def: $vgpr17_vgpr18
	s_and_saveexec_b32 s2, s7
	s_cbranch_execz .LBB181_156
.LBB181_289:
	global_load_b64 v[17:18], v[49:50], off offset:1536
	s_or_b32 exec_lo, exec_lo, s2
                                        ; implicit-def: $vgpr19_vgpr20
	s_and_saveexec_b32 s2, s8
	s_cbranch_execz .LBB181_157
.LBB181_290:
	global_load_b64 v[19:20], v[49:50], off offset:1792
	s_or_b32 exec_lo, exec_lo, s2
                                        ; implicit-def: $vgpr21_vgpr22
	s_and_saveexec_b32 s2, s9
	s_cbranch_execz .LBB181_158
.LBB181_291:
	global_load_b64 v[21:22], v[49:50], off offset:2048
	s_or_b32 exec_lo, exec_lo, s2
                                        ; implicit-def: $vgpr23_vgpr24
	s_and_saveexec_b32 s2, s10
	s_cbranch_execz .LBB181_159
.LBB181_292:
	global_load_b64 v[23:24], v[49:50], off offset:2304
	s_or_b32 exec_lo, exec_lo, s2
                                        ; implicit-def: $vgpr25_vgpr26
	s_and_saveexec_b32 s2, s11
	s_cbranch_execz .LBB181_160
.LBB181_293:
	global_load_b64 v[25:26], v[49:50], off offset:2560
	s_or_b32 exec_lo, exec_lo, s2
                                        ; implicit-def: $vgpr27_vgpr28
	s_and_saveexec_b32 s2, s12
	s_cbranch_execz .LBB181_161
.LBB181_294:
	global_load_b64 v[27:28], v[49:50], off offset:2816
	s_or_b32 exec_lo, exec_lo, s2
                                        ; implicit-def: $vgpr29_vgpr30
	s_and_saveexec_b32 s2, s13
	s_cbranch_execz .LBB181_162
.LBB181_295:
	global_load_b64 v[29:30], v[49:50], off offset:3072
	s_or_b32 exec_lo, exec_lo, s2
                                        ; implicit-def: $vgpr31_vgpr32
	s_and_saveexec_b32 s2, s14
	s_cbranch_execz .LBB181_163
.LBB181_296:
	global_load_b64 v[31:32], v[49:50], off offset:3328
	s_or_b32 exec_lo, exec_lo, s2
                                        ; implicit-def: $vgpr33_vgpr34
	s_and_saveexec_b32 s2, s16
	s_cbranch_execz .LBB181_164
.LBB181_297:
	global_load_b64 v[33:34], v[49:50], off offset:3584
	s_or_b32 exec_lo, exec_lo, s2
                                        ; implicit-def: $vgpr35_vgpr36
	s_and_saveexec_b32 s2, s18
	s_cbranch_execz .LBB181_165
.LBB181_298:
	global_load_b64 v[35:36], v[49:50], off offset:3840
	s_or_b32 exec_lo, exec_lo, s2
                                        ; implicit-def: $vgpr37_vgpr38
	s_and_saveexec_b32 s2, s23
	s_cbranch_execz .LBB181_166
.LBB181_299:
	v_add_co_u32 v37, vcc_lo, 0x1000, v49
	v_add_co_ci_u32_e32 v38, vcc_lo, 0, v50, vcc_lo
	global_load_b64 v[37:38], v[37:38], off
	s_or_b32 exec_lo, exec_lo, s2
                                        ; implicit-def: $vgpr39_vgpr40
	s_and_saveexec_b32 s2, s21
	s_cbranch_execz .LBB181_167
.LBB181_300:
	v_add_co_u32 v39, vcc_lo, 0x1000, v49
	v_add_co_ci_u32_e32 v40, vcc_lo, 0, v50, vcc_lo
	global_load_b64 v[39:40], v[39:40], off offset:256
	s_or_b32 exec_lo, exec_lo, s2
                                        ; implicit-def: $vgpr41_vgpr42
	s_and_saveexec_b32 s2, s22
	s_cbranch_execz .LBB181_168
.LBB181_301:
	v_add_co_u32 v41, vcc_lo, 0x1000, v49
	v_add_co_ci_u32_e32 v42, vcc_lo, 0, v50, vcc_lo
	global_load_b64 v[41:42], v[41:42], off offset:512
	s_or_b32 exec_lo, exec_lo, s2
                                        ; implicit-def: $vgpr43_vgpr44
	s_and_saveexec_b32 s2, s19
	s_cbranch_execz .LBB181_169
.LBB181_302:
	v_add_co_u32 v43, vcc_lo, 0x1000, v49
	v_add_co_ci_u32_e32 v44, vcc_lo, 0, v50, vcc_lo
	global_load_b64 v[43:44], v[43:44], off offset:768
	s_or_b32 exec_lo, exec_lo, s2
                                        ; implicit-def: $vgpr45_vgpr46
	s_and_saveexec_b32 s2, s20
	s_cbranch_execz .LBB181_170
.LBB181_303:
	v_add_co_u32 v45, vcc_lo, 0x1000, v49
	v_add_co_ci_u32_e32 v46, vcc_lo, 0, v50, vcc_lo
	global_load_b64 v[45:46], v[45:46], off offset:1024
	s_or_b32 exec_lo, exec_lo, s2
                                        ; implicit-def: $vgpr47_vgpr48
	s_and_saveexec_b32 s2, s17
	s_cbranch_execz .LBB181_171
.LBB181_304:
	v_add_co_u32 v47, vcc_lo, 0x1000, v49
	v_add_co_ci_u32_e32 v48, vcc_lo, 0, v50, vcc_lo
	global_load_b64 v[47:48], v[47:48], off offset:1280
	s_or_b32 exec_lo, exec_lo, s2
                                        ; implicit-def: $vgpr115
	s_and_saveexec_b32 s2, s40
	s_cbranch_execz .LBB181_172
.LBB181_305:
	ds_load_u8 v49, v1 offset:2048
	s_waitcnt lgkmcnt(0)
	v_lshrrev_b32_e32 v49, s60, v49
	s_delay_alu instid0(VALU_DEP_1)
	v_and_b32_e32 v115, s68, v49
	s_or_b32 exec_lo, exec_lo, s2
                                        ; implicit-def: $vgpr114
	s_and_saveexec_b32 s2, s45
	s_cbranch_execz .LBB181_173
.LBB181_306:
	ds_load_u8 v49, v1 offset:2304
	s_waitcnt lgkmcnt(0)
	v_lshrrev_b32_e32 v49, s60, v49
	s_delay_alu instid0(VALU_DEP_1)
	v_and_b32_e32 v114, s68, v49
	s_or_b32 exec_lo, exec_lo, s2
                                        ; implicit-def: $vgpr113
	s_and_saveexec_b32 s2, s46
	s_cbranch_execz .LBB181_174
.LBB181_307:
	ds_load_u8 v49, v1 offset:2560
	s_waitcnt lgkmcnt(0)
	v_lshrrev_b32_e32 v49, s60, v49
	s_delay_alu instid0(VALU_DEP_1)
	v_and_b32_e32 v113, s68, v49
	s_or_b32 exec_lo, exec_lo, s2
                                        ; implicit-def: $vgpr112
	s_and_saveexec_b32 s2, s44
	s_cbranch_execz .LBB181_175
.LBB181_308:
	ds_load_u8 v49, v1 offset:2816
	s_waitcnt lgkmcnt(0)
	v_lshrrev_b32_e32 v49, s60, v49
	s_delay_alu instid0(VALU_DEP_1)
	v_and_b32_e32 v112, s68, v49
	s_or_b32 exec_lo, exec_lo, s2
                                        ; implicit-def: $vgpr111
	s_and_saveexec_b32 s2, s43
	s_cbranch_execz .LBB181_176
.LBB181_309:
	ds_load_u8 v49, v1 offset:3072
	s_waitcnt lgkmcnt(0)
	v_lshrrev_b32_e32 v49, s60, v49
	s_delay_alu instid0(VALU_DEP_1)
	v_and_b32_e32 v111, s68, v49
	s_or_b32 exec_lo, exec_lo, s2
                                        ; implicit-def: $vgpr110
	s_and_saveexec_b32 s2, s42
	s_cbranch_execz .LBB181_177
.LBB181_310:
	ds_load_u8 v49, v1 offset:3328
	s_waitcnt lgkmcnt(0)
	v_lshrrev_b32_e32 v49, s60, v49
	s_delay_alu instid0(VALU_DEP_1)
	v_and_b32_e32 v110, s68, v49
	s_or_b32 exec_lo, exec_lo, s2
                                        ; implicit-def: $vgpr109
	s_and_saveexec_b32 s2, s41
	s_cbranch_execz .LBB181_178
.LBB181_311:
	ds_load_u8 v49, v1 offset:3584
	s_waitcnt lgkmcnt(0)
	v_lshrrev_b32_e32 v49, s60, v49
	s_delay_alu instid0(VALU_DEP_1)
	v_and_b32_e32 v109, s68, v49
	s_or_b32 exec_lo, exec_lo, s2
                                        ; implicit-def: $vgpr108
	s_and_saveexec_b32 s2, s39
	s_cbranch_execz .LBB181_179
.LBB181_312:
	ds_load_u8 v49, v1 offset:3840
	s_waitcnt lgkmcnt(0)
	v_lshrrev_b32_e32 v49, s60, v49
	s_delay_alu instid0(VALU_DEP_1)
	v_and_b32_e32 v108, s68, v49
	s_or_b32 exec_lo, exec_lo, s2
                                        ; implicit-def: $vgpr107
	s_and_saveexec_b32 s2, s38
	s_cbranch_execz .LBB181_180
.LBB181_313:
	ds_load_u8 v49, v1 offset:4096
	s_waitcnt lgkmcnt(0)
	v_lshrrev_b32_e32 v49, s60, v49
	s_delay_alu instid0(VALU_DEP_1)
	v_and_b32_e32 v107, s68, v49
	s_or_b32 exec_lo, exec_lo, s2
                                        ; implicit-def: $vgpr106
	s_and_saveexec_b32 s2, s37
	s_cbranch_execz .LBB181_181
.LBB181_314:
	ds_load_u8 v49, v1 offset:4352
	s_waitcnt lgkmcnt(0)
	v_lshrrev_b32_e32 v49, s60, v49
	s_delay_alu instid0(VALU_DEP_1)
	v_and_b32_e32 v106, s68, v49
	s_or_b32 exec_lo, exec_lo, s2
                                        ; implicit-def: $vgpr105
	s_and_saveexec_b32 s2, s36
	s_cbranch_execz .LBB181_182
.LBB181_315:
	ds_load_u8 v49, v1 offset:4608
	s_waitcnt lgkmcnt(0)
	v_lshrrev_b32_e32 v49, s60, v49
	s_delay_alu instid0(VALU_DEP_1)
	v_and_b32_e32 v105, s68, v49
	s_or_b32 exec_lo, exec_lo, s2
                                        ; implicit-def: $vgpr104
	s_and_saveexec_b32 s2, s35
	s_cbranch_execz .LBB181_183
.LBB181_316:
	ds_load_u8 v49, v1 offset:4864
	s_waitcnt lgkmcnt(0)
	v_lshrrev_b32_e32 v49, s60, v49
	s_delay_alu instid0(VALU_DEP_1)
	v_and_b32_e32 v104, s68, v49
	s_or_b32 exec_lo, exec_lo, s2
                                        ; implicit-def: $vgpr103
	s_and_saveexec_b32 s2, s34
	s_cbranch_execz .LBB181_184
.LBB181_317:
	ds_load_u8 v49, v1 offset:5120
	s_waitcnt lgkmcnt(0)
	v_lshrrev_b32_e32 v49, s60, v49
	s_delay_alu instid0(VALU_DEP_1)
	v_and_b32_e32 v103, s68, v49
	s_or_b32 exec_lo, exec_lo, s2
                                        ; implicit-def: $vgpr102
	s_and_saveexec_b32 s2, s33
	s_cbranch_execz .LBB181_185
.LBB181_318:
	ds_load_u8 v49, v1 offset:5376
	s_waitcnt lgkmcnt(0)
	v_lshrrev_b32_e32 v49, s60, v49
	s_delay_alu instid0(VALU_DEP_1)
	v_and_b32_e32 v102, s68, v49
	s_or_b32 exec_lo, exec_lo, s2
                                        ; implicit-def: $vgpr101
	s_and_saveexec_b32 s2, s31
	s_cbranch_execz .LBB181_186
.LBB181_319:
	ds_load_u8 v49, v1 offset:5632
	s_waitcnt lgkmcnt(0)
	v_lshrrev_b32_e32 v49, s60, v49
	s_delay_alu instid0(VALU_DEP_1)
	v_and_b32_e32 v101, s68, v49
	s_or_b32 exec_lo, exec_lo, s2
                                        ; implicit-def: $vgpr100
	s_and_saveexec_b32 s2, s30
	s_cbranch_execz .LBB181_187
.LBB181_320:
	ds_load_u8 v49, v1 offset:5888
	s_waitcnt lgkmcnt(0)
	v_lshrrev_b32_e32 v49, s60, v49
	s_delay_alu instid0(VALU_DEP_1)
	v_and_b32_e32 v100, s68, v49
	s_or_b32 exec_lo, exec_lo, s2
                                        ; implicit-def: $vgpr99
	s_and_saveexec_b32 s2, s29
	s_cbranch_execz .LBB181_188
.LBB181_321:
	ds_load_u8 v49, v1 offset:6144
	s_waitcnt lgkmcnt(0)
	v_lshrrev_b32_e32 v49, s60, v49
	s_delay_alu instid0(VALU_DEP_1)
	v_and_b32_e32 v99, s68, v49
	s_or_b32 exec_lo, exec_lo, s2
                                        ; implicit-def: $vgpr98
	s_and_saveexec_b32 s2, s28
	s_cbranch_execz .LBB181_189
.LBB181_322:
	ds_load_u8 v49, v1 offset:6400
	s_waitcnt lgkmcnt(0)
	v_lshrrev_b32_e32 v49, s60, v49
	s_delay_alu instid0(VALU_DEP_1)
	v_and_b32_e32 v98, s68, v49
	s_or_b32 exec_lo, exec_lo, s2
                                        ; implicit-def: $vgpr97
	s_and_saveexec_b32 s2, s27
	s_cbranch_execz .LBB181_190
.LBB181_323:
	ds_load_u8 v49, v1 offset:6656
	s_waitcnt lgkmcnt(0)
	v_lshrrev_b32_e32 v49, s60, v49
	s_delay_alu instid0(VALU_DEP_1)
	v_and_b32_e32 v97, s68, v49
	s_or_b32 exec_lo, exec_lo, s2
                                        ; implicit-def: $vgpr96
	s_and_saveexec_b32 s2, s26
	s_cbranch_execz .LBB181_191
.LBB181_324:
	ds_load_u8 v49, v1 offset:6912
	s_waitcnt lgkmcnt(0)
	v_lshrrev_b32_e32 v49, s60, v49
	s_delay_alu instid0(VALU_DEP_1)
	v_and_b32_e32 v96, s68, v49
	s_or_b32 exec_lo, exec_lo, s2
                                        ; implicit-def: $vgpr50
	s_and_saveexec_b32 s2, s25
	s_cbranch_execz .LBB181_192
.LBB181_325:
	ds_load_u8 v49, v1 offset:7168
	s_waitcnt lgkmcnt(0)
	v_lshrrev_b32_e32 v49, s60, v49
	s_delay_alu instid0(VALU_DEP_1)
	v_and_b32_e32 v50, s68, v49
	s_or_b32 exec_lo, exec_lo, s2
                                        ; implicit-def: $vgpr49
	s_and_saveexec_b32 s2, s24
	s_cbranch_execnz .LBB181_193
	s_branch .LBB181_194
.LBB181_326:
	v_lshlrev_b32_e32 v5, 3, v115
	ds_load_b64 v[5:6], v5
	ds_load_b64 v[7:8], v53 offset:2048
	s_waitcnt lgkmcnt(1)
	v_lshlrev_b64 v[5:6], 3, v[5:6]
	s_delay_alu instid0(VALU_DEP_1) | instskip(NEXT) | instid1(VALU_DEP_2)
	v_add_co_u32 v5, vcc_lo, s54, v5
	v_add_co_ci_u32_e32 v6, vcc_lo, s55, v6, vcc_lo
	s_delay_alu instid0(VALU_DEP_2) | instskip(NEXT) | instid1(VALU_DEP_2)
	v_add_co_u32 v5, vcc_lo, v5, v53
	v_add_co_ci_u32_e32 v6, vcc_lo, 0, v6, vcc_lo
	s_waitcnt lgkmcnt(0)
	global_store_b64 v[5:6], v[7:8], off
	s_or_b32 exec_lo, exec_lo, s2
	s_and_saveexec_b32 s2, s45
	s_cbranch_execz .LBB181_196
.LBB181_327:
	v_lshlrev_b32_e32 v5, 3, v114
	v_lshlrev_b32_e32 v9, 3, v1
	ds_load_b64 v[5:6], v5
	ds_load_b64 v[7:8], v9 offset:4096
	s_waitcnt lgkmcnt(1)
	v_lshlrev_b64 v[5:6], 3, v[5:6]
	s_delay_alu instid0(VALU_DEP_1) | instskip(NEXT) | instid1(VALU_DEP_2)
	v_add_co_u32 v5, vcc_lo, s54, v5
	v_add_co_ci_u32_e32 v6, vcc_lo, s55, v6, vcc_lo
	s_delay_alu instid0(VALU_DEP_2) | instskip(NEXT) | instid1(VALU_DEP_2)
	v_add_co_u32 v5, vcc_lo, v5, v9
	v_add_co_ci_u32_e32 v6, vcc_lo, 0, v6, vcc_lo
	s_waitcnt lgkmcnt(0)
	global_store_b64 v[5:6], v[7:8], off offset:2048
	s_or_b32 exec_lo, exec_lo, s2
	s_and_saveexec_b32 s2, s46
	s_cbranch_execz .LBB181_197
.LBB181_328:
	v_lshlrev_b32_e32 v5, 3, v113
	v_lshlrev_b32_e32 v7, 3, v1
	;; [unrolled: 1-line block ×3, first 2 shown]
	ds_load_b64 v[5:6], v5
	ds_load_b64 v[7:8], v7 offset:6144
	s_waitcnt lgkmcnt(1)
	v_lshlrev_b64 v[5:6], 3, v[5:6]
	s_delay_alu instid0(VALU_DEP_1) | instskip(NEXT) | instid1(VALU_DEP_2)
	v_add_co_u32 v5, vcc_lo, s54, v5
	v_add_co_ci_u32_e32 v6, vcc_lo, s55, v6, vcc_lo
	s_delay_alu instid0(VALU_DEP_2) | instskip(NEXT) | instid1(VALU_DEP_2)
	v_add_co_u32 v5, vcc_lo, v5, v9
	v_add_co_ci_u32_e32 v6, vcc_lo, 0, v6, vcc_lo
	s_waitcnt lgkmcnt(0)
	global_store_b64 v[5:6], v[7:8], off
	s_or_b32 exec_lo, exec_lo, s2
	s_and_saveexec_b32 s2, s44
	s_cbranch_execz .LBB181_198
.LBB181_329:
	v_lshlrev_b32_e32 v5, 3, v112
	v_lshlrev_b32_e32 v7, 3, v1
	;; [unrolled: 1-line block ×3, first 2 shown]
	ds_load_b64 v[5:6], v5
	ds_load_b64 v[7:8], v7 offset:8192
	s_waitcnt lgkmcnt(1)
	v_lshlrev_b64 v[5:6], 3, v[5:6]
	s_delay_alu instid0(VALU_DEP_1) | instskip(NEXT) | instid1(VALU_DEP_2)
	v_add_co_u32 v5, vcc_lo, s54, v5
	v_add_co_ci_u32_e32 v6, vcc_lo, s55, v6, vcc_lo
	s_delay_alu instid0(VALU_DEP_2) | instskip(NEXT) | instid1(VALU_DEP_2)
	v_add_co_u32 v5, vcc_lo, v5, v9
	v_add_co_ci_u32_e32 v6, vcc_lo, 0, v6, vcc_lo
	s_waitcnt lgkmcnt(0)
	global_store_b64 v[5:6], v[7:8], off
	s_or_b32 exec_lo, exec_lo, s2
	s_and_saveexec_b32 s2, s43
	s_cbranch_execz .LBB181_199
.LBB181_330:
	v_lshlrev_b32_e32 v5, 3, v111
	v_lshlrev_b32_e32 v7, 3, v1
	;; [unrolled: 1-line block ×3, first 2 shown]
	ds_load_b64 v[5:6], v5
	ds_load_b64 v[7:8], v7 offset:10240
	s_waitcnt lgkmcnt(1)
	v_lshlrev_b64 v[5:6], 3, v[5:6]
	s_delay_alu instid0(VALU_DEP_1) | instskip(NEXT) | instid1(VALU_DEP_2)
	v_add_co_u32 v5, vcc_lo, s54, v5
	v_add_co_ci_u32_e32 v6, vcc_lo, s55, v6, vcc_lo
	s_delay_alu instid0(VALU_DEP_2) | instskip(NEXT) | instid1(VALU_DEP_2)
	v_add_co_u32 v5, vcc_lo, v5, v9
	v_add_co_ci_u32_e32 v6, vcc_lo, 0, v6, vcc_lo
	s_waitcnt lgkmcnt(0)
	global_store_b64 v[5:6], v[7:8], off
	s_or_b32 exec_lo, exec_lo, s2
	s_and_saveexec_b32 s2, s42
	s_cbranch_execz .LBB181_200
.LBB181_331:
	v_lshlrev_b32_e32 v5, 3, v110
	v_lshlrev_b32_e32 v7, 3, v1
	;; [unrolled: 1-line block ×3, first 2 shown]
	ds_load_b64 v[5:6], v5
	ds_load_b64 v[7:8], v7 offset:12288
	s_waitcnt lgkmcnt(1)
	v_lshlrev_b64 v[5:6], 3, v[5:6]
	s_delay_alu instid0(VALU_DEP_1) | instskip(NEXT) | instid1(VALU_DEP_2)
	v_add_co_u32 v5, vcc_lo, s54, v5
	v_add_co_ci_u32_e32 v6, vcc_lo, s55, v6, vcc_lo
	s_delay_alu instid0(VALU_DEP_2) | instskip(NEXT) | instid1(VALU_DEP_2)
	v_add_co_u32 v5, vcc_lo, v5, v9
	v_add_co_ci_u32_e32 v6, vcc_lo, 0, v6, vcc_lo
	s_waitcnt lgkmcnt(0)
	global_store_b64 v[5:6], v[7:8], off
	s_or_b32 exec_lo, exec_lo, s2
	s_and_saveexec_b32 s2, s41
	s_cbranch_execz .LBB181_201
.LBB181_332:
	v_lshlrev_b32_e32 v5, 3, v109
	v_lshlrev_b32_e32 v7, 3, v1
	;; [unrolled: 1-line block ×3, first 2 shown]
	ds_load_b64 v[5:6], v5
	ds_load_b64 v[7:8], v7 offset:14336
	s_waitcnt lgkmcnt(1)
	v_lshlrev_b64 v[5:6], 3, v[5:6]
	s_delay_alu instid0(VALU_DEP_1) | instskip(NEXT) | instid1(VALU_DEP_2)
	v_add_co_u32 v5, vcc_lo, s54, v5
	v_add_co_ci_u32_e32 v6, vcc_lo, s55, v6, vcc_lo
	s_delay_alu instid0(VALU_DEP_2) | instskip(NEXT) | instid1(VALU_DEP_2)
	v_add_co_u32 v5, vcc_lo, v5, v9
	v_add_co_ci_u32_e32 v6, vcc_lo, 0, v6, vcc_lo
	s_waitcnt lgkmcnt(0)
	global_store_b64 v[5:6], v[7:8], off
	s_or_b32 exec_lo, exec_lo, s2
	s_and_saveexec_b32 s2, s39
	s_cbranch_execz .LBB181_202
.LBB181_333:
	v_lshlrev_b32_e32 v5, 3, v108
	v_lshlrev_b32_e32 v7, 3, v1
	;; [unrolled: 1-line block ×3, first 2 shown]
	ds_load_b64 v[5:6], v5
	ds_load_b64 v[7:8], v7 offset:16384
	s_waitcnt lgkmcnt(1)
	v_lshlrev_b64 v[5:6], 3, v[5:6]
	s_delay_alu instid0(VALU_DEP_1) | instskip(NEXT) | instid1(VALU_DEP_2)
	v_add_co_u32 v5, vcc_lo, s54, v5
	v_add_co_ci_u32_e32 v6, vcc_lo, s55, v6, vcc_lo
	s_delay_alu instid0(VALU_DEP_2) | instskip(NEXT) | instid1(VALU_DEP_2)
	v_add_co_u32 v5, vcc_lo, v5, v9
	v_add_co_ci_u32_e32 v6, vcc_lo, 0, v6, vcc_lo
	s_waitcnt lgkmcnt(0)
	global_store_b64 v[5:6], v[7:8], off
	s_or_b32 exec_lo, exec_lo, s2
	s_and_saveexec_b32 s2, s38
	s_cbranch_execz .LBB181_203
.LBB181_334:
	v_lshlrev_b32_e32 v5, 3, v107
	v_lshlrev_b32_e32 v7, 3, v1
	v_lshlrev_b32_e32 v9, 3, v89
	ds_load_b64 v[5:6], v5
	ds_load_b64 v[7:8], v7 offset:18432
	s_waitcnt lgkmcnt(1)
	v_lshlrev_b64 v[5:6], 3, v[5:6]
	s_delay_alu instid0(VALU_DEP_1) | instskip(NEXT) | instid1(VALU_DEP_2)
	v_add_co_u32 v5, vcc_lo, s54, v5
	v_add_co_ci_u32_e32 v6, vcc_lo, s55, v6, vcc_lo
	s_delay_alu instid0(VALU_DEP_2) | instskip(NEXT) | instid1(VALU_DEP_2)
	v_add_co_u32 v5, vcc_lo, v5, v9
	v_add_co_ci_u32_e32 v6, vcc_lo, 0, v6, vcc_lo
	s_waitcnt lgkmcnt(0)
	global_store_b64 v[5:6], v[7:8], off
	s_or_b32 exec_lo, exec_lo, s2
	s_and_saveexec_b32 s2, s37
	s_cbranch_execz .LBB181_204
.LBB181_335:
	v_lshlrev_b32_e32 v5, 3, v106
	v_lshlrev_b32_e32 v7, 3, v1
	;; [unrolled: 1-line block ×3, first 2 shown]
	ds_load_b64 v[5:6], v5
	ds_load_b64 v[7:8], v7 offset:20480
	s_waitcnt lgkmcnt(1)
	v_lshlrev_b64 v[5:6], 3, v[5:6]
	s_delay_alu instid0(VALU_DEP_1) | instskip(NEXT) | instid1(VALU_DEP_2)
	v_add_co_u32 v5, vcc_lo, s54, v5
	v_add_co_ci_u32_e32 v6, vcc_lo, s55, v6, vcc_lo
	s_delay_alu instid0(VALU_DEP_2) | instskip(NEXT) | instid1(VALU_DEP_2)
	v_add_co_u32 v5, vcc_lo, v5, v9
	v_add_co_ci_u32_e32 v6, vcc_lo, 0, v6, vcc_lo
	s_waitcnt lgkmcnt(0)
	global_store_b64 v[5:6], v[7:8], off
	s_or_b32 exec_lo, exec_lo, s2
	s_and_saveexec_b32 s2, s36
	s_cbranch_execz .LBB181_205
.LBB181_336:
	v_lshlrev_b32_e32 v5, 3, v105
	v_lshlrev_b32_e32 v7, 3, v1
	;; [unrolled: 1-line block ×3, first 2 shown]
	ds_load_b64 v[5:6], v5
	ds_load_b64 v[7:8], v7 offset:22528
	s_waitcnt lgkmcnt(1)
	v_lshlrev_b64 v[5:6], 3, v[5:6]
	s_delay_alu instid0(VALU_DEP_1) | instskip(NEXT) | instid1(VALU_DEP_2)
	v_add_co_u32 v5, vcc_lo, s54, v5
	v_add_co_ci_u32_e32 v6, vcc_lo, s55, v6, vcc_lo
	s_delay_alu instid0(VALU_DEP_2) | instskip(NEXT) | instid1(VALU_DEP_2)
	v_add_co_u32 v5, vcc_lo, v5, v9
	v_add_co_ci_u32_e32 v6, vcc_lo, 0, v6, vcc_lo
	s_waitcnt lgkmcnt(0)
	global_store_b64 v[5:6], v[7:8], off
	s_or_b32 exec_lo, exec_lo, s2
	s_and_saveexec_b32 s2, s35
	s_cbranch_execz .LBB181_206
.LBB181_337:
	v_lshlrev_b32_e32 v5, 3, v104
	v_lshlrev_b32_e32 v7, 3, v1
	;; [unrolled: 1-line block ×3, first 2 shown]
	ds_load_b64 v[5:6], v5
	ds_load_b64 v[7:8], v7 offset:24576
	s_waitcnt lgkmcnt(1)
	v_lshlrev_b64 v[5:6], 3, v[5:6]
	s_delay_alu instid0(VALU_DEP_1) | instskip(NEXT) | instid1(VALU_DEP_2)
	v_add_co_u32 v5, vcc_lo, s54, v5
	v_add_co_ci_u32_e32 v6, vcc_lo, s55, v6, vcc_lo
	s_delay_alu instid0(VALU_DEP_2) | instskip(NEXT) | instid1(VALU_DEP_2)
	v_add_co_u32 v5, vcc_lo, v5, v9
	v_add_co_ci_u32_e32 v6, vcc_lo, 0, v6, vcc_lo
	s_waitcnt lgkmcnt(0)
	global_store_b64 v[5:6], v[7:8], off
	s_or_b32 exec_lo, exec_lo, s2
	s_and_saveexec_b32 s2, s34
	s_cbranch_execz .LBB181_207
.LBB181_338:
	v_lshlrev_b32_e32 v5, 3, v103
	v_lshlrev_b32_e32 v7, 3, v1
	;; [unrolled: 1-line block ×3, first 2 shown]
	ds_load_b64 v[5:6], v5
	ds_load_b64 v[7:8], v7 offset:26624
	s_waitcnt lgkmcnt(1)
	v_lshlrev_b64 v[5:6], 3, v[5:6]
	s_delay_alu instid0(VALU_DEP_1) | instskip(NEXT) | instid1(VALU_DEP_2)
	v_add_co_u32 v5, vcc_lo, s54, v5
	v_add_co_ci_u32_e32 v6, vcc_lo, s55, v6, vcc_lo
	s_delay_alu instid0(VALU_DEP_2) | instskip(NEXT) | instid1(VALU_DEP_2)
	v_add_co_u32 v5, vcc_lo, v5, v9
	v_add_co_ci_u32_e32 v6, vcc_lo, 0, v6, vcc_lo
	s_waitcnt lgkmcnt(0)
	global_store_b64 v[5:6], v[7:8], off
	s_or_b32 exec_lo, exec_lo, s2
	s_and_saveexec_b32 s2, s33
	s_cbranch_execz .LBB181_208
.LBB181_339:
	v_lshlrev_b32_e32 v5, 3, v102
	v_lshlrev_b32_e32 v7, 3, v1
	;; [unrolled: 1-line block ×3, first 2 shown]
	ds_load_b64 v[5:6], v5
	ds_load_b64 v[7:8], v7 offset:28672
	s_waitcnt lgkmcnt(1)
	v_lshlrev_b64 v[5:6], 3, v[5:6]
	s_delay_alu instid0(VALU_DEP_1) | instskip(NEXT) | instid1(VALU_DEP_2)
	v_add_co_u32 v5, vcc_lo, s54, v5
	v_add_co_ci_u32_e32 v6, vcc_lo, s55, v6, vcc_lo
	s_delay_alu instid0(VALU_DEP_2) | instskip(NEXT) | instid1(VALU_DEP_2)
	v_add_co_u32 v5, vcc_lo, v5, v9
	v_add_co_ci_u32_e32 v6, vcc_lo, 0, v6, vcc_lo
	s_waitcnt lgkmcnt(0)
	global_store_b64 v[5:6], v[7:8], off
	s_or_b32 exec_lo, exec_lo, s2
	s_and_saveexec_b32 s2, s31
	s_cbranch_execz .LBB181_209
.LBB181_340:
	v_lshlrev_b32_e32 v5, 3, v101
	v_lshlrev_b32_e32 v7, 3, v1
	;; [unrolled: 1-line block ×3, first 2 shown]
	ds_load_b64 v[5:6], v5
	ds_load_b64 v[7:8], v7 offset:30720
	s_waitcnt lgkmcnt(1)
	v_lshlrev_b64 v[5:6], 3, v[5:6]
	s_delay_alu instid0(VALU_DEP_1) | instskip(NEXT) | instid1(VALU_DEP_2)
	v_add_co_u32 v5, vcc_lo, s54, v5
	v_add_co_ci_u32_e32 v6, vcc_lo, s55, v6, vcc_lo
	s_delay_alu instid0(VALU_DEP_2) | instskip(NEXT) | instid1(VALU_DEP_2)
	v_add_co_u32 v5, vcc_lo, v5, v9
	v_add_co_ci_u32_e32 v6, vcc_lo, 0, v6, vcc_lo
	s_waitcnt lgkmcnt(0)
	global_store_b64 v[5:6], v[7:8], off
	s_or_b32 exec_lo, exec_lo, s2
	s_and_saveexec_b32 s2, s30
	s_cbranch_execz .LBB181_210
.LBB181_341:
	v_lshlrev_b32_e32 v5, 3, v100
	v_lshlrev_b32_e32 v7, 3, v1
	;; [unrolled: 1-line block ×3, first 2 shown]
	ds_load_b64 v[5:6], v5
	ds_load_b64 v[7:8], v7 offset:32768
	s_waitcnt lgkmcnt(1)
	v_lshlrev_b64 v[5:6], 3, v[5:6]
	s_delay_alu instid0(VALU_DEP_1) | instskip(NEXT) | instid1(VALU_DEP_2)
	v_add_co_u32 v5, vcc_lo, s54, v5
	v_add_co_ci_u32_e32 v6, vcc_lo, s55, v6, vcc_lo
	s_delay_alu instid0(VALU_DEP_2) | instskip(NEXT) | instid1(VALU_DEP_2)
	v_add_co_u32 v5, vcc_lo, v5, v9
	v_add_co_ci_u32_e32 v6, vcc_lo, 0, v6, vcc_lo
	s_waitcnt lgkmcnt(0)
	global_store_b64 v[5:6], v[7:8], off
	s_or_b32 exec_lo, exec_lo, s2
	s_and_saveexec_b32 s2, s29
	s_cbranch_execz .LBB181_211
.LBB181_342:
	v_lshlrev_b32_e32 v5, 3, v99
	v_lshlrev_b32_e32 v7, 3, v1
	;; [unrolled: 1-line block ×3, first 2 shown]
	ds_load_b64 v[5:6], v5
	ds_load_b64 v[7:8], v7 offset:34816
	s_waitcnt lgkmcnt(1)
	v_lshlrev_b64 v[5:6], 3, v[5:6]
	s_delay_alu instid0(VALU_DEP_1) | instskip(NEXT) | instid1(VALU_DEP_2)
	v_add_co_u32 v5, vcc_lo, s54, v5
	v_add_co_ci_u32_e32 v6, vcc_lo, s55, v6, vcc_lo
	s_delay_alu instid0(VALU_DEP_2) | instskip(NEXT) | instid1(VALU_DEP_2)
	v_add_co_u32 v5, vcc_lo, v5, v9
	v_add_co_ci_u32_e32 v6, vcc_lo, 0, v6, vcc_lo
	s_waitcnt lgkmcnt(0)
	global_store_b64 v[5:6], v[7:8], off
	s_or_b32 exec_lo, exec_lo, s2
	s_and_saveexec_b32 s2, s28
	s_cbranch_execz .LBB181_212
.LBB181_343:
	v_lshlrev_b32_e32 v5, 3, v98
	v_lshlrev_b32_e32 v7, 3, v1
	;; [unrolled: 1-line block ×3, first 2 shown]
	ds_load_b64 v[5:6], v5
	ds_load_b64 v[7:8], v7 offset:36864
	s_waitcnt lgkmcnt(1)
	v_lshlrev_b64 v[5:6], 3, v[5:6]
	s_delay_alu instid0(VALU_DEP_1) | instskip(NEXT) | instid1(VALU_DEP_2)
	v_add_co_u32 v5, vcc_lo, s54, v5
	v_add_co_ci_u32_e32 v6, vcc_lo, s55, v6, vcc_lo
	s_delay_alu instid0(VALU_DEP_2) | instskip(NEXT) | instid1(VALU_DEP_2)
	v_add_co_u32 v5, vcc_lo, v5, v9
	v_add_co_ci_u32_e32 v6, vcc_lo, 0, v6, vcc_lo
	s_waitcnt lgkmcnt(0)
	global_store_b64 v[5:6], v[7:8], off
	s_or_b32 exec_lo, exec_lo, s2
	s_and_saveexec_b32 s2, s27
	s_cbranch_execz .LBB181_213
.LBB181_344:
	v_lshlrev_b32_e32 v5, 3, v97
	v_lshlrev_b32_e32 v7, 3, v1
	;; [unrolled: 1-line block ×3, first 2 shown]
	ds_load_b64 v[5:6], v5
	ds_load_b64 v[7:8], v7 offset:38912
	s_waitcnt lgkmcnt(1)
	v_lshlrev_b64 v[5:6], 3, v[5:6]
	s_delay_alu instid0(VALU_DEP_1) | instskip(NEXT) | instid1(VALU_DEP_2)
	v_add_co_u32 v5, vcc_lo, s54, v5
	v_add_co_ci_u32_e32 v6, vcc_lo, s55, v6, vcc_lo
	s_delay_alu instid0(VALU_DEP_2) | instskip(NEXT) | instid1(VALU_DEP_2)
	v_add_co_u32 v5, vcc_lo, v5, v9
	v_add_co_ci_u32_e32 v6, vcc_lo, 0, v6, vcc_lo
	s_waitcnt lgkmcnt(0)
	global_store_b64 v[5:6], v[7:8], off
	s_or_b32 exec_lo, exec_lo, s2
	s_and_saveexec_b32 s2, s26
	s_cbranch_execz .LBB181_214
.LBB181_345:
	v_lshlrev_b32_e32 v5, 3, v96
	v_lshlrev_b32_e32 v7, 3, v1
	;; [unrolled: 1-line block ×3, first 2 shown]
	ds_load_b64 v[5:6], v5
	ds_load_b64 v[7:8], v7 offset:40960
	s_waitcnt lgkmcnt(1)
	v_lshlrev_b64 v[5:6], 3, v[5:6]
	s_delay_alu instid0(VALU_DEP_1) | instskip(NEXT) | instid1(VALU_DEP_2)
	v_add_co_u32 v5, vcc_lo, s54, v5
	v_add_co_ci_u32_e32 v6, vcc_lo, s55, v6, vcc_lo
	s_delay_alu instid0(VALU_DEP_2) | instskip(NEXT) | instid1(VALU_DEP_2)
	v_add_co_u32 v5, vcc_lo, v5, v9
	v_add_co_ci_u32_e32 v6, vcc_lo, 0, v6, vcc_lo
	s_waitcnt lgkmcnt(0)
	global_store_b64 v[5:6], v[7:8], off
	s_or_b32 exec_lo, exec_lo, s2
	s_and_saveexec_b32 s2, s25
	s_cbranch_execz .LBB181_215
.LBB181_346:
	v_lshlrev_b32_e32 v5, 3, v50
	v_lshlrev_b32_e32 v7, 3, v1
	;; [unrolled: 1-line block ×3, first 2 shown]
	ds_load_b64 v[5:6], v5
	ds_load_b64 v[7:8], v7 offset:43008
	s_waitcnt lgkmcnt(1)
	v_lshlrev_b64 v[5:6], 3, v[5:6]
	s_delay_alu instid0(VALU_DEP_1) | instskip(NEXT) | instid1(VALU_DEP_2)
	v_add_co_u32 v5, vcc_lo, s54, v5
	v_add_co_ci_u32_e32 v6, vcc_lo, s55, v6, vcc_lo
	s_delay_alu instid0(VALU_DEP_2) | instskip(NEXT) | instid1(VALU_DEP_2)
	v_add_co_u32 v5, vcc_lo, v5, v9
	v_add_co_ci_u32_e32 v6, vcc_lo, 0, v6, vcc_lo
	s_waitcnt lgkmcnt(0)
	global_store_b64 v[5:6], v[7:8], off
	s_or_b32 exec_lo, exec_lo, s2
	s_and_saveexec_b32 s2, s24
	s_cbranch_execnz .LBB181_216
	s_branch .LBB181_217
	.section	.rodata,"a",@progbits
	.p2align	6, 0x0
	.amdhsa_kernel _ZN7rocprim17ROCPRIM_304000_NS6detail25onesweep_iteration_kernelINS1_34wrapped_radix_sort_onesweep_configINS0_14default_configEbN2at4cuda3cub6detail10OpaqueTypeILi8EEEEELb0EPbSC_PSA_SD_mNS0_19identity_decomposerEEEvT1_T2_T3_T4_jPT5_SK_PNS1_23onesweep_lookback_stateET6_jjj
		.amdhsa_group_segment_fixed_size 47104
		.amdhsa_private_segment_fixed_size 0
		.amdhsa_kernarg_size 336
		.amdhsa_user_sgpr_count 15
		.amdhsa_user_sgpr_dispatch_ptr 0
		.amdhsa_user_sgpr_queue_ptr 0
		.amdhsa_user_sgpr_kernarg_segment_ptr 1
		.amdhsa_user_sgpr_dispatch_id 0
		.amdhsa_user_sgpr_private_segment_size 0
		.amdhsa_wavefront_size32 1
		.amdhsa_uses_dynamic_stack 0
		.amdhsa_enable_private_segment 0
		.amdhsa_system_sgpr_workgroup_id_x 1
		.amdhsa_system_sgpr_workgroup_id_y 0
		.amdhsa_system_sgpr_workgroup_id_z 0
		.amdhsa_system_sgpr_workgroup_info 0
		.amdhsa_system_vgpr_workitem_id 2
		.amdhsa_next_free_vgpr 184
		.amdhsa_next_free_sgpr 72
		.amdhsa_reserve_vcc 1
		.amdhsa_float_round_mode_32 0
		.amdhsa_float_round_mode_16_64 0
		.amdhsa_float_denorm_mode_32 3
		.amdhsa_float_denorm_mode_16_64 3
		.amdhsa_dx10_clamp 1
		.amdhsa_ieee_mode 1
		.amdhsa_fp16_overflow 0
		.amdhsa_workgroup_processor_mode 1
		.amdhsa_memory_ordered 1
		.amdhsa_forward_progress 0
		.amdhsa_shared_vgpr_count 0
		.amdhsa_exception_fp_ieee_invalid_op 0
		.amdhsa_exception_fp_denorm_src 0
		.amdhsa_exception_fp_ieee_div_zero 0
		.amdhsa_exception_fp_ieee_overflow 0
		.amdhsa_exception_fp_ieee_underflow 0
		.amdhsa_exception_fp_ieee_inexact 0
		.amdhsa_exception_int_div_zero 0
	.end_amdhsa_kernel
	.section	.text._ZN7rocprim17ROCPRIM_304000_NS6detail25onesweep_iteration_kernelINS1_34wrapped_radix_sort_onesweep_configINS0_14default_configEbN2at4cuda3cub6detail10OpaqueTypeILi8EEEEELb0EPbSC_PSA_SD_mNS0_19identity_decomposerEEEvT1_T2_T3_T4_jPT5_SK_PNS1_23onesweep_lookback_stateET6_jjj,"axG",@progbits,_ZN7rocprim17ROCPRIM_304000_NS6detail25onesweep_iteration_kernelINS1_34wrapped_radix_sort_onesweep_configINS0_14default_configEbN2at4cuda3cub6detail10OpaqueTypeILi8EEEEELb0EPbSC_PSA_SD_mNS0_19identity_decomposerEEEvT1_T2_T3_T4_jPT5_SK_PNS1_23onesweep_lookback_stateET6_jjj,comdat
.Lfunc_end181:
	.size	_ZN7rocprim17ROCPRIM_304000_NS6detail25onesweep_iteration_kernelINS1_34wrapped_radix_sort_onesweep_configINS0_14default_configEbN2at4cuda3cub6detail10OpaqueTypeILi8EEEEELb0EPbSC_PSA_SD_mNS0_19identity_decomposerEEEvT1_T2_T3_T4_jPT5_SK_PNS1_23onesweep_lookback_stateET6_jjj, .Lfunc_end181-_ZN7rocprim17ROCPRIM_304000_NS6detail25onesweep_iteration_kernelINS1_34wrapped_radix_sort_onesweep_configINS0_14default_configEbN2at4cuda3cub6detail10OpaqueTypeILi8EEEEELb0EPbSC_PSA_SD_mNS0_19identity_decomposerEEEvT1_T2_T3_T4_jPT5_SK_PNS1_23onesweep_lookback_stateET6_jjj
                                        ; -- End function
	.section	.AMDGPU.csdata,"",@progbits
; Kernel info:
; codeLenInByte = 22600
; NumSgprs: 74
; NumVgprs: 184
; ScratchSize: 0
; MemoryBound: 0
; FloatMode: 240
; IeeeMode: 1
; LDSByteSize: 47104 bytes/workgroup (compile time only)
; SGPRBlocks: 9
; VGPRBlocks: 22
; NumSGPRsForWavesPerEU: 74
; NumVGPRsForWavesPerEU: 184
; Occupancy: 4
; WaveLimiterHint : 1
; COMPUTE_PGM_RSRC2:SCRATCH_EN: 0
; COMPUTE_PGM_RSRC2:USER_SGPR: 15
; COMPUTE_PGM_RSRC2:TRAP_HANDLER: 0
; COMPUTE_PGM_RSRC2:TGID_X_EN: 1
; COMPUTE_PGM_RSRC2:TGID_Y_EN: 0
; COMPUTE_PGM_RSRC2:TGID_Z_EN: 0
; COMPUTE_PGM_RSRC2:TIDIG_COMP_CNT: 2
	.section	.text._ZN7rocprim17ROCPRIM_304000_NS6detail28radix_sort_block_sort_kernelINS1_36wrapped_radix_sort_block_sort_configINS0_13kernel_configILj256ELj4ELj4294967295EEE6__halfN2at4cuda3cub6detail10OpaqueTypeILi8EEEEELb1EPKS6_PS6_PKSC_PSC_NS0_19identity_decomposerEEEvT1_T2_T3_T4_jT5_jj,"axG",@progbits,_ZN7rocprim17ROCPRIM_304000_NS6detail28radix_sort_block_sort_kernelINS1_36wrapped_radix_sort_block_sort_configINS0_13kernel_configILj256ELj4ELj4294967295EEE6__halfN2at4cuda3cub6detail10OpaqueTypeILi8EEEEELb1EPKS6_PS6_PKSC_PSC_NS0_19identity_decomposerEEEvT1_T2_T3_T4_jT5_jj,comdat
	.protected	_ZN7rocprim17ROCPRIM_304000_NS6detail28radix_sort_block_sort_kernelINS1_36wrapped_radix_sort_block_sort_configINS0_13kernel_configILj256ELj4ELj4294967295EEE6__halfN2at4cuda3cub6detail10OpaqueTypeILi8EEEEELb1EPKS6_PS6_PKSC_PSC_NS0_19identity_decomposerEEEvT1_T2_T3_T4_jT5_jj ; -- Begin function _ZN7rocprim17ROCPRIM_304000_NS6detail28radix_sort_block_sort_kernelINS1_36wrapped_radix_sort_block_sort_configINS0_13kernel_configILj256ELj4ELj4294967295EEE6__halfN2at4cuda3cub6detail10OpaqueTypeILi8EEEEELb1EPKS6_PS6_PKSC_PSC_NS0_19identity_decomposerEEEvT1_T2_T3_T4_jT5_jj
	.globl	_ZN7rocprim17ROCPRIM_304000_NS6detail28radix_sort_block_sort_kernelINS1_36wrapped_radix_sort_block_sort_configINS0_13kernel_configILj256ELj4ELj4294967295EEE6__halfN2at4cuda3cub6detail10OpaqueTypeILi8EEEEELb1EPKS6_PS6_PKSC_PSC_NS0_19identity_decomposerEEEvT1_T2_T3_T4_jT5_jj
	.p2align	8
	.type	_ZN7rocprim17ROCPRIM_304000_NS6detail28radix_sort_block_sort_kernelINS1_36wrapped_radix_sort_block_sort_configINS0_13kernel_configILj256ELj4ELj4294967295EEE6__halfN2at4cuda3cub6detail10OpaqueTypeILi8EEEEELb1EPKS6_PS6_PKSC_PSC_NS0_19identity_decomposerEEEvT1_T2_T3_T4_jT5_jj,@function
_ZN7rocprim17ROCPRIM_304000_NS6detail28radix_sort_block_sort_kernelINS1_36wrapped_radix_sort_block_sort_configINS0_13kernel_configILj256ELj4ELj4294967295EEE6__halfN2at4cuda3cub6detail10OpaqueTypeILi8EEEEELb1EPKS6_PS6_PKSC_PSC_NS0_19identity_decomposerEEEvT1_T2_T3_T4_jT5_jj: ; @_ZN7rocprim17ROCPRIM_304000_NS6detail28radix_sort_block_sort_kernelINS1_36wrapped_radix_sort_block_sort_configINS0_13kernel_configILj256ELj4ELj4294967295EEE6__halfN2at4cuda3cub6detail10OpaqueTypeILi8EEEEELb1EPKS6_PS6_PKSC_PSC_NS0_19identity_decomposerEEEvT1_T2_T3_T4_jT5_jj
; %bb.0:
	s_clause 0x1
	s_load_b32 s2, s[0:1], 0x20
	s_load_b256 s[16:23], s[0:1], 0x0
	v_and_b32_e32 v8, 0x3ff, v0
	v_mbcnt_lo_u32_b32 v7, -1, 0
	s_lshl_b32 s24, s15, 10
	s_mov_b32 s25, 0
	s_delay_alu instid0(VALU_DEP_2) | instskip(NEXT) | instid1(VALU_DEP_2)
	v_lshlrev_b32_e32 v1, 2, v8
	v_lshlrev_b32_e32 v2, 1, v7
	;; [unrolled: 1-line block ×3, first 2 shown]
	s_delay_alu instid0(VALU_DEP_3) | instskip(NEXT) | instid1(VALU_DEP_1)
	v_and_b32_e32 v11, 0x380, v1
	v_lshlrev_b32_e32 v1, 1, v11
	v_lshlrev_b32_e32 v23, 3, v11
	v_add_nc_u32_e32 v18, v7, v11
	s_waitcnt lgkmcnt(0)
	s_lshr_b32 s3, s2, 10
	s_delay_alu instid0(SALU_CYCLE_1) | instskip(SKIP_2) | instid1(SALU_CYCLE_1)
	s_cmp_lg_u32 s15, s3
	s_cselect_b32 s28, -1, 0
	s_lshl_b64 s[26:27], s[24:25], 1
	s_add_u32 s4, s16, s26
	s_addc_u32 s5, s17, s27
	v_add_co_u32 v2, s4, s4, v2
	s_delay_alu instid0(VALU_DEP_1) | instskip(SKIP_1) | instid1(VALU_DEP_2)
	v_add_co_ci_u32_e64 v3, null, s5, 0, s4
	s_cmp_eq_u32 s15, s3
	v_add_co_u32 v9, vcc_lo, v2, v1
	s_delay_alu instid0(VALU_DEP_2)
	v_add_co_ci_u32_e32 v10, vcc_lo, 0, v3, vcc_lo
	s_mov_b32 s3, -1
	s_cbranch_scc1 .LBB182_2
; %bb.1:
	s_lshl_b64 s[4:5], s[24:25], 3
	v_add_nc_u32_e32 v19, v7, v11
	s_add_u32 s3, s20, s4
	s_addc_u32 s4, s21, s5
	v_add_co_u32 v1, s3, s3, v20
	s_delay_alu instid0(VALU_DEP_1) | instskip(SKIP_1) | instid1(VALU_DEP_3)
	v_add_co_ci_u32_e64 v2, null, s4, 0, s3
	v_add_nc_u32_e32 v11, 32, v19
	v_add_co_u32 v21, vcc_lo, v1, v23
	s_delay_alu instid0(VALU_DEP_3)
	v_add_co_ci_u32_e32 v22, vcc_lo, 0, v2, vcc_lo
	s_clause 0x3
	global_load_u16 v13, v[9:10], off
	global_load_u16 v14, v[9:10], off offset:64
	global_load_u16 v17, v[9:10], off offset:128
	global_load_u16 v16, v[9:10], off offset:192
	s_clause 0x3
	global_load_b64 v[1:2], v[21:22], off
	global_load_b64 v[3:4], v[21:22], off offset:256
	global_load_b64 v[5:6], v[21:22], off offset:512
	;; [unrolled: 1-line block ×3, first 2 shown]
	v_add_nc_u32_e32 v12, 64, v19
	v_add_nc_u32_e32 v15, 0x60, v19
	s_mov_b32 s3, s25
	s_delay_alu instid0(SALU_CYCLE_1)
	s_and_not1_b32 vcc_lo, exec_lo, s3
	s_sub_i32 s16, s2, s24
	s_cbranch_vccz .LBB182_3
	s_branch .LBB182_17
.LBB182_2:
                                        ; implicit-def: $vgpr1_vgpr2
                                        ; implicit-def: $vgpr3_vgpr4
                                        ; implicit-def: $vgpr5_vgpr6
                                        ; implicit-def: $vgpr21_vgpr22
                                        ; implicit-def: $vgpr13
                                        ; implicit-def: $vgpr14
                                        ; implicit-def: $vgpr17
                                        ; implicit-def: $vgpr16
                                        ; implicit-def: $vgpr19
                                        ; implicit-def: $vgpr11
                                        ; implicit-def: $vgpr12
                                        ; implicit-def: $vgpr15
	s_and_not1_b32 vcc_lo, exec_lo, s3
	s_sub_i32 s16, s2, s24
	s_cbranch_vccnz .LBB182_17
.LBB182_3:
	v_cmp_gt_u32_e32 vcc_lo, s16, v18
	s_waitcnt vmcnt(6)
	v_dual_mov_b32 v14, -1 :: v_dual_mov_b32 v13, -1
	s_and_saveexec_b32 s2, vcc_lo
	s_cbranch_execz .LBB182_5
; %bb.4:
	global_load_u16 v13, v[9:10], off
.LBB182_5:
	s_or_b32 exec_lo, exec_lo, s2
	v_add_nc_u32_e32 v11, 32, v18
	s_delay_alu instid0(VALU_DEP_1) | instskip(NEXT) | instid1(VALU_DEP_1)
	v_cmp_gt_u32_e64 s2, s16, v11
	s_and_saveexec_b32 s3, s2
	s_cbranch_execz .LBB182_7
; %bb.6:
	global_load_u16 v14, v[9:10], off offset:64
.LBB182_7:
	s_or_b32 exec_lo, exec_lo, s3
	s_waitcnt vmcnt(5)
	v_dual_mov_b32 v17, -1 :: v_dual_add_nc_u32 v12, 64, v18
	s_waitcnt vmcnt(4)
	v_mov_b32_e32 v16, -1
	s_delay_alu instid0(VALU_DEP_2) | instskip(NEXT) | instid1(VALU_DEP_1)
	v_cmp_gt_u32_e64 s3, s16, v12
	s_and_saveexec_b32 s4, s3
	s_cbranch_execz .LBB182_9
; %bb.8:
	global_load_u16 v17, v[9:10], off offset:128
.LBB182_9:
	s_or_b32 exec_lo, exec_lo, s4
	v_add_nc_u32_e32 v15, 0x60, v18
	s_delay_alu instid0(VALU_DEP_1) | instskip(NEXT) | instid1(VALU_DEP_1)
	v_cmp_gt_u32_e64 s4, s16, v15
	s_and_saveexec_b32 s5, s4
	s_cbranch_execz .LBB182_11
; %bb.10:
	global_load_u16 v16, v[9:10], off offset:192
.LBB182_11:
	s_or_b32 exec_lo, exec_lo, s5
	s_lshl_b64 s[6:7], s[24:25], 3
	s_delay_alu instid0(SALU_CYCLE_1) | instskip(SKIP_3) | instid1(VALU_DEP_1)
	s_add_u32 s5, s20, s6
	s_addc_u32 s6, s21, s7
	s_waitcnt vmcnt(3)
	v_add_co_u32 v1, s5, s5, v20
	v_add_co_ci_u32_e64 v2, null, s6, 0, s5
	s_delay_alu instid0(VALU_DEP_2) | instskip(NEXT) | instid1(VALU_DEP_1)
	v_add_co_u32 v9, s5, v1, v23
	v_add_co_ci_u32_e64 v10, s5, 0, v2, s5
                                        ; implicit-def: $vgpr1_vgpr2
	s_and_saveexec_b32 s5, vcc_lo
	s_cbranch_execnz .LBB182_54
; %bb.12:
	s_or_b32 exec_lo, exec_lo, s5
                                        ; implicit-def: $vgpr3_vgpr4
	s_and_saveexec_b32 s5, s2
	s_cbranch_execnz .LBB182_55
.LBB182_13:
	s_or_b32 exec_lo, exec_lo, s5
                                        ; implicit-def: $vgpr5_vgpr6
	s_and_saveexec_b32 s2, s3
	s_cbranch_execnz .LBB182_56
.LBB182_14:
	s_or_b32 exec_lo, exec_lo, s2
                                        ; implicit-def: $vgpr21_vgpr22
	s_and_saveexec_b32 s2, s4
	s_cbranch_execz .LBB182_16
.LBB182_15:
	global_load_b64 v[21:22], v[9:10], off offset:768
.LBB182_16:
	s_or_b32 exec_lo, exec_lo, s2
	v_mov_b32_e32 v19, v18
.LBB182_17:
	s_clause 0x1
	s_load_b32 s2, s[0:1], 0x3c
	s_load_b64 s[14:15], s[0:1], 0x28
	s_waitcnt vmcnt(0)
	v_cmp_gt_i16_e32 vcc_lo, 0, v13
	v_bfe_u32 v23, v0, 10, 10
	v_bfe_u32 v0, v0, 20, 10
	v_add_nc_u32_e32 v29, -1, v7
	s_mov_b32 s20, 0
	v_cndmask_b32_e64 v9, 0x7fff, 0, vcc_lo
	v_cmp_gt_i16_e32 vcc_lo, 0, v14
	s_mov_b32 s30, s20
	s_mov_b32 s31, s20
	v_and_b32_e32 v27, 16, v7
	v_xor_b32_e32 v50, v9, v13
	v_cndmask_b32_e64 v10, 0x7fff, 0, vcc_lo
	v_cmp_gt_i16_e32 vcc_lo, 0, v17
	v_lshlrev_b32_e32 v32, 1, v11
	v_lshlrev_b32_e32 v33, 1, v12
	v_mul_lo_u32 v13, v11, 6
	v_xor_b32_e32 v44, v10, v14
	v_cndmask_b32_e64 v18, 0x7fff, 0, vcc_lo
	s_waitcnt lgkmcnt(0)
	s_lshr_b32 s0, s2, 16
	v_cmp_gt_i16_e32 vcc_lo, 0, v16
	v_mad_u32_u24 v0, v0, s0, v23
	s_and_b32 s0, s2, 0xffff
	v_mul_lo_u32 v14, v12, 6
	v_mov_b32_e32 v11, s30
	v_cndmask_b32_e64 v20, 0x7fff, 0, vcc_lo
	v_mad_u64_u32 v[9:10], null, v0, s0, v[8:9]
	v_cmp_gt_i32_e32 vcc_lo, 0, v29
	v_and_b32_e32 v28, 0x3e0, v8
	v_mov_b32_e32 v12, s31
	v_cmp_eq_u32_e64 s4, 0, v27
	v_cmp_eq_u32_e64 s8, 0, v7
	v_lshlrev_b32_e32 v34, 1, v15
	v_lshrrev_b32_e32 v27, 5, v9
	v_cndmask_b32_e32 v9, v29, v7, vcc_lo
	v_min_u32_e32 v0, 0xe0, v28
	v_mul_lo_u32 v15, v15, 6
	s_mov_b32 s21, s20
	v_and_b32_e32 v24, 15, v7
	v_lshlrev_b32_e32 v28, 2, v9
	v_or_b32_e32 v0, 31, v0
	v_and_b32_e32 v9, 7, v7
	v_mul_lo_u32 v7, v19, 6
	v_lshlrev_b32_e32 v25, 5, v8
	v_lshlrev_b32_e32 v31, 1, v19
	v_cmp_eq_u32_e64 s5, v0, v8
	v_lshrrev_b32_e32 v0, 3, v8
	v_cmp_eq_u32_e64 s10, 0, v9
	v_cmp_lt_u32_e64 s11, 1, v9
	v_cmp_lt_u32_e64 s12, 3, v9
	v_dual_mov_b32 v9, s20 :: v_dual_mov_b32 v10, s21
	v_and_b32_e32 v29, 0x7c, v0
	v_mul_i32_i24_e32 v0, 0xffffffe4, v8
	v_xor_b32_e32 v45, v18, v17
	v_xor_b32_e32 v46, v20, v16
	v_add_nc_u32_e32 v26, 32, v25
	v_cmp_eq_u32_e64 s0, 0, v24
	v_cmp_lt_u32_e64 s1, 1, v24
	v_cmp_lt_u32_e64 s2, 3, v24
	;; [unrolled: 1-line block ×3, first 2 shown]
	v_cmp_gt_u32_e64 s6, 8, v8
	v_cmp_lt_u32_e64 s7, 31, v8
	v_cmp_eq_u32_e64 s9, 0, v8
	v_add_nc_u32_e32 v30, -4, v29
	v_add_nc_u32_e32 v35, v25, v0
	v_add_nc_u32_e32 v36, v31, v7
	;; [unrolled: 1-line block ×5, first 2 shown]
	s_add_i32 s17, s15, s14
	s_branch .LBB182_19
.LBB182_18:                             ;   in Loop: Header=BB182_19 Depth=1
	v_mad_u64_u32 v[1:2], null, v51, 6, v[24:25]
	v_mad_u64_u32 v[2:3], null, v49, 6, v[23:24]
	;; [unrolled: 1-line block ×3, first 2 shown]
	s_barrier
	buffer_gl0_inv
	v_mad_u64_u32 v[4:5], null, v47, 6, v[0:1]
	ds_store_b16 v24, v40
	ds_store_b16 v23, v43
	;; [unrolled: 1-line block ×4, first 2 shown]
	s_waitcnt lgkmcnt(0)
	s_barrier
	buffer_gl0_inv
	ds_load_u16 v50, v31
	ds_load_u16 v44, v32
	;; [unrolled: 1-line block ×4, first 2 shown]
	s_waitcnt lgkmcnt(0)
	s_barrier
	buffer_gl0_inv
	ds_store_b64 v1, v[19:20]
	ds_store_b64 v2, v[17:18]
	ds_store_b64 v3, v[15:16]
	ds_store_b64 v4, v[13:14]
	s_waitcnt lgkmcnt(0)
	s_barrier
	buffer_gl0_inv
	ds_load_b64 v[1:2], v36
	ds_load_b64 v[3:4], v37
	;; [unrolled: 1-line block ×4, first 2 shown]
	s_add_i32 s15, s15, -8
	s_waitcnt lgkmcnt(0)
	s_barrier
	buffer_gl0_inv
	s_cbranch_execz .LBB182_35
.LBB182_19:                             ; =>This Inner Loop Header: Depth=1
	s_min_u32 s13, s15, 8
	v_mov_b32_e32 v42, v45
	s_lshl_b32 s13, -1, s13
	ds_store_2addr_b64 v25, v[9:10], v[11:12] offset0:4 offset1:5
	ds_store_2addr_b64 v26, v[9:10], v[11:12] offset0:2 offset1:3
	s_not_b32 s20, s13
	v_mov_b32_e32 v40, v50
	s_waitcnt lgkmcnt(0)
	s_barrier
	buffer_gl0_inv
	v_cmp_ne_u16_e32 vcc_lo, 0x8000, v40
	; wave barrier
	v_mov_b32_e32 v43, v44
	v_dual_mov_b32 v41, v46 :: v_dual_cndmask_b32 v0, 0x7fff, v40
	s_delay_alu instid0(VALU_DEP_1) | instskip(NEXT) | instid1(VALU_DEP_1)
	v_and_b32_e32 v0, 0xffff, v0
	v_lshrrev_b32_e32 v0, s14, v0
	s_delay_alu instid0(VALU_DEP_1) | instskip(NEXT) | instid1(VALU_DEP_1)
	v_and_b32_e32 v7, s20, v0
	v_and_b32_e32 v0, 1, v7
	v_lshlrev_b32_e32 v13, 30, v7
	v_lshlrev_b32_e32 v14, 29, v7
	;; [unrolled: 1-line block ×4, first 2 shown]
	v_add_co_u32 v0, s13, v0, -1
	s_delay_alu instid0(VALU_DEP_1)
	v_cndmask_b32_e64 v16, 0, 1, s13
	v_not_b32_e32 v20, v13
	v_cmp_gt_i32_e64 s13, 0, v13
	v_not_b32_e32 v13, v14
	v_lshlrev_b32_e32 v18, 26, v7
	v_cmp_ne_u32_e32 vcc_lo, 0, v16
	v_ashrrev_i32_e32 v20, 31, v20
	v_lshlrev_b32_e32 v19, 25, v7
	v_ashrrev_i32_e32 v13, 31, v13
	v_lshlrev_b32_e32 v16, 24, v7
	v_xor_b32_e32 v0, vcc_lo, v0
	v_cmp_gt_i32_e32 vcc_lo, 0, v14
	v_not_b32_e32 v14, v15
	v_xor_b32_e32 v20, s13, v20
	v_cmp_gt_i32_e64 s13, 0, v15
	v_and_b32_e32 v0, exec_lo, v0
	v_not_b32_e32 v15, v17
	v_ashrrev_i32_e32 v14, 31, v14
	v_xor_b32_e32 v13, vcc_lo, v13
	v_cmp_gt_i32_e32 vcc_lo, 0, v17
	v_and_b32_e32 v0, v0, v20
	v_not_b32_e32 v17, v18
	v_ashrrev_i32_e32 v15, 31, v15
	v_xor_b32_e32 v14, s13, v14
	v_cmp_gt_i32_e64 s13, 0, v18
	v_and_b32_e32 v0, v0, v13
	v_ashrrev_i32_e32 v17, 31, v17
	v_xor_b32_e32 v15, vcc_lo, v15
	s_delay_alu instid0(VALU_DEP_3) | instskip(NEXT) | instid1(VALU_DEP_3)
	v_and_b32_e32 v0, v0, v14
	v_xor_b32_e32 v17, s13, v17
	v_not_b32_e32 v14, v16
	v_cmp_gt_i32_e64 s13, 0, v16
	s_delay_alu instid0(VALU_DEP_4) | instskip(SKIP_1) | instid1(VALU_DEP_4)
	v_and_b32_e32 v0, v0, v15
	v_mov_b32_e32 v16, v6
	v_ashrrev_i32_e32 v14, 31, v14
	s_delay_alu instid0(VALU_DEP_3)
	v_dual_mov_b32 v15, v5 :: v_dual_and_b32 v0, v0, v17
	v_mov_b32_e32 v18, v4
	v_not_b32_e32 v13, v19
	v_cmp_gt_i32_e32 vcc_lo, 0, v19
	v_xor_b32_e32 v14, s13, v14
	v_dual_mov_b32 v20, v2 :: v_dual_mov_b32 v19, v1
	s_delay_alu instid0(VALU_DEP_4) | instskip(SKIP_2) | instid1(VALU_DEP_3)
	v_ashrrev_i32_e32 v13, 31, v13
	v_lshl_add_u32 v1, v7, 3, v27
	v_mov_b32_e32 v17, v3
	v_xor_b32_e32 v13, vcc_lo, v13
	s_delay_alu instid0(VALU_DEP_1) | instskip(NEXT) | instid1(VALU_DEP_1)
	v_and_b32_e32 v0, v0, v13
	v_dual_mov_b32 v13, v21 :: v_dual_and_b32 v0, v0, v14
	v_mov_b32_e32 v14, v22
	v_lshl_add_u32 v22, v1, 2, 32
	s_delay_alu instid0(VALU_DEP_3) | instskip(SKIP_1) | instid1(VALU_DEP_2)
	v_mbcnt_lo_u32_b32 v21, v0, 0
	v_cmp_ne_u32_e64 s13, 0, v0
	v_cmp_eq_u32_e32 vcc_lo, 0, v21
	s_delay_alu instid0(VALU_DEP_2) | instskip(NEXT) | instid1(SALU_CYCLE_1)
	s_and_b32 s21, s13, vcc_lo
	s_and_saveexec_b32 s13, s21
	s_cbranch_execz .LBB182_21
; %bb.20:                               ;   in Loop: Header=BB182_19 Depth=1
	v_bcnt_u32_b32 v0, v0, 0
	ds_store_b32 v22, v0
.LBB182_21:                             ;   in Loop: Header=BB182_19 Depth=1
	s_or_b32 exec_lo, exec_lo, s13
	v_cmp_ne_u16_e32 vcc_lo, 0x8000, v43
	; wave barrier
	v_cndmask_b32_e32 v0, 0x7fff, v43, vcc_lo
	s_delay_alu instid0(VALU_DEP_1) | instskip(NEXT) | instid1(VALU_DEP_1)
	v_and_b32_e32 v0, 0xffff, v0
	v_lshrrev_b32_e32 v0, s14, v0
	s_delay_alu instid0(VALU_DEP_1) | instskip(NEXT) | instid1(VALU_DEP_1)
	v_and_b32_e32 v0, s20, v0
	v_and_b32_e32 v1, 1, v0
	v_lshlrev_b32_e32 v2, 30, v0
	v_lshlrev_b32_e32 v3, 29, v0
	;; [unrolled: 1-line block ×4, first 2 shown]
	v_add_co_u32 v1, s13, v1, -1
	s_delay_alu instid0(VALU_DEP_1)
	v_cndmask_b32_e64 v5, 0, 1, s13
	v_not_b32_e32 v24, v2
	v_cmp_gt_i32_e64 s13, 0, v2
	v_not_b32_e32 v2, v3
	v_lshlrev_b32_e32 v7, 26, v0
	v_cmp_ne_u32_e32 vcc_lo, 0, v5
	v_ashrrev_i32_e32 v24, 31, v24
	v_lshlrev_b32_e32 v23, 25, v0
	v_ashrrev_i32_e32 v2, 31, v2
	v_lshlrev_b32_e32 v5, 24, v0
	v_xor_b32_e32 v1, vcc_lo, v1
	v_cmp_gt_i32_e32 vcc_lo, 0, v3
	v_not_b32_e32 v3, v4
	v_xor_b32_e32 v24, s13, v24
	v_cmp_gt_i32_e64 s13, 0, v4
	v_and_b32_e32 v1, exec_lo, v1
	v_not_b32_e32 v4, v6
	v_ashrrev_i32_e32 v3, 31, v3
	v_xor_b32_e32 v2, vcc_lo, v2
	v_cmp_gt_i32_e32 vcc_lo, 0, v6
	v_and_b32_e32 v1, v1, v24
	v_not_b32_e32 v6, v7
	v_ashrrev_i32_e32 v4, 31, v4
	v_xor_b32_e32 v3, s13, v3
	v_cmp_gt_i32_e64 s13, 0, v7
	v_and_b32_e32 v1, v1, v2
	v_not_b32_e32 v2, v23
	v_ashrrev_i32_e32 v6, 31, v6
	v_xor_b32_e32 v4, vcc_lo, v4
	v_cmp_gt_i32_e32 vcc_lo, 0, v23
	v_and_b32_e32 v1, v1, v3
	v_not_b32_e32 v3, v5
	v_ashrrev_i32_e32 v2, 31, v2
	v_xor_b32_e32 v6, s13, v6
	v_lshlrev_b32_e32 v0, 3, v0
	v_and_b32_e32 v1, v1, v4
	v_cmp_gt_i32_e64 s13, 0, v5
	v_ashrrev_i32_e32 v3, 31, v3
	v_xor_b32_e32 v2, vcc_lo, v2
	v_add_lshl_u32 v4, v0, v27, 2
	v_and_b32_e32 v1, v1, v6
	s_delay_alu instid0(VALU_DEP_4) | instskip(SKIP_3) | instid1(VALU_DEP_2)
	v_xor_b32_e32 v0, s13, v3
	ds_load_b32 v23, v4 offset:32
	v_and_b32_e32 v1, v1, v2
	v_add_nc_u32_e32 v44, 32, v4
	; wave barrier
	v_and_b32_e32 v0, v1, v0
	s_delay_alu instid0(VALU_DEP_1) | instskip(SKIP_1) | instid1(VALU_DEP_2)
	v_mbcnt_lo_u32_b32 v24, v0, 0
	v_cmp_ne_u32_e64 s13, 0, v0
	v_cmp_eq_u32_e32 vcc_lo, 0, v24
	s_delay_alu instid0(VALU_DEP_2) | instskip(NEXT) | instid1(SALU_CYCLE_1)
	s_and_b32 s21, s13, vcc_lo
	s_and_saveexec_b32 s13, s21
	s_cbranch_execz .LBB182_23
; %bb.22:                               ;   in Loop: Header=BB182_19 Depth=1
	s_waitcnt lgkmcnt(0)
	v_bcnt_u32_b32 v0, v0, v23
	ds_store_b32 v44, v0
.LBB182_23:                             ;   in Loop: Header=BB182_19 Depth=1
	s_or_b32 exec_lo, exec_lo, s13
	v_cmp_ne_u16_e32 vcc_lo, 0x8000, v42
	; wave barrier
	v_cndmask_b32_e32 v0, 0x7fff, v42, vcc_lo
	s_delay_alu instid0(VALU_DEP_1) | instskip(NEXT) | instid1(VALU_DEP_1)
	v_and_b32_e32 v0, 0xffff, v0
	v_lshrrev_b32_e32 v0, s14, v0
	s_delay_alu instid0(VALU_DEP_1) | instskip(NEXT) | instid1(VALU_DEP_1)
	v_and_b32_e32 v0, s20, v0
	v_and_b32_e32 v1, 1, v0
	v_lshlrev_b32_e32 v2, 30, v0
	v_lshlrev_b32_e32 v3, 29, v0
	;; [unrolled: 1-line block ×4, first 2 shown]
	v_add_co_u32 v1, s13, v1, -1
	s_delay_alu instid0(VALU_DEP_1)
	v_cndmask_b32_e64 v5, 0, 1, s13
	v_not_b32_e32 v46, v2
	v_cmp_gt_i32_e64 s13, 0, v2
	v_not_b32_e32 v2, v3
	v_lshlrev_b32_e32 v7, 26, v0
	v_cmp_ne_u32_e32 vcc_lo, 0, v5
	v_ashrrev_i32_e32 v46, 31, v46
	v_lshlrev_b32_e32 v45, 25, v0
	v_ashrrev_i32_e32 v2, 31, v2
	v_lshlrev_b32_e32 v5, 24, v0
	v_xor_b32_e32 v1, vcc_lo, v1
	v_cmp_gt_i32_e32 vcc_lo, 0, v3
	v_not_b32_e32 v3, v4
	v_xor_b32_e32 v46, s13, v46
	v_cmp_gt_i32_e64 s13, 0, v4
	v_and_b32_e32 v1, exec_lo, v1
	v_not_b32_e32 v4, v6
	v_ashrrev_i32_e32 v3, 31, v3
	v_xor_b32_e32 v2, vcc_lo, v2
	v_cmp_gt_i32_e32 vcc_lo, 0, v6
	v_and_b32_e32 v1, v1, v46
	v_not_b32_e32 v6, v7
	v_ashrrev_i32_e32 v4, 31, v4
	v_xor_b32_e32 v3, s13, v3
	v_cmp_gt_i32_e64 s13, 0, v7
	v_and_b32_e32 v1, v1, v2
	v_not_b32_e32 v2, v45
	v_ashrrev_i32_e32 v6, 31, v6
	v_xor_b32_e32 v4, vcc_lo, v4
	v_cmp_gt_i32_e32 vcc_lo, 0, v45
	v_and_b32_e32 v1, v1, v3
	v_not_b32_e32 v3, v5
	v_ashrrev_i32_e32 v2, 31, v2
	v_xor_b32_e32 v6, s13, v6
	v_lshlrev_b32_e32 v0, 3, v0
	v_and_b32_e32 v1, v1, v4
	v_cmp_gt_i32_e64 s13, 0, v5
	v_ashrrev_i32_e32 v3, 31, v3
	v_xor_b32_e32 v2, vcc_lo, v2
	v_add_lshl_u32 v4, v0, v27, 2
	v_and_b32_e32 v1, v1, v6
	s_delay_alu instid0(VALU_DEP_4) | instskip(SKIP_3) | instid1(VALU_DEP_2)
	v_xor_b32_e32 v0, s13, v3
	ds_load_b32 v45, v4 offset:32
	v_and_b32_e32 v1, v1, v2
	v_add_nc_u32_e32 v47, 32, v4
	; wave barrier
	v_and_b32_e32 v0, v1, v0
	s_delay_alu instid0(VALU_DEP_1) | instskip(SKIP_1) | instid1(VALU_DEP_2)
	v_mbcnt_lo_u32_b32 v46, v0, 0
	v_cmp_ne_u32_e64 s13, 0, v0
	v_cmp_eq_u32_e32 vcc_lo, 0, v46
	s_delay_alu instid0(VALU_DEP_2) | instskip(NEXT) | instid1(SALU_CYCLE_1)
	s_and_b32 s21, s13, vcc_lo
	s_and_saveexec_b32 s13, s21
	s_cbranch_execz .LBB182_25
; %bb.24:                               ;   in Loop: Header=BB182_19 Depth=1
	s_waitcnt lgkmcnt(0)
	v_bcnt_u32_b32 v0, v0, v45
	ds_store_b32 v47, v0
.LBB182_25:                             ;   in Loop: Header=BB182_19 Depth=1
	s_or_b32 exec_lo, exec_lo, s13
	v_cmp_ne_u16_e32 vcc_lo, 0x8000, v41
	; wave barrier
	v_cndmask_b32_e32 v0, 0x7fff, v41, vcc_lo
	s_delay_alu instid0(VALU_DEP_1) | instskip(NEXT) | instid1(VALU_DEP_1)
	v_and_b32_e32 v0, 0xffff, v0
	v_lshrrev_b32_e32 v0, s14, v0
	s_delay_alu instid0(VALU_DEP_1) | instskip(NEXT) | instid1(VALU_DEP_1)
	v_and_b32_e32 v0, s20, v0
	v_and_b32_e32 v1, 1, v0
	v_lshlrev_b32_e32 v2, 30, v0
	v_lshlrev_b32_e32 v3, 29, v0
	;; [unrolled: 1-line block ×4, first 2 shown]
	v_add_co_u32 v1, s13, v1, -1
	s_delay_alu instid0(VALU_DEP_1)
	v_cndmask_b32_e64 v5, 0, 1, s13
	v_not_b32_e32 v49, v2
	v_cmp_gt_i32_e64 s13, 0, v2
	v_not_b32_e32 v2, v3
	v_lshlrev_b32_e32 v7, 26, v0
	v_cmp_ne_u32_e32 vcc_lo, 0, v5
	v_ashrrev_i32_e32 v49, 31, v49
	v_lshlrev_b32_e32 v48, 25, v0
	v_ashrrev_i32_e32 v2, 31, v2
	v_lshlrev_b32_e32 v5, 24, v0
	v_xor_b32_e32 v1, vcc_lo, v1
	v_cmp_gt_i32_e32 vcc_lo, 0, v3
	v_not_b32_e32 v3, v4
	v_xor_b32_e32 v49, s13, v49
	v_cmp_gt_i32_e64 s13, 0, v4
	v_and_b32_e32 v1, exec_lo, v1
	v_not_b32_e32 v4, v6
	v_ashrrev_i32_e32 v3, 31, v3
	v_xor_b32_e32 v2, vcc_lo, v2
	v_cmp_gt_i32_e32 vcc_lo, 0, v6
	v_and_b32_e32 v1, v1, v49
	v_not_b32_e32 v6, v7
	v_ashrrev_i32_e32 v4, 31, v4
	v_xor_b32_e32 v3, s13, v3
	v_cmp_gt_i32_e64 s13, 0, v7
	v_and_b32_e32 v1, v1, v2
	v_not_b32_e32 v2, v48
	v_ashrrev_i32_e32 v6, 31, v6
	v_xor_b32_e32 v4, vcc_lo, v4
	v_cmp_gt_i32_e32 vcc_lo, 0, v48
	v_and_b32_e32 v1, v1, v3
	v_not_b32_e32 v3, v5
	v_ashrrev_i32_e32 v2, 31, v2
	v_xor_b32_e32 v6, s13, v6
	v_lshlrev_b32_e32 v0, 3, v0
	v_and_b32_e32 v1, v1, v4
	v_cmp_gt_i32_e64 s13, 0, v5
	v_ashrrev_i32_e32 v3, 31, v3
	v_xor_b32_e32 v2, vcc_lo, v2
	v_add_lshl_u32 v4, v0, v27, 2
	v_and_b32_e32 v1, v1, v6
	s_delay_alu instid0(VALU_DEP_4) | instskip(SKIP_3) | instid1(VALU_DEP_2)
	v_xor_b32_e32 v0, s13, v3
	ds_load_b32 v50, v4 offset:32
	v_and_b32_e32 v1, v1, v2
	v_add_nc_u32_e32 v48, 32, v4
	; wave barrier
	v_and_b32_e32 v0, v1, v0
	s_delay_alu instid0(VALU_DEP_1) | instskip(SKIP_1) | instid1(VALU_DEP_2)
	v_mbcnt_lo_u32_b32 v52, v0, 0
	v_cmp_ne_u32_e64 s13, 0, v0
	v_cmp_eq_u32_e32 vcc_lo, 0, v52
	s_delay_alu instid0(VALU_DEP_2) | instskip(NEXT) | instid1(SALU_CYCLE_1)
	s_and_b32 s20, s13, vcc_lo
	s_and_saveexec_b32 s13, s20
	s_cbranch_execz .LBB182_27
; %bb.26:                               ;   in Loop: Header=BB182_19 Depth=1
	s_waitcnt lgkmcnt(0)
	v_bcnt_u32_b32 v0, v0, v50
	ds_store_b32 v48, v0
.LBB182_27:                             ;   in Loop: Header=BB182_19 Depth=1
	s_or_b32 exec_lo, exec_lo, s13
	; wave barrier
	s_waitcnt lgkmcnt(0)
	s_barrier
	buffer_gl0_inv
	ds_load_2addr_b64 v[4:7], v25 offset0:4 offset1:5
	ds_load_2addr_b64 v[0:3], v26 offset0:2 offset1:3
	s_waitcnt lgkmcnt(1)
	v_add_nc_u32_e32 v49, v5, v4
	s_delay_alu instid0(VALU_DEP_1) | instskip(SKIP_1) | instid1(VALU_DEP_1)
	v_add3_u32 v49, v49, v6, v7
	s_waitcnt lgkmcnt(0)
	v_add3_u32 v49, v49, v0, v1
	s_delay_alu instid0(VALU_DEP_1) | instskip(NEXT) | instid1(VALU_DEP_1)
	v_add3_u32 v3, v49, v2, v3
	v_mov_b32_dpp v49, v3 row_shr:1 row_mask:0xf bank_mask:0xf
	s_delay_alu instid0(VALU_DEP_1) | instskip(NEXT) | instid1(VALU_DEP_1)
	v_cndmask_b32_e64 v49, v49, 0, s0
	v_add_nc_u32_e32 v3, v49, v3
	s_delay_alu instid0(VALU_DEP_1) | instskip(NEXT) | instid1(VALU_DEP_1)
	v_mov_b32_dpp v49, v3 row_shr:2 row_mask:0xf bank_mask:0xf
	v_cndmask_b32_e64 v49, 0, v49, s1
	s_delay_alu instid0(VALU_DEP_1) | instskip(NEXT) | instid1(VALU_DEP_1)
	v_add_nc_u32_e32 v3, v3, v49
	v_mov_b32_dpp v49, v3 row_shr:4 row_mask:0xf bank_mask:0xf
	s_delay_alu instid0(VALU_DEP_1) | instskip(NEXT) | instid1(VALU_DEP_1)
	v_cndmask_b32_e64 v49, 0, v49, s2
	v_add_nc_u32_e32 v3, v3, v49
	s_delay_alu instid0(VALU_DEP_1) | instskip(NEXT) | instid1(VALU_DEP_1)
	v_mov_b32_dpp v49, v3 row_shr:8 row_mask:0xf bank_mask:0xf
	v_cndmask_b32_e64 v49, 0, v49, s3
	s_delay_alu instid0(VALU_DEP_1) | instskip(SKIP_3) | instid1(VALU_DEP_1)
	v_add_nc_u32_e32 v3, v3, v49
	ds_swizzle_b32 v49, v3 offset:swizzle(BROADCAST,32,15)
	s_waitcnt lgkmcnt(0)
	v_cndmask_b32_e64 v49, v49, 0, s4
	v_add_nc_u32_e32 v3, v3, v49
	s_and_saveexec_b32 s13, s5
	s_cbranch_execz .LBB182_29
; %bb.28:                               ;   in Loop: Header=BB182_19 Depth=1
	ds_store_b32 v29, v3
.LBB182_29:                             ;   in Loop: Header=BB182_19 Depth=1
	s_or_b32 exec_lo, exec_lo, s13
	s_waitcnt lgkmcnt(0)
	s_barrier
	buffer_gl0_inv
	s_and_saveexec_b32 s13, s6
	s_cbranch_execz .LBB182_31
; %bb.30:                               ;   in Loop: Header=BB182_19 Depth=1
	ds_load_b32 v49, v35
	s_waitcnt lgkmcnt(0)
	v_mov_b32_dpp v51, v49 row_shr:1 row_mask:0xf bank_mask:0xf
	s_delay_alu instid0(VALU_DEP_1) | instskip(NEXT) | instid1(VALU_DEP_1)
	v_cndmask_b32_e64 v51, v51, 0, s10
	v_add_nc_u32_e32 v49, v51, v49
	s_delay_alu instid0(VALU_DEP_1) | instskip(NEXT) | instid1(VALU_DEP_1)
	v_mov_b32_dpp v51, v49 row_shr:2 row_mask:0xf bank_mask:0xf
	v_cndmask_b32_e64 v51, 0, v51, s11
	s_delay_alu instid0(VALU_DEP_1) | instskip(NEXT) | instid1(VALU_DEP_1)
	v_add_nc_u32_e32 v49, v49, v51
	v_mov_b32_dpp v51, v49 row_shr:4 row_mask:0xf bank_mask:0xf
	s_delay_alu instid0(VALU_DEP_1) | instskip(NEXT) | instid1(VALU_DEP_1)
	v_cndmask_b32_e64 v51, 0, v51, s12
	v_add_nc_u32_e32 v49, v49, v51
	ds_store_b32 v35, v49
.LBB182_31:                             ;   in Loop: Header=BB182_19 Depth=1
	s_or_b32 exec_lo, exec_lo, s13
	v_mov_b32_e32 v49, 0
	s_waitcnt lgkmcnt(0)
	s_barrier
	buffer_gl0_inv
	s_and_saveexec_b32 s13, s7
	s_cbranch_execz .LBB182_33
; %bb.32:                               ;   in Loop: Header=BB182_19 Depth=1
	ds_load_b32 v49, v30
.LBB182_33:                             ;   in Loop: Header=BB182_19 Depth=1
	s_or_b32 exec_lo, exec_lo, s13
	s_waitcnt lgkmcnt(0)
	v_add_nc_u32_e32 v3, v49, v3
	s_add_i32 s14, s14, 8
	s_delay_alu instid0(SALU_CYCLE_1) | instskip(SKIP_3) | instid1(VALU_DEP_1)
	s_cmp_ge_u32 s14, s17
	ds_bpermute_b32 v3, v28, v3
	s_waitcnt lgkmcnt(0)
	v_cndmask_b32_e64 v3, v3, v49, s8
	v_cndmask_b32_e64 v3, v3, 0, s9
	s_delay_alu instid0(VALU_DEP_1) | instskip(NEXT) | instid1(VALU_DEP_1)
	v_add_nc_u32_e32 v4, v3, v4
	v_add_nc_u32_e32 v5, v4, v5
	s_delay_alu instid0(VALU_DEP_1) | instskip(NEXT) | instid1(VALU_DEP_1)
	v_add_nc_u32_e32 v6, v5, v6
	v_add_nc_u32_e32 v53, v6, v7
	;; [unrolled: 3-line block ×3, first 2 shown]
	s_delay_alu instid0(VALU_DEP_1)
	v_add_nc_u32_e32 v1, v0, v2
	ds_store_2addr_b64 v25, v[3:4], v[5:6] offset0:4 offset1:5
	ds_store_2addr_b64 v26, v[53:54], v[0:1] offset0:2 offset1:3
	s_waitcnt lgkmcnt(0)
	s_barrier
	buffer_gl0_inv
	ds_load_b32 v0, v22
	ds_load_b32 v1, v44
	;; [unrolled: 1-line block ×4, first 2 shown]
	s_waitcnt lgkmcnt(0)
	v_add_nc_u32_e32 v51, v0, v21
	v_add3_u32 v49, v24, v23, v1
	v_add3_u32 v48, v46, v45, v2
	;; [unrolled: 1-line block ×3, first 2 shown]
	s_delay_alu instid0(VALU_DEP_4) | instskip(NEXT) | instid1(VALU_DEP_4)
	v_lshlrev_b32_e32 v24, 1, v51
	v_lshlrev_b32_e32 v23, 1, v49
	s_delay_alu instid0(VALU_DEP_4) | instskip(NEXT) | instid1(VALU_DEP_4)
	v_lshlrev_b32_e32 v7, 1, v48
	v_lshlrev_b32_e32 v0, 1, v47
	s_cbranch_scc0 .LBB182_18
; %bb.34:
                                        ; implicit-def: $sgpr14
                                        ; implicit-def: $vgpr1_vgpr2
                                        ; implicit-def: $vgpr3_vgpr4
                                        ; implicit-def: $vgpr5_vgpr6
                                        ; implicit-def: $vgpr21_vgpr22
                                        ; implicit-def: $vgpr50
                                        ; implicit-def: $vgpr44
                                        ; implicit-def: $vgpr45
                                        ; implicit-def: $vgpr46
.LBB182_35:
	v_lshlrev_b32_e32 v9, 1, v8
	s_barrier
	buffer_gl0_inv
	ds_store_b16 v24, v40
	ds_store_b16 v23, v43
	;; [unrolled: 1-line block ×4, first 2 shown]
	s_waitcnt lgkmcnt(0)
	s_barrier
	buffer_gl0_inv
	ds_load_u16 v10, v9
	ds_load_u16 v11, v9 offset:512
	ds_load_u16 v12, v9 offset:1024
	;; [unrolled: 1-line block ×3, first 2 shown]
	v_mad_u64_u32 v[1:2], null, v51, 6, v[24:25]
	v_mad_u64_u32 v[2:3], null, v49, 6, v[23:24]
	;; [unrolled: 1-line block ×3, first 2 shown]
	s_waitcnt lgkmcnt(0)
	s_barrier
	s_delay_alu instid0(VALU_DEP_3)
	v_mad_u64_u32 v[4:5], null, v47, 6, v[0:1]
	buffer_gl0_inv
	ds_store_b64 v1, v[19:20]
	ds_store_b64 v2, v[17:18]
	;; [unrolled: 1-line block ×3, first 2 shown]
	v_mad_u32_u24 v0, v8, 6, v9
	s_add_u32 s0, s18, s26
	s_addc_u32 s1, s19, s27
	v_add_co_u32 v9, s0, s0, v9
	v_cmp_gt_i16_e32 vcc_lo, 0, v10
	ds_store_b64 v4, v[13:14]
	s_waitcnt lgkmcnt(0)
	s_barrier
	buffer_gl0_inv
	v_cndmask_b32_e64 v13, 0x7fff, 0, vcc_lo
	v_cmp_gt_i16_e32 vcc_lo, 0, v11
	ds_load_2addr_stride64_b64 v[4:7], v0 offset1:4
	ds_load_2addr_stride64_b64 v[0:3], v0 offset0:8 offset1:12
	s_mov_b32 s2, 0
	v_xor_b32_e32 v15, v13, v10
	v_cndmask_b32_e64 v14, 0x7fff, 0, vcc_lo
	v_cmp_gt_i16_e32 vcc_lo, 0, v12
	v_add_co_ci_u32_e64 v10, null, s1, 0, s0
	s_mov_b32 s0, -1
	s_delay_alu instid0(VALU_DEP_3) | instskip(SKIP_3) | instid1(VALU_DEP_3)
	v_xor_b32_e32 v14, v14, v11
	v_cndmask_b32_e64 v16, 0x7fff, 0, vcc_lo
	v_cmp_gt_i16_e32 vcc_lo, 0, v21
	v_lshlrev_b32_e32 v11, 3, v8
	v_xor_b32_e32 v13, v16, v12
	v_cndmask_b32_e64 v17, 0x7fff, 0, vcc_lo
	s_and_not1_b32 vcc_lo, exec_lo, s28
	s_delay_alu instid0(VALU_DEP_1)
	v_xor_b32_e32 v12, v17, v21
	s_cbranch_vccz .LBB182_39
; %bb.36:
	s_and_not1_b32 vcc_lo, exec_lo, s0
	s_cbranch_vccz .LBB182_40
.LBB182_37:
	s_and_saveexec_b32 s0, s2
	s_cbranch_execnz .LBB182_53
.LBB182_38:
	s_nop 0
	s_sendmsg sendmsg(MSG_DEALLOC_VGPRS)
	s_endpgm
.LBB182_39:
	s_lshl_b64 s[0:1], s[24:25], 3
	s_mov_b32 s2, -1
	s_add_u32 s4, s22, s0
	s_addc_u32 s5, s23, s1
	v_add_co_u32 v16, s0, s4, v11
	s_delay_alu instid0(VALU_DEP_1) | instskip(NEXT) | instid1(VALU_DEP_2)
	v_add_co_ci_u32_e64 v17, null, s5, 0, s0
	v_add_co_u32 v16, vcc_lo, 0x1000, v16
	s_delay_alu instid0(VALU_DEP_2)
	v_add_co_ci_u32_e32 v17, vcc_lo, 0, v17, vcc_lo
	s_clause 0x3
	global_store_b16 v[9:10], v15, off
	global_store_b16 v[9:10], v14, off offset:512
	global_store_b16 v[9:10], v13, off offset:1024
	global_store_b16 v[9:10], v12, off offset:1536
	s_waitcnt lgkmcnt(1)
	s_clause 0x1
	global_store_b64 v11, v[6:7], s[4:5] offset:2048
	global_store_b64 v11, v[4:5], s[4:5]
	s_waitcnt lgkmcnt(0)
	global_store_b64 v[16:17], v[0:1], off
	s_cbranch_execnz .LBB182_37
.LBB182_40:
	v_cmp_gt_u32_e32 vcc_lo, s16, v8
	s_and_saveexec_b32 s0, vcc_lo
	s_cbranch_execz .LBB182_42
; %bb.41:
	global_store_b16 v[9:10], v15, off
.LBB182_42:
	s_or_b32 exec_lo, exec_lo, s0
	v_add_nc_u32_e32 v15, 0x100, v8
	s_delay_alu instid0(VALU_DEP_1) | instskip(NEXT) | instid1(VALU_DEP_1)
	v_cmp_gt_u32_e64 s0, s16, v15
	s_and_saveexec_b32 s1, s0
	s_cbranch_execz .LBB182_44
; %bb.43:
	global_store_b16 v[9:10], v14, off offset:512
.LBB182_44:
	s_or_b32 exec_lo, exec_lo, s1
	v_add_nc_u32_e32 v14, 0x200, v8
	s_delay_alu instid0(VALU_DEP_1) | instskip(NEXT) | instid1(VALU_DEP_1)
	v_cmp_gt_u32_e64 s1, s16, v14
	s_and_saveexec_b32 s2, s1
	s_cbranch_execz .LBB182_46
; %bb.45:
	global_store_b16 v[9:10], v13, off offset:1024
.LBB182_46:
	;; [unrolled: 9-line block ×3, first 2 shown]
	s_or_b32 exec_lo, exec_lo, s3
	s_lshl_b64 s[4:5], s[24:25], 3
	s_delay_alu instid0(SALU_CYCLE_1) | instskip(SKIP_2) | instid1(VALU_DEP_1)
	s_add_u32 s3, s22, s4
	s_addc_u32 s4, s23, s5
	v_add_co_u32 v8, s3, s3, v11
	v_add_co_ci_u32_e64 v9, null, s4, 0, s3
	s_and_saveexec_b32 s3, vcc_lo
	s_cbranch_execnz .LBB182_57
; %bb.49:
	s_or_b32 exec_lo, exec_lo, s3
	s_and_saveexec_b32 s3, s0
	s_cbranch_execnz .LBB182_58
.LBB182_50:
	s_or_b32 exec_lo, exec_lo, s3
	s_and_saveexec_b32 s0, s1
	s_cbranch_execz .LBB182_52
.LBB182_51:
	s_waitcnt lgkmcnt(1)
	v_add_co_u32 v4, vcc_lo, 0x1000, v8
	v_add_co_ci_u32_e32 v5, vcc_lo, 0, v9, vcc_lo
	s_waitcnt lgkmcnt(0)
	global_store_b64 v[4:5], v[0:1], off
.LBB182_52:
	s_or_b32 exec_lo, exec_lo, s0
	s_and_saveexec_b32 s0, s2
	s_cbranch_execz .LBB182_38
.LBB182_53:
	s_lshl_b64 s[0:1], s[24:25], 3
	s_delay_alu instid0(SALU_CYCLE_1) | instskip(SKIP_3) | instid1(VALU_DEP_1)
	s_add_u32 s0, s22, s0
	s_addc_u32 s1, s23, s1
	s_waitcnt lgkmcnt(0)
	v_add_co_u32 v0, s0, s0, v11
	v_add_co_ci_u32_e64 v1, null, s1, 0, s0
	s_delay_alu instid0(VALU_DEP_2) | instskip(NEXT) | instid1(VALU_DEP_2)
	v_add_co_u32 v0, vcc_lo, 0x1000, v0
	v_add_co_ci_u32_e32 v1, vcc_lo, 0, v1, vcc_lo
	global_store_b64 v[0:1], v[2:3], off offset:2048
	s_nop 0
	s_sendmsg sendmsg(MSG_DEALLOC_VGPRS)
	s_endpgm
.LBB182_54:
	global_load_b64 v[1:2], v[9:10], off
	s_or_b32 exec_lo, exec_lo, s5
                                        ; implicit-def: $vgpr3_vgpr4
	s_and_saveexec_b32 s5, s2
	s_cbranch_execz .LBB182_13
.LBB182_55:
	global_load_b64 v[3:4], v[9:10], off offset:256
	s_or_b32 exec_lo, exec_lo, s5
                                        ; implicit-def: $vgpr5_vgpr6
	s_and_saveexec_b32 s2, s3
	s_cbranch_execz .LBB182_14
.LBB182_56:
	global_load_b64 v[5:6], v[9:10], off offset:512
	s_or_b32 exec_lo, exec_lo, s2
                                        ; implicit-def: $vgpr21_vgpr22
	s_and_saveexec_b32 s2, s4
	s_cbranch_execnz .LBB182_15
	s_branch .LBB182_16
.LBB182_57:
	s_waitcnt lgkmcnt(1)
	global_store_b64 v[8:9], v[4:5], off
	s_or_b32 exec_lo, exec_lo, s3
	s_and_saveexec_b32 s3, s0
	s_cbranch_execz .LBB182_50
.LBB182_58:
	s_waitcnt lgkmcnt(1)
	global_store_b64 v[8:9], v[6:7], off offset:2048
	s_or_b32 exec_lo, exec_lo, s3
	s_and_saveexec_b32 s0, s1
	s_cbranch_execnz .LBB182_51
	s_branch .LBB182_52
	.section	.rodata,"a",@progbits
	.p2align	6, 0x0
	.amdhsa_kernel _ZN7rocprim17ROCPRIM_304000_NS6detail28radix_sort_block_sort_kernelINS1_36wrapped_radix_sort_block_sort_configINS0_13kernel_configILj256ELj4ELj4294967295EEE6__halfN2at4cuda3cub6detail10OpaqueTypeILi8EEEEELb1EPKS6_PS6_PKSC_PSC_NS0_19identity_decomposerEEEvT1_T2_T3_T4_jT5_jj
		.amdhsa_group_segment_fixed_size 8224
		.amdhsa_private_segment_fixed_size 0
		.amdhsa_kernarg_size 304
		.amdhsa_user_sgpr_count 15
		.amdhsa_user_sgpr_dispatch_ptr 0
		.amdhsa_user_sgpr_queue_ptr 0
		.amdhsa_user_sgpr_kernarg_segment_ptr 1
		.amdhsa_user_sgpr_dispatch_id 0
		.amdhsa_user_sgpr_private_segment_size 0
		.amdhsa_wavefront_size32 1
		.amdhsa_uses_dynamic_stack 0
		.amdhsa_enable_private_segment 0
		.amdhsa_system_sgpr_workgroup_id_x 1
		.amdhsa_system_sgpr_workgroup_id_y 0
		.amdhsa_system_sgpr_workgroup_id_z 0
		.amdhsa_system_sgpr_workgroup_info 0
		.amdhsa_system_vgpr_workitem_id 2
		.amdhsa_next_free_vgpr 55
		.amdhsa_next_free_sgpr 32
		.amdhsa_reserve_vcc 1
		.amdhsa_float_round_mode_32 0
		.amdhsa_float_round_mode_16_64 0
		.amdhsa_float_denorm_mode_32 3
		.amdhsa_float_denorm_mode_16_64 3
		.amdhsa_dx10_clamp 1
		.amdhsa_ieee_mode 1
		.amdhsa_fp16_overflow 0
		.amdhsa_workgroup_processor_mode 1
		.amdhsa_memory_ordered 1
		.amdhsa_forward_progress 0
		.amdhsa_shared_vgpr_count 0
		.amdhsa_exception_fp_ieee_invalid_op 0
		.amdhsa_exception_fp_denorm_src 0
		.amdhsa_exception_fp_ieee_div_zero 0
		.amdhsa_exception_fp_ieee_overflow 0
		.amdhsa_exception_fp_ieee_underflow 0
		.amdhsa_exception_fp_ieee_inexact 0
		.amdhsa_exception_int_div_zero 0
	.end_amdhsa_kernel
	.section	.text._ZN7rocprim17ROCPRIM_304000_NS6detail28radix_sort_block_sort_kernelINS1_36wrapped_radix_sort_block_sort_configINS0_13kernel_configILj256ELj4ELj4294967295EEE6__halfN2at4cuda3cub6detail10OpaqueTypeILi8EEEEELb1EPKS6_PS6_PKSC_PSC_NS0_19identity_decomposerEEEvT1_T2_T3_T4_jT5_jj,"axG",@progbits,_ZN7rocprim17ROCPRIM_304000_NS6detail28radix_sort_block_sort_kernelINS1_36wrapped_radix_sort_block_sort_configINS0_13kernel_configILj256ELj4ELj4294967295EEE6__halfN2at4cuda3cub6detail10OpaqueTypeILi8EEEEELb1EPKS6_PS6_PKSC_PSC_NS0_19identity_decomposerEEEvT1_T2_T3_T4_jT5_jj,comdat
.Lfunc_end182:
	.size	_ZN7rocprim17ROCPRIM_304000_NS6detail28radix_sort_block_sort_kernelINS1_36wrapped_radix_sort_block_sort_configINS0_13kernel_configILj256ELj4ELj4294967295EEE6__halfN2at4cuda3cub6detail10OpaqueTypeILi8EEEEELb1EPKS6_PS6_PKSC_PSC_NS0_19identity_decomposerEEEvT1_T2_T3_T4_jT5_jj, .Lfunc_end182-_ZN7rocprim17ROCPRIM_304000_NS6detail28radix_sort_block_sort_kernelINS1_36wrapped_radix_sort_block_sort_configINS0_13kernel_configILj256ELj4ELj4294967295EEE6__halfN2at4cuda3cub6detail10OpaqueTypeILi8EEEEELb1EPKS6_PS6_PKSC_PSC_NS0_19identity_decomposerEEEvT1_T2_T3_T4_jT5_jj
                                        ; -- End function
	.section	.AMDGPU.csdata,"",@progbits
; Kernel info:
; codeLenInByte = 4376
; NumSgprs: 34
; NumVgprs: 55
; ScratchSize: 0
; MemoryBound: 0
; FloatMode: 240
; IeeeMode: 1
; LDSByteSize: 8224 bytes/workgroup (compile time only)
; SGPRBlocks: 4
; VGPRBlocks: 6
; NumSGPRsForWavesPerEU: 34
; NumVGPRsForWavesPerEU: 55
; Occupancy: 16
; WaveLimiterHint : 1
; COMPUTE_PGM_RSRC2:SCRATCH_EN: 0
; COMPUTE_PGM_RSRC2:USER_SGPR: 15
; COMPUTE_PGM_RSRC2:TRAP_HANDLER: 0
; COMPUTE_PGM_RSRC2:TGID_X_EN: 1
; COMPUTE_PGM_RSRC2:TGID_Y_EN: 0
; COMPUTE_PGM_RSRC2:TGID_Z_EN: 0
; COMPUTE_PGM_RSRC2:TIDIG_COMP_CNT: 2
	.section	.text._ZN7rocprim17ROCPRIM_304000_NS6detail39device_merge_sort_compile_time_verifierINS1_36wrapped_merge_sort_block_sort_configINS1_28merge_sort_block_sort_configILj256ELj4ELNS0_20block_sort_algorithmE0EEE6__halfN2at4cuda3cub6detail10OpaqueTypeILi8EEEEENS1_37wrapped_merge_sort_block_merge_configINS0_14default_configES7_SD_EEEEvv,"axG",@progbits,_ZN7rocprim17ROCPRIM_304000_NS6detail39device_merge_sort_compile_time_verifierINS1_36wrapped_merge_sort_block_sort_configINS1_28merge_sort_block_sort_configILj256ELj4ELNS0_20block_sort_algorithmE0EEE6__halfN2at4cuda3cub6detail10OpaqueTypeILi8EEEEENS1_37wrapped_merge_sort_block_merge_configINS0_14default_configES7_SD_EEEEvv,comdat
	.protected	_ZN7rocprim17ROCPRIM_304000_NS6detail39device_merge_sort_compile_time_verifierINS1_36wrapped_merge_sort_block_sort_configINS1_28merge_sort_block_sort_configILj256ELj4ELNS0_20block_sort_algorithmE0EEE6__halfN2at4cuda3cub6detail10OpaqueTypeILi8EEEEENS1_37wrapped_merge_sort_block_merge_configINS0_14default_configES7_SD_EEEEvv ; -- Begin function _ZN7rocprim17ROCPRIM_304000_NS6detail39device_merge_sort_compile_time_verifierINS1_36wrapped_merge_sort_block_sort_configINS1_28merge_sort_block_sort_configILj256ELj4ELNS0_20block_sort_algorithmE0EEE6__halfN2at4cuda3cub6detail10OpaqueTypeILi8EEEEENS1_37wrapped_merge_sort_block_merge_configINS0_14default_configES7_SD_EEEEvv
	.globl	_ZN7rocprim17ROCPRIM_304000_NS6detail39device_merge_sort_compile_time_verifierINS1_36wrapped_merge_sort_block_sort_configINS1_28merge_sort_block_sort_configILj256ELj4ELNS0_20block_sort_algorithmE0EEE6__halfN2at4cuda3cub6detail10OpaqueTypeILi8EEEEENS1_37wrapped_merge_sort_block_merge_configINS0_14default_configES7_SD_EEEEvv
	.p2align	8
	.type	_ZN7rocprim17ROCPRIM_304000_NS6detail39device_merge_sort_compile_time_verifierINS1_36wrapped_merge_sort_block_sort_configINS1_28merge_sort_block_sort_configILj256ELj4ELNS0_20block_sort_algorithmE0EEE6__halfN2at4cuda3cub6detail10OpaqueTypeILi8EEEEENS1_37wrapped_merge_sort_block_merge_configINS0_14default_configES7_SD_EEEEvv,@function
_ZN7rocprim17ROCPRIM_304000_NS6detail39device_merge_sort_compile_time_verifierINS1_36wrapped_merge_sort_block_sort_configINS1_28merge_sort_block_sort_configILj256ELj4ELNS0_20block_sort_algorithmE0EEE6__halfN2at4cuda3cub6detail10OpaqueTypeILi8EEEEENS1_37wrapped_merge_sort_block_merge_configINS0_14default_configES7_SD_EEEEvv: ; @_ZN7rocprim17ROCPRIM_304000_NS6detail39device_merge_sort_compile_time_verifierINS1_36wrapped_merge_sort_block_sort_configINS1_28merge_sort_block_sort_configILj256ELj4ELNS0_20block_sort_algorithmE0EEE6__halfN2at4cuda3cub6detail10OpaqueTypeILi8EEEEENS1_37wrapped_merge_sort_block_merge_configINS0_14default_configES7_SD_EEEEvv
; %bb.0:
	s_endpgm
	.section	.rodata,"a",@progbits
	.p2align	6, 0x0
	.amdhsa_kernel _ZN7rocprim17ROCPRIM_304000_NS6detail39device_merge_sort_compile_time_verifierINS1_36wrapped_merge_sort_block_sort_configINS1_28merge_sort_block_sort_configILj256ELj4ELNS0_20block_sort_algorithmE0EEE6__halfN2at4cuda3cub6detail10OpaqueTypeILi8EEEEENS1_37wrapped_merge_sort_block_merge_configINS0_14default_configES7_SD_EEEEvv
		.amdhsa_group_segment_fixed_size 0
		.amdhsa_private_segment_fixed_size 0
		.amdhsa_kernarg_size 0
		.amdhsa_user_sgpr_count 15
		.amdhsa_user_sgpr_dispatch_ptr 0
		.amdhsa_user_sgpr_queue_ptr 0
		.amdhsa_user_sgpr_kernarg_segment_ptr 0
		.amdhsa_user_sgpr_dispatch_id 0
		.amdhsa_user_sgpr_private_segment_size 0
		.amdhsa_wavefront_size32 1
		.amdhsa_uses_dynamic_stack 0
		.amdhsa_enable_private_segment 0
		.amdhsa_system_sgpr_workgroup_id_x 1
		.amdhsa_system_sgpr_workgroup_id_y 0
		.amdhsa_system_sgpr_workgroup_id_z 0
		.amdhsa_system_sgpr_workgroup_info 0
		.amdhsa_system_vgpr_workitem_id 0
		.amdhsa_next_free_vgpr 1
		.amdhsa_next_free_sgpr 1
		.amdhsa_reserve_vcc 0
		.amdhsa_float_round_mode_32 0
		.amdhsa_float_round_mode_16_64 0
		.amdhsa_float_denorm_mode_32 3
		.amdhsa_float_denorm_mode_16_64 3
		.amdhsa_dx10_clamp 1
		.amdhsa_ieee_mode 1
		.amdhsa_fp16_overflow 0
		.amdhsa_workgroup_processor_mode 1
		.amdhsa_memory_ordered 1
		.amdhsa_forward_progress 0
		.amdhsa_shared_vgpr_count 0
		.amdhsa_exception_fp_ieee_invalid_op 0
		.amdhsa_exception_fp_denorm_src 0
		.amdhsa_exception_fp_ieee_div_zero 0
		.amdhsa_exception_fp_ieee_overflow 0
		.amdhsa_exception_fp_ieee_underflow 0
		.amdhsa_exception_fp_ieee_inexact 0
		.amdhsa_exception_int_div_zero 0
	.end_amdhsa_kernel
	.section	.text._ZN7rocprim17ROCPRIM_304000_NS6detail39device_merge_sort_compile_time_verifierINS1_36wrapped_merge_sort_block_sort_configINS1_28merge_sort_block_sort_configILj256ELj4ELNS0_20block_sort_algorithmE0EEE6__halfN2at4cuda3cub6detail10OpaqueTypeILi8EEEEENS1_37wrapped_merge_sort_block_merge_configINS0_14default_configES7_SD_EEEEvv,"axG",@progbits,_ZN7rocprim17ROCPRIM_304000_NS6detail39device_merge_sort_compile_time_verifierINS1_36wrapped_merge_sort_block_sort_configINS1_28merge_sort_block_sort_configILj256ELj4ELNS0_20block_sort_algorithmE0EEE6__halfN2at4cuda3cub6detail10OpaqueTypeILi8EEEEENS1_37wrapped_merge_sort_block_merge_configINS0_14default_configES7_SD_EEEEvv,comdat
.Lfunc_end183:
	.size	_ZN7rocprim17ROCPRIM_304000_NS6detail39device_merge_sort_compile_time_verifierINS1_36wrapped_merge_sort_block_sort_configINS1_28merge_sort_block_sort_configILj256ELj4ELNS0_20block_sort_algorithmE0EEE6__halfN2at4cuda3cub6detail10OpaqueTypeILi8EEEEENS1_37wrapped_merge_sort_block_merge_configINS0_14default_configES7_SD_EEEEvv, .Lfunc_end183-_ZN7rocprim17ROCPRIM_304000_NS6detail39device_merge_sort_compile_time_verifierINS1_36wrapped_merge_sort_block_sort_configINS1_28merge_sort_block_sort_configILj256ELj4ELNS0_20block_sort_algorithmE0EEE6__halfN2at4cuda3cub6detail10OpaqueTypeILi8EEEEENS1_37wrapped_merge_sort_block_merge_configINS0_14default_configES7_SD_EEEEvv
                                        ; -- End function
	.section	.AMDGPU.csdata,"",@progbits
; Kernel info:
; codeLenInByte = 4
; NumSgprs: 0
; NumVgprs: 0
; ScratchSize: 0
; MemoryBound: 0
; FloatMode: 240
; IeeeMode: 1
; LDSByteSize: 0 bytes/workgroup (compile time only)
; SGPRBlocks: 0
; VGPRBlocks: 0
; NumSGPRsForWavesPerEU: 1
; NumVGPRsForWavesPerEU: 1
; Occupancy: 16
; WaveLimiterHint : 0
; COMPUTE_PGM_RSRC2:SCRATCH_EN: 0
; COMPUTE_PGM_RSRC2:USER_SGPR: 15
; COMPUTE_PGM_RSRC2:TRAP_HANDLER: 0
; COMPUTE_PGM_RSRC2:TGID_X_EN: 1
; COMPUTE_PGM_RSRC2:TGID_Y_EN: 0
; COMPUTE_PGM_RSRC2:TGID_Z_EN: 0
; COMPUTE_PGM_RSRC2:TIDIG_COMP_CNT: 0
	.section	.text._ZN7rocprim17ROCPRIM_304000_NS6detail45device_block_merge_mergepath_partition_kernelINS1_37wrapped_merge_sort_block_merge_configINS0_14default_configE6__halfN2at4cuda3cub6detail10OpaqueTypeILi8EEEEEPS5_jNS1_19radix_merge_compareILb1ELb0ES5_NS0_19identity_decomposerEEEEEvT0_T1_jPSI_T2_SI_,"axG",@progbits,_ZN7rocprim17ROCPRIM_304000_NS6detail45device_block_merge_mergepath_partition_kernelINS1_37wrapped_merge_sort_block_merge_configINS0_14default_configE6__halfN2at4cuda3cub6detail10OpaqueTypeILi8EEEEEPS5_jNS1_19radix_merge_compareILb1ELb0ES5_NS0_19identity_decomposerEEEEEvT0_T1_jPSI_T2_SI_,comdat
	.protected	_ZN7rocprim17ROCPRIM_304000_NS6detail45device_block_merge_mergepath_partition_kernelINS1_37wrapped_merge_sort_block_merge_configINS0_14default_configE6__halfN2at4cuda3cub6detail10OpaqueTypeILi8EEEEEPS5_jNS1_19radix_merge_compareILb1ELb0ES5_NS0_19identity_decomposerEEEEEvT0_T1_jPSI_T2_SI_ ; -- Begin function _ZN7rocprim17ROCPRIM_304000_NS6detail45device_block_merge_mergepath_partition_kernelINS1_37wrapped_merge_sort_block_merge_configINS0_14default_configE6__halfN2at4cuda3cub6detail10OpaqueTypeILi8EEEEEPS5_jNS1_19radix_merge_compareILb1ELb0ES5_NS0_19identity_decomposerEEEEEvT0_T1_jPSI_T2_SI_
	.globl	_ZN7rocprim17ROCPRIM_304000_NS6detail45device_block_merge_mergepath_partition_kernelINS1_37wrapped_merge_sort_block_merge_configINS0_14default_configE6__halfN2at4cuda3cub6detail10OpaqueTypeILi8EEEEEPS5_jNS1_19radix_merge_compareILb1ELb0ES5_NS0_19identity_decomposerEEEEEvT0_T1_jPSI_T2_SI_
	.p2align	8
	.type	_ZN7rocprim17ROCPRIM_304000_NS6detail45device_block_merge_mergepath_partition_kernelINS1_37wrapped_merge_sort_block_merge_configINS0_14default_configE6__halfN2at4cuda3cub6detail10OpaqueTypeILi8EEEEEPS5_jNS1_19radix_merge_compareILb1ELb0ES5_NS0_19identity_decomposerEEEEEvT0_T1_jPSI_T2_SI_,@function
_ZN7rocprim17ROCPRIM_304000_NS6detail45device_block_merge_mergepath_partition_kernelINS1_37wrapped_merge_sort_block_merge_configINS0_14default_configE6__halfN2at4cuda3cub6detail10OpaqueTypeILi8EEEEEPS5_jNS1_19radix_merge_compareILb1ELb0ES5_NS0_19identity_decomposerEEEEEvT0_T1_jPSI_T2_SI_: ; @_ZN7rocprim17ROCPRIM_304000_NS6detail45device_block_merge_mergepath_partition_kernelINS1_37wrapped_merge_sort_block_merge_configINS0_14default_configE6__halfN2at4cuda3cub6detail10OpaqueTypeILi8EEEEEPS5_jNS1_19radix_merge_compareILb1ELb0ES5_NS0_19identity_decomposerEEEEEvT0_T1_jPSI_T2_SI_
; %bb.0:
	s_load_b64 s[2:3], s[0:1], 0x8
	v_lshl_or_b32 v0, s15, 7, v0
	s_waitcnt lgkmcnt(0)
	s_delay_alu instid0(VALU_DEP_1)
	v_cmp_gt_u32_e32 vcc_lo, s3, v0
	s_and_saveexec_b32 s3, vcc_lo
	s_cbranch_execz .LBB184_6
; %bb.1:
	s_load_b32 s3, s[0:1], 0x1c
	s_waitcnt lgkmcnt(0)
	s_lshr_b32 s4, s3, 9
	s_delay_alu instid0(SALU_CYCLE_1) | instskip(NEXT) | instid1(SALU_CYCLE_1)
	s_and_b32 s4, s4, 0x7ffffe
	s_sub_i32 s5, 0, s4
	s_add_i32 s4, s4, -1
	v_and_b32_e32 v1, s5, v0
	v_and_b32_e32 v5, s4, v0
	s_delay_alu instid0(VALU_DEP_2) | instskip(NEXT) | instid1(VALU_DEP_1)
	v_lshlrev_b32_e32 v1, 10, v1
	v_add_nc_u32_e32 v2, s3, v1
	s_delay_alu instid0(VALU_DEP_1) | instskip(SKIP_1) | instid1(VALU_DEP_2)
	v_min_u32_e32 v4, s2, v2
	v_min_u32_e32 v2, s2, v1
	v_add_nc_u32_e32 v3, s3, v4
	s_mov_b32 s3, 0
	s_delay_alu instid0(VALU_DEP_1) | instskip(SKIP_2) | instid1(VALU_DEP_2)
	v_min_u32_e32 v1, s2, v3
	v_lshlrev_b32_e32 v3, 10, v5
	s_mov_b32 s2, exec_lo
	v_sub_nc_u32_e32 v5, v1, v2
	v_sub_nc_u32_e32 v6, v1, v4
	s_delay_alu instid0(VALU_DEP_2) | instskip(SKIP_1) | instid1(VALU_DEP_2)
	v_min_u32_e32 v1, v5, v3
	v_sub_nc_u32_e32 v3, v4, v2
	v_sub_nc_u32_e64 v6, v1, v6 clamp
	s_delay_alu instid0(VALU_DEP_2) | instskip(NEXT) | instid1(VALU_DEP_1)
	v_min_u32_e32 v7, v1, v3
	v_cmpx_lt_u32_e64 v6, v7
	s_cbranch_execz .LBB184_5
; %bb.2:
	s_load_b64 s[4:5], s[0:1], 0x0
	v_mov_b32_e32 v5, 0
	s_delay_alu instid0(VALU_DEP_1) | instskip(SKIP_1) | instid1(VALU_DEP_2)
	v_mov_b32_e32 v3, v5
	v_lshlrev_b64 v[10:11], 1, v[4:5]
	v_lshlrev_b64 v[8:9], 1, v[2:3]
	s_waitcnt lgkmcnt(0)
	s_delay_alu instid0(VALU_DEP_1) | instskip(NEXT) | instid1(VALU_DEP_2)
	v_add_co_u32 v3, vcc_lo, s4, v8
	v_add_co_ci_u32_e32 v8, vcc_lo, s5, v9, vcc_lo
	s_delay_alu instid0(VALU_DEP_4)
	v_add_co_u32 v9, vcc_lo, s4, v10
	v_add_co_ci_u32_e32 v10, vcc_lo, s5, v11, vcc_lo
	s_set_inst_prefetch_distance 0x1
	.p2align	6
.LBB184_3:                              ; =>This Inner Loop Header: Depth=1
	v_add_nc_u32_e32 v4, v7, v6
	s_delay_alu instid0(VALU_DEP_1) | instskip(SKIP_1) | instid1(VALU_DEP_2)
	v_lshrrev_b32_e32 v15, 1, v4
	v_and_b32_e32 v11, -2, v4
	v_xad_u32 v4, v15, -1, v1
	s_delay_alu instid0(VALU_DEP_2) | instskip(SKIP_1) | instid1(VALU_DEP_3)
	v_add_co_u32 v11, vcc_lo, v3, v11
	v_add_co_ci_u32_e32 v12, vcc_lo, 0, v8, vcc_lo
	v_lshlrev_b64 v[13:14], 1, v[4:5]
	s_delay_alu instid0(VALU_DEP_1) | instskip(NEXT) | instid1(VALU_DEP_2)
	v_add_co_u32 v13, vcc_lo, v9, v13
	v_add_co_ci_u32_e32 v14, vcc_lo, v10, v14, vcc_lo
	s_clause 0x1
	global_load_u16 v4, v[11:12], off
	global_load_u16 v11, v[13:14], off
	s_waitcnt vmcnt(1)
	v_cmp_ne_u16_e32 vcc_lo, 0x8000, v4
	v_cndmask_b32_e32 v4, 0, v4, vcc_lo
	s_waitcnt vmcnt(0)
	v_cmp_ne_u16_e32 vcc_lo, 0x8000, v11
	v_cndmask_b32_e32 v11, 0, v11, vcc_lo
	s_delay_alu instid0(VALU_DEP_3) | instskip(SKIP_1) | instid1(VALU_DEP_3)
	v_cmp_lt_i16_e32 vcc_lo, -1, v4
	v_cndmask_b32_e64 v12, -1, 0xffff8000, vcc_lo
	v_cmp_lt_i16_e32 vcc_lo, -1, v11
	s_delay_alu instid0(VALU_DEP_2) | instskip(SKIP_2) | instid1(VALU_DEP_2)
	v_xor_b32_e32 v4, v12, v4
	v_cndmask_b32_e64 v13, -1, 0xffff8000, vcc_lo
	v_add_nc_u32_e32 v12, 1, v15
	v_xor_b32_e32 v11, v13, v11
	s_delay_alu instid0(VALU_DEP_1) | instskip(NEXT) | instid1(VALU_DEP_3)
	v_cmp_gt_u16_e32 vcc_lo, v11, v4
	v_dual_cndmask_b32 v7, v7, v15 :: v_dual_cndmask_b32 v6, v12, v6
	s_delay_alu instid0(VALU_DEP_1) | instskip(SKIP_1) | instid1(SALU_CYCLE_1)
	v_cmp_ge_u32_e32 vcc_lo, v6, v7
	s_or_b32 s3, vcc_lo, s3
	s_and_not1_b32 exec_lo, exec_lo, s3
	s_cbranch_execnz .LBB184_3
; %bb.4:
	s_set_inst_prefetch_distance 0x2
	s_or_b32 exec_lo, exec_lo, s3
.LBB184_5:
	s_delay_alu instid0(SALU_CYCLE_1) | instskip(SKIP_2) | instid1(VALU_DEP_1)
	s_or_b32 exec_lo, exec_lo, s2
	s_load_b64 s[0:1], s[0:1], 0x10
	v_dual_mov_b32 v1, 0 :: v_dual_add_nc_u32 v2, v6, v2
	v_lshlrev_b64 v[0:1], 2, v[0:1]
	s_waitcnt lgkmcnt(0)
	s_delay_alu instid0(VALU_DEP_1) | instskip(NEXT) | instid1(VALU_DEP_2)
	v_add_co_u32 v0, vcc_lo, s0, v0
	v_add_co_ci_u32_e32 v1, vcc_lo, s1, v1, vcc_lo
	global_store_b32 v[0:1], v2, off
.LBB184_6:
	s_nop 0
	s_sendmsg sendmsg(MSG_DEALLOC_VGPRS)
	s_endpgm
	.section	.rodata,"a",@progbits
	.p2align	6, 0x0
	.amdhsa_kernel _ZN7rocprim17ROCPRIM_304000_NS6detail45device_block_merge_mergepath_partition_kernelINS1_37wrapped_merge_sort_block_merge_configINS0_14default_configE6__halfN2at4cuda3cub6detail10OpaqueTypeILi8EEEEEPS5_jNS1_19radix_merge_compareILb1ELb0ES5_NS0_19identity_decomposerEEEEEvT0_T1_jPSI_T2_SI_
		.amdhsa_group_segment_fixed_size 0
		.amdhsa_private_segment_fixed_size 0
		.amdhsa_kernarg_size 32
		.amdhsa_user_sgpr_count 15
		.amdhsa_user_sgpr_dispatch_ptr 0
		.amdhsa_user_sgpr_queue_ptr 0
		.amdhsa_user_sgpr_kernarg_segment_ptr 1
		.amdhsa_user_sgpr_dispatch_id 0
		.amdhsa_user_sgpr_private_segment_size 0
		.amdhsa_wavefront_size32 1
		.amdhsa_uses_dynamic_stack 0
		.amdhsa_enable_private_segment 0
		.amdhsa_system_sgpr_workgroup_id_x 1
		.amdhsa_system_sgpr_workgroup_id_y 0
		.amdhsa_system_sgpr_workgroup_id_z 0
		.amdhsa_system_sgpr_workgroup_info 0
		.amdhsa_system_vgpr_workitem_id 0
		.amdhsa_next_free_vgpr 16
		.amdhsa_next_free_sgpr 16
		.amdhsa_reserve_vcc 1
		.amdhsa_float_round_mode_32 0
		.amdhsa_float_round_mode_16_64 0
		.amdhsa_float_denorm_mode_32 3
		.amdhsa_float_denorm_mode_16_64 3
		.amdhsa_dx10_clamp 1
		.amdhsa_ieee_mode 1
		.amdhsa_fp16_overflow 0
		.amdhsa_workgroup_processor_mode 1
		.amdhsa_memory_ordered 1
		.amdhsa_forward_progress 0
		.amdhsa_shared_vgpr_count 0
		.amdhsa_exception_fp_ieee_invalid_op 0
		.amdhsa_exception_fp_denorm_src 0
		.amdhsa_exception_fp_ieee_div_zero 0
		.amdhsa_exception_fp_ieee_overflow 0
		.amdhsa_exception_fp_ieee_underflow 0
		.amdhsa_exception_fp_ieee_inexact 0
		.amdhsa_exception_int_div_zero 0
	.end_amdhsa_kernel
	.section	.text._ZN7rocprim17ROCPRIM_304000_NS6detail45device_block_merge_mergepath_partition_kernelINS1_37wrapped_merge_sort_block_merge_configINS0_14default_configE6__halfN2at4cuda3cub6detail10OpaqueTypeILi8EEEEEPS5_jNS1_19radix_merge_compareILb1ELb0ES5_NS0_19identity_decomposerEEEEEvT0_T1_jPSI_T2_SI_,"axG",@progbits,_ZN7rocprim17ROCPRIM_304000_NS6detail45device_block_merge_mergepath_partition_kernelINS1_37wrapped_merge_sort_block_merge_configINS0_14default_configE6__halfN2at4cuda3cub6detail10OpaqueTypeILi8EEEEEPS5_jNS1_19radix_merge_compareILb1ELb0ES5_NS0_19identity_decomposerEEEEEvT0_T1_jPSI_T2_SI_,comdat
.Lfunc_end184:
	.size	_ZN7rocprim17ROCPRIM_304000_NS6detail45device_block_merge_mergepath_partition_kernelINS1_37wrapped_merge_sort_block_merge_configINS0_14default_configE6__halfN2at4cuda3cub6detail10OpaqueTypeILi8EEEEEPS5_jNS1_19radix_merge_compareILb1ELb0ES5_NS0_19identity_decomposerEEEEEvT0_T1_jPSI_T2_SI_, .Lfunc_end184-_ZN7rocprim17ROCPRIM_304000_NS6detail45device_block_merge_mergepath_partition_kernelINS1_37wrapped_merge_sort_block_merge_configINS0_14default_configE6__halfN2at4cuda3cub6detail10OpaqueTypeILi8EEEEEPS5_jNS1_19radix_merge_compareILb1ELb0ES5_NS0_19identity_decomposerEEEEEvT0_T1_jPSI_T2_SI_
                                        ; -- End function
	.section	.AMDGPU.csdata,"",@progbits
; Kernel info:
; codeLenInByte = 536
; NumSgprs: 18
; NumVgprs: 16
; ScratchSize: 0
; MemoryBound: 0
; FloatMode: 240
; IeeeMode: 1
; LDSByteSize: 0 bytes/workgroup (compile time only)
; SGPRBlocks: 2
; VGPRBlocks: 1
; NumSGPRsForWavesPerEU: 18
; NumVGPRsForWavesPerEU: 16
; Occupancy: 16
; WaveLimiterHint : 0
; COMPUTE_PGM_RSRC2:SCRATCH_EN: 0
; COMPUTE_PGM_RSRC2:USER_SGPR: 15
; COMPUTE_PGM_RSRC2:TRAP_HANDLER: 0
; COMPUTE_PGM_RSRC2:TGID_X_EN: 1
; COMPUTE_PGM_RSRC2:TGID_Y_EN: 0
; COMPUTE_PGM_RSRC2:TGID_Z_EN: 0
; COMPUTE_PGM_RSRC2:TIDIG_COMP_CNT: 0
	.section	.text._ZN7rocprim17ROCPRIM_304000_NS6detail35device_block_merge_mergepath_kernelINS1_37wrapped_merge_sort_block_merge_configINS0_14default_configE6__halfN2at4cuda3cub6detail10OpaqueTypeILi8EEEEEPS5_SD_PSB_SE_jNS1_19radix_merge_compareILb1ELb0ES5_NS0_19identity_decomposerEEEEEvT0_T1_T2_T3_T4_SM_jT5_PKSM_NS1_7vsmem_tE,"axG",@progbits,_ZN7rocprim17ROCPRIM_304000_NS6detail35device_block_merge_mergepath_kernelINS1_37wrapped_merge_sort_block_merge_configINS0_14default_configE6__halfN2at4cuda3cub6detail10OpaqueTypeILi8EEEEEPS5_SD_PSB_SE_jNS1_19radix_merge_compareILb1ELb0ES5_NS0_19identity_decomposerEEEEEvT0_T1_T2_T3_T4_SM_jT5_PKSM_NS1_7vsmem_tE,comdat
	.protected	_ZN7rocprim17ROCPRIM_304000_NS6detail35device_block_merge_mergepath_kernelINS1_37wrapped_merge_sort_block_merge_configINS0_14default_configE6__halfN2at4cuda3cub6detail10OpaqueTypeILi8EEEEEPS5_SD_PSB_SE_jNS1_19radix_merge_compareILb1ELb0ES5_NS0_19identity_decomposerEEEEEvT0_T1_T2_T3_T4_SM_jT5_PKSM_NS1_7vsmem_tE ; -- Begin function _ZN7rocprim17ROCPRIM_304000_NS6detail35device_block_merge_mergepath_kernelINS1_37wrapped_merge_sort_block_merge_configINS0_14default_configE6__halfN2at4cuda3cub6detail10OpaqueTypeILi8EEEEEPS5_SD_PSB_SE_jNS1_19radix_merge_compareILb1ELb0ES5_NS0_19identity_decomposerEEEEEvT0_T1_T2_T3_T4_SM_jT5_PKSM_NS1_7vsmem_tE
	.globl	_ZN7rocprim17ROCPRIM_304000_NS6detail35device_block_merge_mergepath_kernelINS1_37wrapped_merge_sort_block_merge_configINS0_14default_configE6__halfN2at4cuda3cub6detail10OpaqueTypeILi8EEEEEPS5_SD_PSB_SE_jNS1_19radix_merge_compareILb1ELb0ES5_NS0_19identity_decomposerEEEEEvT0_T1_T2_T3_T4_SM_jT5_PKSM_NS1_7vsmem_tE
	.p2align	8
	.type	_ZN7rocprim17ROCPRIM_304000_NS6detail35device_block_merge_mergepath_kernelINS1_37wrapped_merge_sort_block_merge_configINS0_14default_configE6__halfN2at4cuda3cub6detail10OpaqueTypeILi8EEEEEPS5_SD_PSB_SE_jNS1_19radix_merge_compareILb1ELb0ES5_NS0_19identity_decomposerEEEEEvT0_T1_T2_T3_T4_SM_jT5_PKSM_NS1_7vsmem_tE,@function
_ZN7rocprim17ROCPRIM_304000_NS6detail35device_block_merge_mergepath_kernelINS1_37wrapped_merge_sort_block_merge_configINS0_14default_configE6__halfN2at4cuda3cub6detail10OpaqueTypeILi8EEEEEPS5_SD_PSB_SE_jNS1_19radix_merge_compareILb1ELb0ES5_NS0_19identity_decomposerEEEEEvT0_T1_T2_T3_T4_SM_jT5_PKSM_NS1_7vsmem_tE: ; @_ZN7rocprim17ROCPRIM_304000_NS6detail35device_block_merge_mergepath_kernelINS1_37wrapped_merge_sort_block_merge_configINS0_14default_configE6__halfN2at4cuda3cub6detail10OpaqueTypeILi8EEEEEPS5_SD_PSB_SE_jNS1_19radix_merge_compareILb1ELb0ES5_NS0_19identity_decomposerEEEEEvT0_T1_T2_T3_T4_SM_jT5_PKSM_NS1_7vsmem_tE
; %bb.0:
	s_clause 0x1
	s_load_b64 s[22:23], s[0:1], 0x40
	s_load_b128 s[8:11], s[0:1], 0x20
	s_add_u32 s20, s0, 64
	s_addc_u32 s21, s1, 0
	s_waitcnt lgkmcnt(0)
	s_mul_i32 s2, s23, s15
	s_delay_alu instid0(SALU_CYCLE_1) | instskip(NEXT) | instid1(SALU_CYCLE_1)
	s_add_i32 s2, s2, s14
	s_mul_i32 s2, s2, s22
	s_delay_alu instid0(SALU_CYCLE_1) | instskip(NEXT) | instid1(SALU_CYCLE_1)
	s_add_i32 s18, s2, s13
	s_cmp_ge_u32 s18, s10
	s_cbranch_scc1 .LBB185_61
; %bb.1:
	s_load_b64 s[2:3], s[0:1], 0x30
	s_lshr_b32 s28, s8, 10
	s_mov_b32 s15, 0
	s_cmp_lg_u32 s18, s28
	s_mov_b32 s19, s15
	s_cselect_b32 s12, -1, 0
	s_lshl_b64 s[4:5], s[18:19], 2
	v_mov_b32_e32 v4, 0
	s_mov_b32 s17, s15
	v_lshlrev_b32_e32 v5, 1, v0
	s_waitcnt lgkmcnt(0)
	s_add_u32 s2, s2, s4
	s_addc_u32 s3, s3, s5
	s_lshr_b32 s10, s9, 9
	s_load_b64 s[24:25], s[2:3], 0x0
	s_load_b256 s[0:7], s[0:1], 0x0
	global_load_b32 v1, v4, s[20:21] offset:14
	s_and_b32 s10, s10, 0x7ffffe
	s_delay_alu instid0(SALU_CYCLE_1)
	s_sub_i32 s11, 0, s10
	s_lshl_b32 s10, s18, 10
	s_and_b32 s14, s18, s11
	s_or_b32 s11, s18, s11
	s_lshl_b32 s16, s14, 11
	s_lshl_b32 s14, s14, 10
	s_add_i32 s16, s16, s9
	s_sub_i32 s19, s10, s14
	s_sub_i32 s14, s16, s14
	s_add_i32 s16, s16, s19
	s_min_u32 s19, s8, s14
	s_add_i32 s9, s14, s9
	s_waitcnt lgkmcnt(0)
	s_sub_i32 s14, s16, s24
	s_sub_i32 s23, s16, s25
	s_min_u32 s16, s8, s14
	s_addk_i32 s23, 0x400
	s_cmp_eq_u32 s11, -1
	s_mov_b32 s14, s24
	s_cselect_b32 s9, s9, s23
	s_cselect_b32 s11, s19, s25
	s_min_u32 s19, s9, s8
	s_lshl_b64 s[26:27], s[14:15], 1
	s_sub_i32 s9, s11, s24
	s_sub_i32 s11, s19, s16
	s_add_u32 s23, s0, s26
	s_addc_u32 s24, s1, s27
	s_lshl_b64 s[26:27], s[16:17], 1
	v_cmp_gt_u32_e32 vcc_lo, s9, v0
	s_add_u32 s19, s0, s26
	s_addc_u32 s1, s1, s27
	s_cmp_lt_u32 s13, s22
	s_cselect_b32 s0, 12, 18
	s_delay_alu instid0(SALU_CYCLE_1)
	s_add_u32 s20, s20, s0
	s_addc_u32 s21, s21, 0
	s_cmp_eq_u32 s18, s28
	s_mov_b32 s0, -1
	s_waitcnt vmcnt(0)
	v_lshrrev_b32_e32 v3, 16, v1
	v_and_b32_e32 v1, 0xffff, v1
	global_load_u16 v2, v4, s[20:21]
	v_mul_lo_u32 v1, v1, v3
	s_waitcnt vmcnt(0)
	s_delay_alu instid0(VALU_DEP_1) | instskip(NEXT) | instid1(VALU_DEP_1)
	v_mul_lo_u32 v1, v1, v2
	v_add_nc_u32_e32 v1, v1, v0
	s_cbranch_scc1 .LBB185_3
; %bb.2:
	v_subrev_nc_u32_e32 v3, s9, v0
	v_add_co_u32 v6, s0, s23, v5
	s_delay_alu instid0(VALU_DEP_1) | instskip(NEXT) | instid1(VALU_DEP_3)
	v_add_co_ci_u32_e64 v7, null, s24, 0, s0
	v_lshlrev_b64 v[2:3], 1, v[3:4]
	s_add_i32 s13, s11, s9
	s_mov_b32 s18, -1
	s_delay_alu instid0(VALU_DEP_1) | instskip(NEXT) | instid1(VALU_DEP_1)
	v_add_co_u32 v2, s0, s19, v2
	v_add_co_ci_u32_e64 v3, s0, s1, v3, s0
	s_delay_alu instid0(VALU_DEP_1) | instskip(SKIP_3) | instid1(VALU_DEP_2)
	v_dual_cndmask_b32 v2, v2, v6 :: v_dual_cndmask_b32 v3, v3, v7
	global_load_u16 v6, v[2:3], off
	v_mov_b32_e32 v2, v4
	v_subrev_nc_u32_e32 v3, s9, v1
	v_lshlrev_b64 v[7:8], 1, v[1:2]
	s_delay_alu instid0(VALU_DEP_2) | instskip(NEXT) | instid1(VALU_DEP_2)
	v_lshlrev_b64 v[2:3], 1, v[3:4]
	v_add_co_u32 v4, vcc_lo, s23, v7
	s_delay_alu instid0(VALU_DEP_3) | instskip(NEXT) | instid1(VALU_DEP_3)
	v_add_co_ci_u32_e32 v7, vcc_lo, s24, v8, vcc_lo
	v_add_co_u32 v2, vcc_lo, s19, v2
	s_delay_alu instid0(VALU_DEP_4) | instskip(SKIP_1) | instid1(VALU_DEP_2)
	v_add_co_ci_u32_e32 v3, vcc_lo, s1, v3, vcc_lo
	v_cmp_gt_u32_e32 vcc_lo, s9, v1
	v_dual_cndmask_b32 v3, v3, v7 :: v_dual_cndmask_b32 v2, v2, v4
	s_cbranch_execz .LBB185_4
	s_branch .LBB185_9
.LBB185_3:
	s_mov_b32 s18, s15
                                        ; implicit-def: $vgpr2_vgpr3
                                        ; implicit-def: $vgpr6
                                        ; implicit-def: $sgpr13
	s_and_not1_b32 vcc_lo, exec_lo, s0
	s_cbranch_vccnz .LBB185_9
.LBB185_4:
	s_add_i32 s13, s11, s9
	s_mov_b32 s0, exec_lo
                                        ; implicit-def: $vgpr6
	v_cmpx_gt_u32_e64 s13, v0
	s_cbranch_execz .LBB185_6
; %bb.5:
	v_subrev_nc_u32_e32 v2, s9, v0
	v_add_co_u32 v4, s20, s23, v5
	v_mov_b32_e32 v3, 0
	s_waitcnt vmcnt(0)
	v_add_co_ci_u32_e64 v6, null, s24, 0, s20
	s_delay_alu instid0(VALU_DEP_2) | instskip(NEXT) | instid1(VALU_DEP_1)
	v_lshlrev_b64 v[2:3], 1, v[2:3]
	v_add_co_u32 v2, vcc_lo, s19, v2
	s_delay_alu instid0(VALU_DEP_2) | instskip(SKIP_1) | instid1(VALU_DEP_2)
	v_add_co_ci_u32_e32 v3, vcc_lo, s1, v3, vcc_lo
	v_cmp_gt_u32_e32 vcc_lo, s9, v0
	v_dual_cndmask_b32 v2, v2, v4 :: v_dual_cndmask_b32 v3, v3, v6
	global_load_u16 v6, v[2:3], off
.LBB185_6:
	s_or_b32 exec_lo, exec_lo, s0
	s_delay_alu instid0(SALU_CYCLE_1)
	s_mov_b32 s20, exec_lo
                                        ; implicit-def: $vgpr2_vgpr3
	v_cmpx_gt_u32_e64 s13, v1
	s_cbranch_execz .LBB185_8
; %bb.7:
	v_mov_b32_e32 v2, 0
	s_or_b32 s18, s18, exec_lo
	s_delay_alu instid0(VALU_DEP_1) | instskip(NEXT) | instid1(VALU_DEP_1)
	v_lshlrev_b64 v[3:4], 1, v[1:2]
	v_add_co_u32 v7, vcc_lo, s23, v3
	s_delay_alu instid0(VALU_DEP_2) | instskip(SKIP_2) | instid1(VALU_DEP_1)
	v_add_co_ci_u32_e32 v3, vcc_lo, s24, v4, vcc_lo
	v_cmp_gt_u32_e32 vcc_lo, s9, v1
	v_subrev_nc_u32_e32 v1, s9, v1
	v_lshlrev_b64 v[1:2], 1, v[1:2]
	s_delay_alu instid0(VALU_DEP_1) | instskip(NEXT) | instid1(VALU_DEP_1)
	v_add_co_u32 v1, s0, s19, v1
	v_add_co_ci_u32_e64 v2, s0, s1, v2, s0
	s_delay_alu instid0(VALU_DEP_1) | instskip(NEXT) | instid1(VALU_DEP_3)
	v_cndmask_b32_e32 v3, v2, v3, vcc_lo
	v_cndmask_b32_e32 v2, v1, v7, vcc_lo
.LBB185_8:
	s_or_b32 exec_lo, exec_lo, s20
.LBB185_9:
	v_mov_b32_e32 v7, s13
                                        ; implicit-def: $vgpr8
	s_and_saveexec_b32 s0, s18
	s_cbranch_execz .LBB185_11
; %bb.10:
	global_load_u16 v8, v[2:3], off
	v_mov_b32_e32 v7, s13
.LBB185_11:
	s_or_b32 exec_lo, exec_lo, s0
	s_delay_alu instid0(VALU_DEP_1)
	v_min_u32_e32 v2, v7, v5
	s_mov_b32 s0, exec_lo
	s_waitcnt vmcnt(0)
	ds_store_b16 v5, v6
	ds_store_b16 v5, v8 offset:1024
	s_waitcnt lgkmcnt(0)
	s_barrier
	v_sub_nc_u32_e64 v1, v2, s11 clamp
	v_min_u32_e32 v3, s9, v2
	buffer_gl0_inv
	v_cmpx_lt_u32_e64 v1, v3
	s_cbranch_execz .LBB185_15
; %bb.12:
	v_lshlrev_b32_e32 v4, 1, v2
	s_mov_b32 s1, 0
	s_delay_alu instid0(VALU_DEP_1)
	v_lshl_add_u32 v4, s9, 1, v4
	s_set_inst_prefetch_distance 0x1
	.p2align	6
.LBB185_13:                             ; =>This Inner Loop Header: Depth=1
	v_add_nc_u32_e32 v9, v3, v1
	s_delay_alu instid0(VALU_DEP_1) | instskip(SKIP_1) | instid1(VALU_DEP_2)
	v_lshrrev_b32_e32 v10, 1, v9
	v_and_b32_e32 v9, -2, v9
	v_not_b32_e32 v11, v10
	s_delay_alu instid0(VALU_DEP_1)
	v_lshl_add_u32 v11, v11, 1, v4
	ds_load_u16 v9, v9
	ds_load_u16 v11, v11
	s_waitcnt lgkmcnt(1)
	v_cmp_ne_u16_e32 vcc_lo, 0x8000, v9
	v_cndmask_b32_e32 v9, 0, v9, vcc_lo
	s_waitcnt lgkmcnt(0)
	v_cmp_ne_u16_e32 vcc_lo, 0x8000, v11
	v_cndmask_b32_e32 v11, 0, v11, vcc_lo
	s_delay_alu instid0(VALU_DEP_3) | instskip(SKIP_1) | instid1(VALU_DEP_3)
	v_cmp_lt_i16_e32 vcc_lo, -1, v9
	v_cndmask_b32_e64 v12, -1, 0xffff8000, vcc_lo
	v_cmp_lt_i16_e32 vcc_lo, -1, v11
	s_delay_alu instid0(VALU_DEP_2) | instskip(SKIP_2) | instid1(VALU_DEP_1)
	v_xor_b32_e32 v9, v12, v9
	v_add_nc_u32_e32 v12, 1, v10
	v_cndmask_b32_e64 v13, -1, 0xffff8000, vcc_lo
	v_xor_b32_e32 v11, v13, v11
	s_delay_alu instid0(VALU_DEP_1) | instskip(SKIP_2) | instid1(VALU_DEP_1)
	v_cmp_gt_u16_e32 vcc_lo, v11, v9
	v_cndmask_b32_e32 v3, v3, v10, vcc_lo
	v_cndmask_b32_e32 v1, v12, v1, vcc_lo
	v_cmp_ge_u32_e32 vcc_lo, v1, v3
	s_or_b32 s1, vcc_lo, s1
	s_delay_alu instid0(SALU_CYCLE_1)
	s_and_not1_b32 exec_lo, exec_lo, s1
	s_cbranch_execnz .LBB185_13
; %bb.14:
	s_set_inst_prefetch_distance 0x2
	s_or_b32 exec_lo, exec_lo, s1
.LBB185_15:
	s_delay_alu instid0(SALU_CYCLE_1) | instskip(SKIP_2) | instid1(VALU_DEP_2)
	s_or_b32 exec_lo, exec_lo, s0
	v_sub_nc_u32_e32 v2, v2, v1
	v_cmp_ge_u32_e32 vcc_lo, s9, v1
                                        ; implicit-def: $vgpr10
                                        ; implicit-def: $vgpr11
	v_add_nc_u32_e32 v4, s9, v2
	s_delay_alu instid0(VALU_DEP_1) | instskip(NEXT) | instid1(VALU_DEP_1)
	v_cmp_le_u32_e64 s0, v4, v7
	s_or_b32 s0, vcc_lo, s0
	s_delay_alu instid0(SALU_CYCLE_1)
	s_and_saveexec_b32 s1, s0
	s_cbranch_execz .LBB185_27
; %bb.16:
	v_cmp_le_u32_e32 vcc_lo, s9, v1
	s_mov_b32 s13, exec_lo
                                        ; implicit-def: $vgpr2
	v_cmpx_gt_u32_e64 s9, v1
	s_cbranch_execz .LBB185_18
; %bb.17:
	v_lshlrev_b32_e32 v2, 1, v1
	ds_load_u16 v2, v2
.LBB185_18:
	s_or_b32 exec_lo, exec_lo, s13
	v_cmp_ge_u32_e64 s13, v4, v7
	s_mov_b32 s18, exec_lo
                                        ; implicit-def: $vgpr3
	v_cmpx_lt_u32_e64 v4, v7
	s_cbranch_execz .LBB185_20
; %bb.19:
	v_lshlrev_b32_e32 v3, 1, v4
	ds_load_u16 v3, v3
.LBB185_20:
	s_or_b32 exec_lo, exec_lo, s18
	s_or_b32 s18, vcc_lo, s13
	s_mov_b32 s0, -1
	s_xor_b32 s19, s18, -1
	s_delay_alu instid0(SALU_CYCLE_1)
	s_and_saveexec_b32 s18, s19
	s_cbranch_execz .LBB185_22
; %bb.21:
	s_waitcnt lgkmcnt(0)
	v_cmp_ne_u16_e32 vcc_lo, 0x8000, v3
	s_and_not1_b32 s13, s13, exec_lo
	v_cndmask_b32_e32 v6, 0, v3, vcc_lo
	v_cmp_ne_u16_e32 vcc_lo, 0x8000, v2
	v_cndmask_b32_e32 v8, 0, v2, vcc_lo
	s_delay_alu instid0(VALU_DEP_3) | instskip(SKIP_1) | instid1(VALU_DEP_3)
	v_cmp_lt_i16_e32 vcc_lo, -1, v6
	v_cndmask_b32_e64 v9, -1, 0xffff8000, vcc_lo
	v_cmp_lt_i16_e32 vcc_lo, -1, v8
	s_delay_alu instid0(VALU_DEP_2) | instskip(SKIP_1) | instid1(VALU_DEP_1)
	v_xor_b32_e32 v6, v9, v6
	v_cndmask_b32_e64 v10, -1, 0xffff8000, vcc_lo
	v_xor_b32_e32 v8, v10, v8
	s_delay_alu instid0(VALU_DEP_1) | instskip(SKIP_1) | instid1(SALU_CYCLE_1)
	v_cmp_le_u16_e32 vcc_lo, v6, v8
	s_and_b32 s19, vcc_lo, exec_lo
	s_or_b32 s13, s13, s19
.LBB185_22:
	s_or_b32 exec_lo, exec_lo, s18
	v_cndmask_b32_e64 v11, v4, v1, s13
	v_cndmask_b32_e64 v6, v7, s9, s13
	s_mov_b32 s18, exec_lo
	s_delay_alu instid0(VALU_DEP_2) | instskip(NEXT) | instid1(VALU_DEP_2)
	v_add_nc_u32_e32 v8, 1, v11
	v_add_nc_u32_e32 v6, -1, v6
	s_delay_alu instid0(VALU_DEP_2) | instskip(NEXT) | instid1(VALU_DEP_2)
	v_cndmask_b32_e64 v4, v8, v4, s13
	v_min_u32_e32 v6, v8, v6
	v_cndmask_b32_e64 v8, v1, v8, s13
	s_delay_alu instid0(VALU_DEP_2)
	v_lshlrev_b32_e32 v6, 1, v6
	ds_load_u16 v6, v6
	s_waitcnt lgkmcnt(0)
	v_cndmask_b32_e64 v1, v6, v3, s13
	v_cndmask_b32_e64 v9, v2, v6, s13
	v_cmpx_lt_u32_e64 v4, v7
	s_cbranch_execz .LBB185_26
; %bb.23:
	s_mov_b32 s19, 0
	s_mov_b32 s0, exec_lo
	v_cmpx_gt_u32_e64 s9, v8
	s_cbranch_execz .LBB185_25
; %bb.24:
	v_cmp_ne_u16_e32 vcc_lo, 0x8000, v1
	v_cndmask_b32_e32 v6, 0, v1, vcc_lo
	v_cmp_ne_u16_e32 vcc_lo, 0x8000, v9
	v_cndmask_b32_e32 v10, 0, v9, vcc_lo
	s_delay_alu instid0(VALU_DEP_3) | instskip(SKIP_1) | instid1(VALU_DEP_3)
	v_cmp_lt_i16_e32 vcc_lo, -1, v6
	v_cndmask_b32_e64 v12, -1, 0xffff8000, vcc_lo
	v_cmp_lt_i16_e32 vcc_lo, -1, v10
	s_delay_alu instid0(VALU_DEP_2) | instskip(SKIP_1) | instid1(VALU_DEP_1)
	v_xor_b32_e32 v6, v12, v6
	v_cndmask_b32_e64 v13, -1, 0xffff8000, vcc_lo
	v_xor_b32_e32 v10, v13, v10
	s_delay_alu instid0(VALU_DEP_1)
	v_cmp_le_u16_e32 vcc_lo, v6, v10
	s_and_b32 s19, vcc_lo, exec_lo
.LBB185_25:
	s_or_b32 exec_lo, exec_lo, s0
	s_delay_alu instid0(SALU_CYCLE_1)
	s_or_not1_b32 s0, s19, exec_lo
.LBB185_26:
	s_or_b32 exec_lo, exec_lo, s18
	v_cndmask_b32_e64 v6, v3, v2, s13
	v_cndmask_b32_e64 v10, v4, v8, s0
	;; [unrolled: 1-line block ×3, first 2 shown]
.LBB185_27:
	s_or_b32 exec_lo, exec_lo, s1
	s_lshl_b64 s[0:1], s[14:15], 3
	v_or_b32_e32 v9, 0x200, v0
	s_add_u32 s13, s4, s0
	s_addc_u32 s14, s5, s1
	s_lshl_b64 s[16:17], s[16:17], 3
	v_cmp_gt_u32_e64 s1, s9, v0
	v_cmp_le_u32_e64 s0, s9, v0
	s_add_u32 s4, s4, s16
	s_mov_b32 s15, 0
	s_addc_u32 s5, s5, s17
	s_and_not1_b32 vcc_lo, exec_lo, s12
	s_barrier
	buffer_gl0_inv
	s_cbranch_vccnz .LBB185_29
; %bb.28:
	v_subrev_nc_u32_e32 v1, s9, v0
	v_mov_b32_e32 v2, 0
	v_lshlrev_b32_e32 v14, 3, v0
	s_delay_alu instid0(VALU_DEP_2) | instskip(NEXT) | instid1(VALU_DEP_2)
	v_lshlrev_b64 v[3:4], 3, v[1:2]
	v_add_co_u32 v15, s15, s13, v14
	s_delay_alu instid0(VALU_DEP_1) | instskip(SKIP_1) | instid1(VALU_DEP_3)
	v_add_co_ci_u32_e64 v16, null, s14, 0, s15
	s_mov_b32 s15, -1
	v_add_co_u32 v1, vcc_lo, s4, v3
	s_delay_alu instid0(VALU_DEP_4) | instskip(NEXT) | instid1(VALU_DEP_1)
	v_add_co_ci_u32_e32 v3, vcc_lo, s5, v4, vcc_lo
	v_cndmask_b32_e64 v4, v3, v16, s1
	s_delay_alu instid0(VALU_DEP_3)
	v_cndmask_b32_e64 v3, v1, v15, s1
	v_subrev_nc_u32_e32 v1, s9, v9
	global_load_b64 v[12:13], v[3:4], off
	v_lshlrev_b64 v[1:2], 3, v[1:2]
	v_add_co_u32 v3, vcc_lo, 0x1000, v15
	v_add_co_ci_u32_e32 v4, vcc_lo, 0, v16, vcc_lo
	s_delay_alu instid0(VALU_DEP_3) | instskip(NEXT) | instid1(VALU_DEP_4)
	v_add_co_u32 v1, vcc_lo, s4, v1
	v_add_co_ci_u32_e32 v2, vcc_lo, s5, v2, vcc_lo
	v_cmp_gt_u32_e32 vcc_lo, s9, v9
	s_delay_alu instid0(VALU_DEP_2)
	v_dual_cndmask_b32 v1, v1, v3 :: v_dual_cndmask_b32 v2, v2, v4
	v_or_b32_e32 v4, 0x1000, v14
	s_waitcnt vmcnt(0)
	ds_store_b64 v14, v[12:13]
	s_cbranch_execz .LBB185_30
	s_branch .LBB185_41
.LBB185_29:
                                        ; implicit-def: $vgpr4
                                        ; implicit-def: $vgpr1_vgpr2
.LBB185_30:
	s_mov_b32 s1, 0
                                        ; implicit-def: $vgpr1_vgpr2
	s_and_saveexec_b32 s16, s0
	s_delay_alu instid0(SALU_CYCLE_1)
	s_xor_b32 s0, exec_lo, s16
	s_cbranch_execnz .LBB185_62
; %bb.31:
	s_and_not1_saveexec_b32 s0, s0
	s_cbranch_execnz .LBB185_65
.LBB185_32:
	s_or_b32 exec_lo, exec_lo, s0
	s_and_saveexec_b32 s0, s1
	s_cbranch_execz .LBB185_34
.LBB185_33:
	global_load_b64 v[1:2], v[1:2], off
	v_mad_u32_u24 v3, v0, 6, v5
	s_waitcnt vmcnt(0)
	ds_store_b64 v3, v[1:2]
.LBB185_34:
	s_or_b32 exec_lo, exec_lo, s0
	s_delay_alu instid0(SALU_CYCLE_1)
	s_mov_b32 s0, exec_lo
                                        ; implicit-def: $vgpr4
                                        ; implicit-def: $vgpr1_vgpr2
	v_cmpx_le_u32_e64 s9, v9
	s_xor_b32 s0, exec_lo, s0
	s_cbranch_execz .LBB185_38
; %bb.35:
	v_subrev_nc_u32_e32 v3, s9, v9
	s_mov_b32 s9, s15
	s_mov_b32 s1, exec_lo
                                        ; implicit-def: $vgpr4
                                        ; implicit-def: $vgpr1_vgpr2
	s_delay_alu instid0(VALU_DEP_1)
	v_cmpx_gt_u32_e64 s11, v3
; %bb.36:
	v_mov_b32_e32 v4, 0
	v_mul_u32_u24_e32 v12, 6, v0
	s_or_b32 s9, s15, exec_lo
	s_delay_alu instid0(VALU_DEP_2) | instskip(NEXT) | instid1(VALU_DEP_2)
	v_lshlrev_b64 v[1:2], 3, v[3:4]
	v_add3_u32 v4, v5, v12, 0x1000
	s_delay_alu instid0(VALU_DEP_2) | instskip(NEXT) | instid1(VALU_DEP_3)
	v_add_co_u32 v1, vcc_lo, s4, v1
	v_add_co_ci_u32_e32 v2, vcc_lo, s5, v2, vcc_lo
; %bb.37:
	s_or_b32 exec_lo, exec_lo, s1
	s_delay_alu instid0(SALU_CYCLE_1) | instskip(SKIP_1) | instid1(SALU_CYCLE_1)
	s_and_not1_b32 s1, s15, exec_lo
	s_and_b32 s4, s9, exec_lo
	s_or_b32 s15, s1, s4
.LBB185_38:
	s_and_not1_saveexec_b32 s0, s0
; %bb.39:
	v_lshlrev_b32_e32 v1, 3, v9
	v_mul_u32_u24_e32 v3, 6, v0
	s_or_b32 s15, s15, exec_lo
	s_delay_alu instid0(VALU_DEP_2) | instskip(NEXT) | instid1(VALU_DEP_1)
	v_add_co_u32 v1, s1, s13, v1
	v_add_co_ci_u32_e64 v2, null, s14, 0, s1
	s_delay_alu instid0(VALU_DEP_3)
	v_add3_u32 v4, v5, v3, 0x1000
; %bb.40:
	s_or_b32 exec_lo, exec_lo, s0
.LBB185_41:
	s_and_saveexec_b32 s0, s15
	s_cbranch_execz .LBB185_43
; %bb.42:
	global_load_b64 v[1:2], v[1:2], off
	s_waitcnt vmcnt(0)
	ds_store_b64 v4, v[1:2]
.LBB185_43:
	s_or_b32 exec_lo, exec_lo, s0
	v_add_nc_u32_e32 v1, s10, v5
	s_and_not1_b32 vcc_lo, exec_lo, s12
	s_waitcnt lgkmcnt(0)
	s_barrier
	buffer_gl0_inv
	s_cbranch_vccnz .LBB185_45
; %bb.44:
	v_lshlrev_b32_e32 v2, 3, v11
	s_mov_b32 s0, -1
	ds_load_b64 v[3:4], v2
	v_mov_b32_e32 v2, 0
	s_delay_alu instid0(VALU_DEP_1) | instskip(NEXT) | instid1(VALU_DEP_1)
	v_lshlrev_b64 v[12:13], 3, v[1:2]
	v_add_co_u32 v12, vcc_lo, s6, v12
	s_delay_alu instid0(VALU_DEP_2)
	v_add_co_ci_u32_e32 v13, vcc_lo, s7, v13, vcc_lo
	s_waitcnt lgkmcnt(0)
	global_store_b64 v[12:13], v[3:4], off
	s_cbranch_execz .LBB185_46
	s_branch .LBB185_51
.LBB185_45:
	s_mov_b32 s0, 0
.LBB185_46:
	s_mov_b32 s1, exec_lo
	v_cmpx_lt_u32_e64 v5, v7
	s_cbranch_execz .LBB185_48
; %bb.47:
	v_lshlrev_b32_e32 v2, 3, v11
	ds_load_b64 v[3:4], v2
	v_mov_b32_e32 v2, 0
	s_delay_alu instid0(VALU_DEP_1) | instskip(NEXT) | instid1(VALU_DEP_1)
	v_lshlrev_b64 v[11:12], 3, v[1:2]
	v_add_co_u32 v11, vcc_lo, s6, v11
	s_delay_alu instid0(VALU_DEP_2)
	v_add_co_ci_u32_e32 v12, vcc_lo, s7, v12, vcc_lo
	s_waitcnt lgkmcnt(0)
	global_store_b64 v[11:12], v[3:4], off
.LBB185_48:
	s_or_b32 exec_lo, exec_lo, s1
	v_or_b32_e32 v2, 1, v5
	s_mov_b32 s1, exec_lo
	s_delay_alu instid0(VALU_DEP_1)
	v_cmpx_lt_u32_e64 v2, v7
; %bb.49:
	v_mov_b32_e32 v2, 0
	s_or_b32 s0, s0, exec_lo
; %bb.50:
	s_or_b32 exec_lo, exec_lo, s1
.LBB185_51:
	s_and_saveexec_b32 s1, s0
	s_cbranch_execz .LBB185_53
; %bb.52:
	v_lshlrev_b32_e32 v3, 3, v10
	v_lshlrev_b64 v[1:2], 3, v[1:2]
	ds_load_b64 v[3:4], v3
	v_add_co_u32 v1, vcc_lo, s6, v1
	v_add_co_ci_u32_e32 v2, vcc_lo, s7, v2, vcc_lo
	s_waitcnt lgkmcnt(0)
	global_store_b64 v[1:2], v[3:4], off offset:8
.LBB185_53:
	s_or_b32 exec_lo, exec_lo, s1
	v_lshrrev_b32_e32 v1, 4, v0
	v_lshrrev_b32_e32 v3, 4, v9
	s_mov_b32 s11, 0
	v_perm_b32 v4, v8, v6, 0x5040100
	s_lshl_b64 s[0:1], s[10:11], 1
	v_and_b32_e32 v2, 30, v1
	v_and_b32_e32 v1, 28, v1
	;; [unrolled: 1-line block ×3, first 2 shown]
	s_add_u32 s0, s2, s0
	s_addc_u32 s1, s3, s1
	v_add_lshl_u32 v2, v2, v5, 1
	v_add_nc_u32_e32 v3, v5, v1
	v_add_co_u32 v1, s0, s0, v5
	s_waitcnt_vscnt null, 0x0
	s_barrier
	buffer_gl0_inv
	s_barrier
	buffer_gl0_inv
	ds_store_b32 v2, v4
	v_add_nc_u32_e32 v6, v5, v6
	v_add_co_ci_u32_e64 v2, null, s1, 0, s0
	s_and_b32 vcc_lo, exec_lo, s12
	s_waitcnt lgkmcnt(0)
	s_cbranch_vccz .LBB185_55
; %bb.54:
	s_barrier
	buffer_gl0_inv
	ds_load_u16 v5, v3
	ds_load_u16 v4, v6 offset:1024
	s_mov_b32 s11, -1
	s_waitcnt lgkmcnt(1)
	global_store_b16 v[1:2], v5, off
	s_cbranch_execz .LBB185_56
	s_branch .LBB185_59
.LBB185_55:
                                        ; implicit-def: $vgpr4
.LBB185_56:
	s_waitcnt lgkmcnt(0)
	s_waitcnt_vscnt null, 0x0
	s_barrier
	buffer_gl0_inv
	ds_load_u16 v4, v6 offset:1024
	s_sub_i32 s0, s8, s10
	s_mov_b32 s1, exec_lo
	v_cmpx_gt_u32_e64 s0, v0
	s_cbranch_execz .LBB185_58
; %bb.57:
	ds_load_u16 v0, v3
	s_waitcnt lgkmcnt(0)
	global_store_b16 v[1:2], v0, off
.LBB185_58:
	s_or_b32 exec_lo, exec_lo, s1
	v_cmp_gt_u32_e64 s11, s0, v9
.LBB185_59:
	s_delay_alu instid0(VALU_DEP_1)
	s_and_saveexec_b32 s0, s11
	s_cbranch_execz .LBB185_61
; %bb.60:
	s_waitcnt lgkmcnt(0)
	global_store_b16 v[1:2], v4, off offset:1024
.LBB185_61:
	s_nop 0
	s_sendmsg sendmsg(MSG_DEALLOC_VGPRS)
	s_endpgm
.LBB185_62:
	v_subrev_nc_u32_e32 v3, s9, v0
	s_mov_b32 s16, exec_lo
                                        ; implicit-def: $vgpr1_vgpr2
	s_delay_alu instid0(VALU_DEP_1)
	v_cmpx_gt_u32_e64 s11, v3
	s_xor_b32 s16, exec_lo, s16
; %bb.63:
	v_mov_b32_e32 v4, 0
	s_mov_b32 s1, exec_lo
	s_delay_alu instid0(VALU_DEP_1) | instskip(NEXT) | instid1(VALU_DEP_1)
	v_lshlrev_b64 v[1:2], 3, v[3:4]
	v_add_co_u32 v1, vcc_lo, s4, v1
	s_delay_alu instid0(VALU_DEP_2)
	v_add_co_ci_u32_e32 v2, vcc_lo, s5, v2, vcc_lo
; %bb.64:
	s_or_b32 exec_lo, exec_lo, s16
	s_delay_alu instid0(SALU_CYCLE_1)
	s_and_b32 s1, s1, exec_lo
	s_and_not1_saveexec_b32 s0, s0
	s_cbranch_execz .LBB185_32
.LBB185_65:
	v_lshlrev_b32_e32 v1, 3, v0
	s_or_b32 s1, s1, exec_lo
	s_delay_alu instid0(VALU_DEP_1) | instskip(NEXT) | instid1(VALU_DEP_1)
	v_add_co_u32 v1, s16, s13, v1
	v_add_co_ci_u32_e64 v2, null, s14, 0, s16
	s_or_b32 exec_lo, exec_lo, s0
	s_and_saveexec_b32 s0, s1
	s_cbranch_execnz .LBB185_33
	s_branch .LBB185_34
	.section	.rodata,"a",@progbits
	.p2align	6, 0x0
	.amdhsa_kernel _ZN7rocprim17ROCPRIM_304000_NS6detail35device_block_merge_mergepath_kernelINS1_37wrapped_merge_sort_block_merge_configINS0_14default_configE6__halfN2at4cuda3cub6detail10OpaqueTypeILi8EEEEEPS5_SD_PSB_SE_jNS1_19radix_merge_compareILb1ELb0ES5_NS0_19identity_decomposerEEEEEvT0_T1_T2_T3_T4_SM_jT5_PKSM_NS1_7vsmem_tE
		.amdhsa_group_segment_fixed_size 8208
		.amdhsa_private_segment_fixed_size 0
		.amdhsa_kernarg_size 320
		.amdhsa_user_sgpr_count 13
		.amdhsa_user_sgpr_dispatch_ptr 0
		.amdhsa_user_sgpr_queue_ptr 0
		.amdhsa_user_sgpr_kernarg_segment_ptr 1
		.amdhsa_user_sgpr_dispatch_id 0
		.amdhsa_user_sgpr_private_segment_size 0
		.amdhsa_wavefront_size32 1
		.amdhsa_uses_dynamic_stack 0
		.amdhsa_enable_private_segment 0
		.amdhsa_system_sgpr_workgroup_id_x 1
		.amdhsa_system_sgpr_workgroup_id_y 1
		.amdhsa_system_sgpr_workgroup_id_z 1
		.amdhsa_system_sgpr_workgroup_info 0
		.amdhsa_system_vgpr_workitem_id 0
		.amdhsa_next_free_vgpr 17
		.amdhsa_next_free_sgpr 29
		.amdhsa_reserve_vcc 1
		.amdhsa_float_round_mode_32 0
		.amdhsa_float_round_mode_16_64 0
		.amdhsa_float_denorm_mode_32 3
		.amdhsa_float_denorm_mode_16_64 3
		.amdhsa_dx10_clamp 1
		.amdhsa_ieee_mode 1
		.amdhsa_fp16_overflow 0
		.amdhsa_workgroup_processor_mode 1
		.amdhsa_memory_ordered 1
		.amdhsa_forward_progress 0
		.amdhsa_shared_vgpr_count 0
		.amdhsa_exception_fp_ieee_invalid_op 0
		.amdhsa_exception_fp_denorm_src 0
		.amdhsa_exception_fp_ieee_div_zero 0
		.amdhsa_exception_fp_ieee_overflow 0
		.amdhsa_exception_fp_ieee_underflow 0
		.amdhsa_exception_fp_ieee_inexact 0
		.amdhsa_exception_int_div_zero 0
	.end_amdhsa_kernel
	.section	.text._ZN7rocprim17ROCPRIM_304000_NS6detail35device_block_merge_mergepath_kernelINS1_37wrapped_merge_sort_block_merge_configINS0_14default_configE6__halfN2at4cuda3cub6detail10OpaqueTypeILi8EEEEEPS5_SD_PSB_SE_jNS1_19radix_merge_compareILb1ELb0ES5_NS0_19identity_decomposerEEEEEvT0_T1_T2_T3_T4_SM_jT5_PKSM_NS1_7vsmem_tE,"axG",@progbits,_ZN7rocprim17ROCPRIM_304000_NS6detail35device_block_merge_mergepath_kernelINS1_37wrapped_merge_sort_block_merge_configINS0_14default_configE6__halfN2at4cuda3cub6detail10OpaqueTypeILi8EEEEEPS5_SD_PSB_SE_jNS1_19radix_merge_compareILb1ELb0ES5_NS0_19identity_decomposerEEEEEvT0_T1_T2_T3_T4_SM_jT5_PKSM_NS1_7vsmem_tE,comdat
.Lfunc_end185:
	.size	_ZN7rocprim17ROCPRIM_304000_NS6detail35device_block_merge_mergepath_kernelINS1_37wrapped_merge_sort_block_merge_configINS0_14default_configE6__halfN2at4cuda3cub6detail10OpaqueTypeILi8EEEEEPS5_SD_PSB_SE_jNS1_19radix_merge_compareILb1ELb0ES5_NS0_19identity_decomposerEEEEEvT0_T1_T2_T3_T4_SM_jT5_PKSM_NS1_7vsmem_tE, .Lfunc_end185-_ZN7rocprim17ROCPRIM_304000_NS6detail35device_block_merge_mergepath_kernelINS1_37wrapped_merge_sort_block_merge_configINS0_14default_configE6__halfN2at4cuda3cub6detail10OpaqueTypeILi8EEEEEPS5_SD_PSB_SE_jNS1_19radix_merge_compareILb1ELb0ES5_NS0_19identity_decomposerEEEEEvT0_T1_T2_T3_T4_SM_jT5_PKSM_NS1_7vsmem_tE
                                        ; -- End function
	.section	.AMDGPU.csdata,"",@progbits
; Kernel info:
; codeLenInByte = 2764
; NumSgprs: 31
; NumVgprs: 17
; ScratchSize: 0
; MemoryBound: 1
; FloatMode: 240
; IeeeMode: 1
; LDSByteSize: 8208 bytes/workgroup (compile time only)
; SGPRBlocks: 3
; VGPRBlocks: 2
; NumSGPRsForWavesPerEU: 31
; NumVGPRsForWavesPerEU: 17
; Occupancy: 16
; WaveLimiterHint : 1
; COMPUTE_PGM_RSRC2:SCRATCH_EN: 0
; COMPUTE_PGM_RSRC2:USER_SGPR: 13
; COMPUTE_PGM_RSRC2:TRAP_HANDLER: 0
; COMPUTE_PGM_RSRC2:TGID_X_EN: 1
; COMPUTE_PGM_RSRC2:TGID_Y_EN: 1
; COMPUTE_PGM_RSRC2:TGID_Z_EN: 1
; COMPUTE_PGM_RSRC2:TIDIG_COMP_CNT: 0
	.section	.text._ZN7rocprim17ROCPRIM_304000_NS6detail33device_block_merge_oddeven_kernelINS1_37wrapped_merge_sort_block_merge_configINS0_14default_configE6__halfN2at4cuda3cub6detail10OpaqueTypeILi8EEEEEPS5_SD_PSB_SE_jNS1_19radix_merge_compareILb1ELb0ES5_NS0_19identity_decomposerEEEEEvT0_T1_T2_T3_T4_SM_T5_,"axG",@progbits,_ZN7rocprim17ROCPRIM_304000_NS6detail33device_block_merge_oddeven_kernelINS1_37wrapped_merge_sort_block_merge_configINS0_14default_configE6__halfN2at4cuda3cub6detail10OpaqueTypeILi8EEEEEPS5_SD_PSB_SE_jNS1_19radix_merge_compareILb1ELb0ES5_NS0_19identity_decomposerEEEEEvT0_T1_T2_T3_T4_SM_T5_,comdat
	.protected	_ZN7rocprim17ROCPRIM_304000_NS6detail33device_block_merge_oddeven_kernelINS1_37wrapped_merge_sort_block_merge_configINS0_14default_configE6__halfN2at4cuda3cub6detail10OpaqueTypeILi8EEEEEPS5_SD_PSB_SE_jNS1_19radix_merge_compareILb1ELb0ES5_NS0_19identity_decomposerEEEEEvT0_T1_T2_T3_T4_SM_T5_ ; -- Begin function _ZN7rocprim17ROCPRIM_304000_NS6detail33device_block_merge_oddeven_kernelINS1_37wrapped_merge_sort_block_merge_configINS0_14default_configE6__halfN2at4cuda3cub6detail10OpaqueTypeILi8EEEEEPS5_SD_PSB_SE_jNS1_19radix_merge_compareILb1ELb0ES5_NS0_19identity_decomposerEEEEEvT0_T1_T2_T3_T4_SM_T5_
	.globl	_ZN7rocprim17ROCPRIM_304000_NS6detail33device_block_merge_oddeven_kernelINS1_37wrapped_merge_sort_block_merge_configINS0_14default_configE6__halfN2at4cuda3cub6detail10OpaqueTypeILi8EEEEEPS5_SD_PSB_SE_jNS1_19radix_merge_compareILb1ELb0ES5_NS0_19identity_decomposerEEEEEvT0_T1_T2_T3_T4_SM_T5_
	.p2align	8
	.type	_ZN7rocprim17ROCPRIM_304000_NS6detail33device_block_merge_oddeven_kernelINS1_37wrapped_merge_sort_block_merge_configINS0_14default_configE6__halfN2at4cuda3cub6detail10OpaqueTypeILi8EEEEEPS5_SD_PSB_SE_jNS1_19radix_merge_compareILb1ELb0ES5_NS0_19identity_decomposerEEEEEvT0_T1_T2_T3_T4_SM_T5_,@function
_ZN7rocprim17ROCPRIM_304000_NS6detail33device_block_merge_oddeven_kernelINS1_37wrapped_merge_sort_block_merge_configINS0_14default_configE6__halfN2at4cuda3cub6detail10OpaqueTypeILi8EEEEEPS5_SD_PSB_SE_jNS1_19radix_merge_compareILb1ELb0ES5_NS0_19identity_decomposerEEEEEvT0_T1_T2_T3_T4_SM_T5_: ; @_ZN7rocprim17ROCPRIM_304000_NS6detail33device_block_merge_oddeven_kernelINS1_37wrapped_merge_sort_block_merge_configINS0_14default_configE6__halfN2at4cuda3cub6detail10OpaqueTypeILi8EEEEEPS5_SD_PSB_SE_jNS1_19radix_merge_compareILb1ELb0ES5_NS0_19identity_decomposerEEEEEvT0_T1_T2_T3_T4_SM_T5_
; %bb.0:
	s_load_b64 s[16:17], s[0:1], 0x20
	s_waitcnt lgkmcnt(0)
	s_lshr_b32 s2, s16, 8
	s_delay_alu instid0(SALU_CYCLE_1) | instskip(SKIP_4) | instid1(SALU_CYCLE_1)
	s_cmp_lg_u32 s15, s2
	s_cselect_b32 s4, -1, 0
	s_cmp_eq_u32 s15, s2
	s_cselect_b32 s3, -1, 0
	s_lshl_b32 s12, s15, 8
	s_sub_i32 s2, s16, s12
	s_delay_alu instid0(SALU_CYCLE_1) | instskip(NEXT) | instid1(VALU_DEP_1)
	v_cmp_gt_u32_e64 s2, s2, v0
	s_or_b32 s4, s4, s2
	s_delay_alu instid0(SALU_CYCLE_1)
	s_and_saveexec_b32 s5, s4
	s_cbranch_execz .LBB186_26
; %bb.1:
	s_load_b256 s[4:11], s[0:1], 0x0
	s_mov_b32 s13, 0
	v_lshlrev_b32_e32 v1, 3, v0
	s_lshl_b64 s[0:1], s[12:13], 1
	v_lshlrev_b32_e32 v3, 1, v0
	v_add_nc_u32_e32 v5, s12, v0
	s_waitcnt lgkmcnt(0)
	s_add_u32 s0, s4, s0
	s_addc_u32 s1, s5, s1
	s_lshl_b64 s[18:19], s[12:13], 3
	s_delay_alu instid0(SALU_CYCLE_1) | instskip(SKIP_4) | instid1(SALU_CYCLE_1)
	s_add_u32 s8, s8, s18
	s_addc_u32 s9, s9, s19
	global_load_b64 v[1:2], v1, s[8:9]
	global_load_u16 v7, v3, s[0:1]
	s_lshr_b32 s0, s17, 8
	s_sub_i32 s1, 0, s0
	s_delay_alu instid0(SALU_CYCLE_1) | instskip(NEXT) | instid1(SALU_CYCLE_1)
	s_and_b32 s1, s15, s1
	s_and_b32 s0, s1, s0
	s_lshl_b32 s9, s1, 8
	s_sub_i32 s1, 0, s17
	s_cmp_eq_u32 s0, 0
	s_cselect_b32 s0, -1, 0
	s_delay_alu instid0(SALU_CYCLE_1) | instskip(SKIP_1) | instid1(SALU_CYCLE_1)
	s_and_b32 s8, s0, exec_lo
	s_cselect_b32 s1, s17, s1
	s_add_i32 s1, s1, s9
	s_delay_alu instid0(SALU_CYCLE_1)
	s_cmp_lt_u32 s1, s16
	s_cbranch_scc1 .LBB186_6
; %bb.2:
	s_and_b32 vcc_lo, exec_lo, s3
	s_cbranch_vccz .LBB186_7
; %bb.3:
	s_mov_b32 s8, 0
	s_mov_b32 s12, exec_lo
                                        ; implicit-def: $vgpr3_vgpr4
	v_cmpx_gt_u32_e64 s16, v5
	s_cbranch_execz .LBB186_5
; %bb.4:
	v_mov_b32_e32 v6, 0
	s_mov_b32 s13, exec_lo
	s_delay_alu instid0(VALU_DEP_1) | instskip(SKIP_1) | instid1(VALU_DEP_2)
	v_lshlrev_b64 v[3:4], 1, v[5:6]
	v_lshlrev_b64 v[8:9], 3, v[5:6]
	v_add_co_u32 v10, vcc_lo, s6, v3
	s_delay_alu instid0(VALU_DEP_3) | instskip(NEXT) | instid1(VALU_DEP_3)
	v_add_co_ci_u32_e32 v11, vcc_lo, s7, v4, vcc_lo
	v_add_co_u32 v3, vcc_lo, s10, v8
	s_delay_alu instid0(VALU_DEP_4)
	v_add_co_ci_u32_e32 v4, vcc_lo, s11, v9, vcc_lo
	s_waitcnt vmcnt(0)
	global_store_b16 v[10:11], v7, off
.LBB186_5:
	s_or_b32 exec_lo, exec_lo, s12
	s_delay_alu instid0(SALU_CYCLE_1)
	s_and_b32 vcc_lo, exec_lo, s8
	s_cbranch_vccnz .LBB186_8
	s_branch .LBB186_9
.LBB186_6:
                                        ; implicit-def: $vgpr3_vgpr4
	s_cbranch_execnz .LBB186_10
	s_branch .LBB186_24
.LBB186_7:
                                        ; implicit-def: $vgpr3_vgpr4
	s_cbranch_execz .LBB186_9
.LBB186_8:
	v_mov_b32_e32 v6, 0
	s_or_b32 s13, s13, exec_lo
	s_delay_alu instid0(VALU_DEP_1) | instskip(SKIP_1) | instid1(VALU_DEP_2)
	v_lshlrev_b64 v[3:4], 1, v[5:6]
	v_lshlrev_b64 v[8:9], 3, v[5:6]
	v_add_co_u32 v10, vcc_lo, s6, v3
	s_delay_alu instid0(VALU_DEP_3) | instskip(NEXT) | instid1(VALU_DEP_3)
	v_add_co_ci_u32_e32 v11, vcc_lo, s7, v4, vcc_lo
	v_add_co_u32 v3, vcc_lo, s10, v8
	s_delay_alu instid0(VALU_DEP_4)
	v_add_co_ci_u32_e32 v4, vcc_lo, s11, v9, vcc_lo
	s_waitcnt vmcnt(0)
	global_store_b16 v[10:11], v7, off
.LBB186_9:
	s_branch .LBB186_24
.LBB186_10:
	s_min_u32 s8, s1, s16
	s_and_b32 vcc_lo, exec_lo, s3
	s_add_i32 s12, s9, s8
	s_min_u32 s9, s9, s8
	v_subrev_nc_u32_e32 v0, s12, v5
	s_add_i32 s12, s8, s17
	s_delay_alu instid0(SALU_CYCLE_1) | instskip(NEXT) | instid1(VALU_DEP_1)
	s_min_u32 s3, s12, s16
	v_add_nc_u32_e32 v0, s9, v0
	s_cbranch_vccz .LBB186_18
; %bb.11:
                                        ; implicit-def: $vgpr3_vgpr4
	s_and_saveexec_b32 s9, s2
	s_cbranch_execz .LBB186_17
; %bb.12:
	v_mov_b32_e32 v3, s8
	s_cmp_ge_u32 s1, s3
	s_cbranch_scc1 .LBB186_16
; %bb.13:
	s_waitcnt vmcnt(0)
	v_cmp_ne_u16_e32 vcc_lo, 0x8000, v7
	s_mov_b32 s2, 0
	v_dual_mov_b32 v4, s3 :: v_dual_cndmask_b32 v3, 0, v7
	s_delay_alu instid0(VALU_DEP_1) | instskip(SKIP_1) | instid1(VALU_DEP_1)
	v_cmp_lt_i16_e32 vcc_lo, -1, v3
	v_cndmask_b32_e64 v5, -1, 0xffff8000, vcc_lo
	v_xor_b32_e32 v5, v5, v3
	v_mov_b32_e32 v3, s8
	.p2align	6
.LBB186_14:                             ; =>This Inner Loop Header: Depth=1
	s_delay_alu instid0(VALU_DEP_1) | instskip(NEXT) | instid1(VALU_DEP_1)
	v_add_nc_u32_e32 v6, v3, v4
	v_and_b32_e32 v8, -2, v6
	v_lshrrev_b32_e32 v6, 1, v6
	global_load_u16 v8, v8, s[4:5]
	s_waitcnt vmcnt(0)
	v_cmp_ne_u16_e32 vcc_lo, 0x8000, v8
	v_cndmask_b32_e32 v8, 0, v8, vcc_lo
	s_delay_alu instid0(VALU_DEP_1) | instskip(SKIP_1) | instid1(VALU_DEP_1)
	v_cmp_lt_i16_e32 vcc_lo, -1, v8
	v_cndmask_b32_e64 v9, -1, 0xffff8000, vcc_lo
	v_xor_b32_e32 v8, v9, v8
	s_delay_alu instid0(VALU_DEP_1) | instskip(SKIP_3) | instid1(VALU_DEP_1)
	v_cmp_gt_u16_e32 vcc_lo, v8, v5
	v_cndmask_b32_e64 v9, 0, 1, vcc_lo
	v_cmp_le_u16_e32 vcc_lo, v5, v8
	v_cndmask_b32_e64 v8, 0, 1, vcc_lo
	v_cndmask_b32_e64 v8, v8, v9, s0
	v_add_nc_u32_e32 v9, 1, v6
	s_delay_alu instid0(VALU_DEP_2) | instskip(NEXT) | instid1(VALU_DEP_1)
	v_and_b32_e32 v8, 1, v8
	v_cmp_eq_u32_e32 vcc_lo, 1, v8
	s_delay_alu instid0(VALU_DEP_3) | instskip(NEXT) | instid1(VALU_DEP_1)
	v_dual_cndmask_b32 v4, v6, v4 :: v_dual_cndmask_b32 v3, v3, v9
	v_cmp_ge_u32_e32 vcc_lo, v3, v4
	s_or_b32 s2, vcc_lo, s2
	s_delay_alu instid0(SALU_CYCLE_1)
	s_and_not1_b32 exec_lo, exec_lo, s2
	s_cbranch_execnz .LBB186_14
; %bb.15:
	s_or_b32 exec_lo, exec_lo, s2
.LBB186_16:
	s_delay_alu instid0(VALU_DEP_1) | instskip(SKIP_1) | instid1(VALU_DEP_1)
	v_dual_mov_b32 v4, 0 :: v_dual_add_nc_u32 v3, v3, v0
	s_or_b32 s13, s13, exec_lo
	v_lshlrev_b64 v[5:6], 1, v[3:4]
	v_lshlrev_b64 v[3:4], 3, v[3:4]
	s_delay_alu instid0(VALU_DEP_2) | instskip(NEXT) | instid1(VALU_DEP_3)
	v_add_co_u32 v5, vcc_lo, s6, v5
	v_add_co_ci_u32_e32 v6, vcc_lo, s7, v6, vcc_lo
	s_delay_alu instid0(VALU_DEP_3) | instskip(NEXT) | instid1(VALU_DEP_4)
	v_add_co_u32 v3, vcc_lo, s10, v3
	v_add_co_ci_u32_e32 v4, vcc_lo, s11, v4, vcc_lo
	s_waitcnt vmcnt(0)
	global_store_b16 v[5:6], v7, off
.LBB186_17:
	s_or_b32 exec_lo, exec_lo, s9
	s_branch .LBB186_24
.LBB186_18:
                                        ; implicit-def: $vgpr3_vgpr4
	s_cbranch_execz .LBB186_24
; %bb.19:
	v_mov_b32_e32 v3, s8
	s_cmp_ge_u32 s1, s3
	s_cbranch_scc1 .LBB186_23
; %bb.20:
	s_waitcnt vmcnt(0)
	v_cmp_ne_u16_e32 vcc_lo, 0x8000, v7
	s_mov_b32 s1, 0
	v_dual_mov_b32 v4, s3 :: v_dual_cndmask_b32 v3, 0, v7
	s_delay_alu instid0(VALU_DEP_1) | instskip(SKIP_1) | instid1(VALU_DEP_1)
	v_cmp_lt_i16_e32 vcc_lo, -1, v3
	v_cndmask_b32_e64 v5, -1, 0xffff8000, vcc_lo
	v_xor_b32_e32 v5, v5, v3
	v_mov_b32_e32 v3, s8
	.p2align	6
.LBB186_21:                             ; =>This Inner Loop Header: Depth=1
	s_delay_alu instid0(VALU_DEP_1) | instskip(NEXT) | instid1(VALU_DEP_1)
	v_add_nc_u32_e32 v6, v3, v4
	v_and_b32_e32 v8, -2, v6
	v_lshrrev_b32_e32 v6, 1, v6
	global_load_u16 v8, v8, s[4:5]
	s_waitcnt vmcnt(0)
	v_cmp_ne_u16_e32 vcc_lo, 0x8000, v8
	v_cndmask_b32_e32 v8, 0, v8, vcc_lo
	s_delay_alu instid0(VALU_DEP_1) | instskip(SKIP_1) | instid1(VALU_DEP_1)
	v_cmp_lt_i16_e32 vcc_lo, -1, v8
	v_cndmask_b32_e64 v9, -1, 0xffff8000, vcc_lo
	v_xor_b32_e32 v8, v9, v8
	s_delay_alu instid0(VALU_DEP_1) | instskip(SKIP_3) | instid1(VALU_DEP_1)
	v_cmp_gt_u16_e32 vcc_lo, v8, v5
	v_cndmask_b32_e64 v9, 0, 1, vcc_lo
	v_cmp_le_u16_e32 vcc_lo, v5, v8
	v_cndmask_b32_e64 v8, 0, 1, vcc_lo
	v_cndmask_b32_e64 v8, v8, v9, s0
	v_add_nc_u32_e32 v9, 1, v6
	s_delay_alu instid0(VALU_DEP_2) | instskip(NEXT) | instid1(VALU_DEP_1)
	v_and_b32_e32 v8, 1, v8
	v_cmp_eq_u32_e32 vcc_lo, 1, v8
	s_delay_alu instid0(VALU_DEP_3) | instskip(NEXT) | instid1(VALU_DEP_1)
	v_dual_cndmask_b32 v4, v6, v4 :: v_dual_cndmask_b32 v3, v3, v9
	v_cmp_ge_u32_e32 vcc_lo, v3, v4
	s_or_b32 s1, vcc_lo, s1
	s_delay_alu instid0(SALU_CYCLE_1)
	s_and_not1_b32 exec_lo, exec_lo, s1
	s_cbranch_execnz .LBB186_21
; %bb.22:
	s_or_b32 exec_lo, exec_lo, s1
.LBB186_23:
	s_delay_alu instid0(VALU_DEP_1) | instskip(SKIP_1) | instid1(VALU_DEP_1)
	v_dual_mov_b32 v4, 0 :: v_dual_add_nc_u32 v3, v3, v0
	s_mov_b32 s13, -1
	v_lshlrev_b64 v[5:6], 1, v[3:4]
	v_lshlrev_b64 v[3:4], 3, v[3:4]
	s_delay_alu instid0(VALU_DEP_2) | instskip(NEXT) | instid1(VALU_DEP_3)
	v_add_co_u32 v5, vcc_lo, s6, v5
	v_add_co_ci_u32_e32 v6, vcc_lo, s7, v6, vcc_lo
	s_delay_alu instid0(VALU_DEP_3) | instskip(NEXT) | instid1(VALU_DEP_4)
	v_add_co_u32 v3, vcc_lo, s10, v3
	v_add_co_ci_u32_e32 v4, vcc_lo, s11, v4, vcc_lo
	s_waitcnt vmcnt(0)
	global_store_b16 v[5:6], v7, off
.LBB186_24:
	s_and_b32 exec_lo, exec_lo, s13
	s_cbranch_execz .LBB186_26
; %bb.25:
	s_waitcnt vmcnt(1)
	global_store_b64 v[3:4], v[1:2], off
.LBB186_26:
	s_nop 0
	s_sendmsg sendmsg(MSG_DEALLOC_VGPRS)
	s_endpgm
	.section	.rodata,"a",@progbits
	.p2align	6, 0x0
	.amdhsa_kernel _ZN7rocprim17ROCPRIM_304000_NS6detail33device_block_merge_oddeven_kernelINS1_37wrapped_merge_sort_block_merge_configINS0_14default_configE6__halfN2at4cuda3cub6detail10OpaqueTypeILi8EEEEEPS5_SD_PSB_SE_jNS1_19radix_merge_compareILb1ELb0ES5_NS0_19identity_decomposerEEEEEvT0_T1_T2_T3_T4_SM_T5_
		.amdhsa_group_segment_fixed_size 0
		.amdhsa_private_segment_fixed_size 0
		.amdhsa_kernarg_size 44
		.amdhsa_user_sgpr_count 15
		.amdhsa_user_sgpr_dispatch_ptr 0
		.amdhsa_user_sgpr_queue_ptr 0
		.amdhsa_user_sgpr_kernarg_segment_ptr 1
		.amdhsa_user_sgpr_dispatch_id 0
		.amdhsa_user_sgpr_private_segment_size 0
		.amdhsa_wavefront_size32 1
		.amdhsa_uses_dynamic_stack 0
		.amdhsa_enable_private_segment 0
		.amdhsa_system_sgpr_workgroup_id_x 1
		.amdhsa_system_sgpr_workgroup_id_y 0
		.amdhsa_system_sgpr_workgroup_id_z 0
		.amdhsa_system_sgpr_workgroup_info 0
		.amdhsa_system_vgpr_workitem_id 0
		.amdhsa_next_free_vgpr 12
		.amdhsa_next_free_sgpr 20
		.amdhsa_reserve_vcc 1
		.amdhsa_float_round_mode_32 0
		.amdhsa_float_round_mode_16_64 0
		.amdhsa_float_denorm_mode_32 3
		.amdhsa_float_denorm_mode_16_64 3
		.amdhsa_dx10_clamp 1
		.amdhsa_ieee_mode 1
		.amdhsa_fp16_overflow 0
		.amdhsa_workgroup_processor_mode 1
		.amdhsa_memory_ordered 1
		.amdhsa_forward_progress 0
		.amdhsa_shared_vgpr_count 0
		.amdhsa_exception_fp_ieee_invalid_op 0
		.amdhsa_exception_fp_denorm_src 0
		.amdhsa_exception_fp_ieee_div_zero 0
		.amdhsa_exception_fp_ieee_overflow 0
		.amdhsa_exception_fp_ieee_underflow 0
		.amdhsa_exception_fp_ieee_inexact 0
		.amdhsa_exception_int_div_zero 0
	.end_amdhsa_kernel
	.section	.text._ZN7rocprim17ROCPRIM_304000_NS6detail33device_block_merge_oddeven_kernelINS1_37wrapped_merge_sort_block_merge_configINS0_14default_configE6__halfN2at4cuda3cub6detail10OpaqueTypeILi8EEEEEPS5_SD_PSB_SE_jNS1_19radix_merge_compareILb1ELb0ES5_NS0_19identity_decomposerEEEEEvT0_T1_T2_T3_T4_SM_T5_,"axG",@progbits,_ZN7rocprim17ROCPRIM_304000_NS6detail33device_block_merge_oddeven_kernelINS1_37wrapped_merge_sort_block_merge_configINS0_14default_configE6__halfN2at4cuda3cub6detail10OpaqueTypeILi8EEEEEPS5_SD_PSB_SE_jNS1_19radix_merge_compareILb1ELb0ES5_NS0_19identity_decomposerEEEEEvT0_T1_T2_T3_T4_SM_T5_,comdat
.Lfunc_end186:
	.size	_ZN7rocprim17ROCPRIM_304000_NS6detail33device_block_merge_oddeven_kernelINS1_37wrapped_merge_sort_block_merge_configINS0_14default_configE6__halfN2at4cuda3cub6detail10OpaqueTypeILi8EEEEEPS5_SD_PSB_SE_jNS1_19radix_merge_compareILb1ELb0ES5_NS0_19identity_decomposerEEEEEvT0_T1_T2_T3_T4_SM_T5_, .Lfunc_end186-_ZN7rocprim17ROCPRIM_304000_NS6detail33device_block_merge_oddeven_kernelINS1_37wrapped_merge_sort_block_merge_configINS0_14default_configE6__halfN2at4cuda3cub6detail10OpaqueTypeILi8EEEEEPS5_SD_PSB_SE_jNS1_19radix_merge_compareILb1ELb0ES5_NS0_19identity_decomposerEEEEEvT0_T1_T2_T3_T4_SM_T5_
                                        ; -- End function
	.section	.AMDGPU.csdata,"",@progbits
; Kernel info:
; codeLenInByte = 1092
; NumSgprs: 22
; NumVgprs: 12
; ScratchSize: 0
; MemoryBound: 0
; FloatMode: 240
; IeeeMode: 1
; LDSByteSize: 0 bytes/workgroup (compile time only)
; SGPRBlocks: 2
; VGPRBlocks: 1
; NumSGPRsForWavesPerEU: 22
; NumVGPRsForWavesPerEU: 12
; Occupancy: 16
; WaveLimiterHint : 0
; COMPUTE_PGM_RSRC2:SCRATCH_EN: 0
; COMPUTE_PGM_RSRC2:USER_SGPR: 15
; COMPUTE_PGM_RSRC2:TRAP_HANDLER: 0
; COMPUTE_PGM_RSRC2:TGID_X_EN: 1
; COMPUTE_PGM_RSRC2:TGID_Y_EN: 0
; COMPUTE_PGM_RSRC2:TGID_Z_EN: 0
; COMPUTE_PGM_RSRC2:TIDIG_COMP_CNT: 0
	.section	.text._ZN7rocprim17ROCPRIM_304000_NS6detail16transform_kernelINS1_24wrapped_transform_configINS0_14default_configE6__halfEES5_PS5_S7_NS0_8identityIS5_EEEEvT1_mT2_T3_,"axG",@progbits,_ZN7rocprim17ROCPRIM_304000_NS6detail16transform_kernelINS1_24wrapped_transform_configINS0_14default_configE6__halfEES5_PS5_S7_NS0_8identityIS5_EEEEvT1_mT2_T3_,comdat
	.protected	_ZN7rocprim17ROCPRIM_304000_NS6detail16transform_kernelINS1_24wrapped_transform_configINS0_14default_configE6__halfEES5_PS5_S7_NS0_8identityIS5_EEEEvT1_mT2_T3_ ; -- Begin function _ZN7rocprim17ROCPRIM_304000_NS6detail16transform_kernelINS1_24wrapped_transform_configINS0_14default_configE6__halfEES5_PS5_S7_NS0_8identityIS5_EEEEvT1_mT2_T3_
	.globl	_ZN7rocprim17ROCPRIM_304000_NS6detail16transform_kernelINS1_24wrapped_transform_configINS0_14default_configE6__halfEES5_PS5_S7_NS0_8identityIS5_EEEEvT1_mT2_T3_
	.p2align	8
	.type	_ZN7rocprim17ROCPRIM_304000_NS6detail16transform_kernelINS1_24wrapped_transform_configINS0_14default_configE6__halfEES5_PS5_S7_NS0_8identityIS5_EEEEvT1_mT2_T3_,@function
_ZN7rocprim17ROCPRIM_304000_NS6detail16transform_kernelINS1_24wrapped_transform_configINS0_14default_configE6__halfEES5_PS5_S7_NS0_8identityIS5_EEEEvT1_mT2_T3_: ; @_ZN7rocprim17ROCPRIM_304000_NS6detail16transform_kernelINS1_24wrapped_transform_configINS0_14default_configE6__halfEES5_PS5_S7_NS0_8identityIS5_EEEEvT1_mT2_T3_
; %bb.0:
	s_clause 0x2
	s_load_b32 s10, s[0:1], 0x20
	s_load_b128 s[4:7], s[0:1], 0x0
	s_load_b64 s[0:1], s[0:1], 0x10
	s_mov_b32 s9, 0
	s_lshl_b32 s8, s15, 11
	v_lshlrev_b32_e32 v3, 1, v0
	s_lshl_b64 s[2:3], s[8:9], 1
	s_waitcnt lgkmcnt(0)
	s_add_i32 s10, s10, -1
	s_add_u32 s4, s4, s2
	s_addc_u32 s5, s5, s3
	v_add_co_u32 v1, s4, s4, v3
	s_delay_alu instid0(VALU_DEP_1)
	v_add_co_ci_u32_e64 v2, null, s5, 0, s4
	s_cmp_lg_u32 s15, s10
	s_mov_b32 s4, -1
	s_cbranch_scc0 .LBB187_2
; %bb.1:
	s_clause 0x1
	global_load_u16 v5, v[1:2], off
	global_load_u16 v4, v[1:2], off offset:2048
	s_add_u32 s10, s0, s2
	s_addc_u32 s11, s1, s3
	s_mov_b32 s9, -1
	s_waitcnt vmcnt(1)
	global_store_b16 v3, v5, s[10:11]
	s_cbranch_execz .LBB187_3
	s_branch .LBB187_10
.LBB187_2:
                                        ; implicit-def: $vgpr4
	s_and_not1_b32 vcc_lo, exec_lo, s4
	s_cbranch_vccnz .LBB187_10
.LBB187_3:
	s_sub_i32 s4, s6, s8
                                        ; implicit-def: $vgpr5
	s_delay_alu instid0(SALU_CYCLE_1)
	v_cmp_gt_u32_e32 vcc_lo, s4, v0
	s_and_saveexec_b32 s5, vcc_lo
	s_cbranch_execz .LBB187_5
; %bb.4:
	global_load_u16 v5, v[1:2], off
.LBB187_5:
	s_or_b32 exec_lo, exec_lo, s5
	v_or_b32_e32 v0, 0x400, v0
                                        ; implicit-def: $vgpr4
	s_delay_alu instid0(VALU_DEP_1) | instskip(NEXT) | instid1(VALU_DEP_1)
	v_cmp_gt_u32_e64 s9, s4, v0
	s_and_saveexec_b32 s4, s9
	s_cbranch_execz .LBB187_7
; %bb.6:
	global_load_u16 v4, v[1:2], off offset:2048
.LBB187_7:
	s_or_b32 exec_lo, exec_lo, s4
	s_and_saveexec_b32 s4, vcc_lo
	s_delay_alu instid0(SALU_CYCLE_1)
	s_xor_b32 s4, exec_lo, s4
	s_cbranch_execz .LBB187_9
; %bb.8:
	s_add_u32 s6, s0, s2
	s_addc_u32 s7, s1, s3
	s_waitcnt vmcnt(0)
	global_store_b16 v3, v5, s[6:7]
.LBB187_9:
	s_or_b32 exec_lo, exec_lo, s4
.LBB187_10:
	s_and_saveexec_b32 s4, s9
	s_cbranch_execnz .LBB187_12
; %bb.11:
	s_nop 0
	s_sendmsg sendmsg(MSG_DEALLOC_VGPRS)
	s_endpgm
.LBB187_12:
	s_add_u32 s0, s0, s2
	s_addc_u32 s1, s1, s3
	s_waitcnt vmcnt(0)
	global_store_b16 v3, v4, s[0:1] offset:2048
	s_nop 0
	s_sendmsg sendmsg(MSG_DEALLOC_VGPRS)
	s_endpgm
	.section	.rodata,"a",@progbits
	.p2align	6, 0x0
	.amdhsa_kernel _ZN7rocprim17ROCPRIM_304000_NS6detail16transform_kernelINS1_24wrapped_transform_configINS0_14default_configE6__halfEES5_PS5_S7_NS0_8identityIS5_EEEEvT1_mT2_T3_
		.amdhsa_group_segment_fixed_size 0
		.amdhsa_private_segment_fixed_size 0
		.amdhsa_kernarg_size 288
		.amdhsa_user_sgpr_count 15
		.amdhsa_user_sgpr_dispatch_ptr 0
		.amdhsa_user_sgpr_queue_ptr 0
		.amdhsa_user_sgpr_kernarg_segment_ptr 1
		.amdhsa_user_sgpr_dispatch_id 0
		.amdhsa_user_sgpr_private_segment_size 0
		.amdhsa_wavefront_size32 1
		.amdhsa_uses_dynamic_stack 0
		.amdhsa_enable_private_segment 0
		.amdhsa_system_sgpr_workgroup_id_x 1
		.amdhsa_system_sgpr_workgroup_id_y 0
		.amdhsa_system_sgpr_workgroup_id_z 0
		.amdhsa_system_sgpr_workgroup_info 0
		.amdhsa_system_vgpr_workitem_id 0
		.amdhsa_next_free_vgpr 6
		.amdhsa_next_free_sgpr 16
		.amdhsa_reserve_vcc 1
		.amdhsa_float_round_mode_32 0
		.amdhsa_float_round_mode_16_64 0
		.amdhsa_float_denorm_mode_32 3
		.amdhsa_float_denorm_mode_16_64 3
		.amdhsa_dx10_clamp 1
		.amdhsa_ieee_mode 1
		.amdhsa_fp16_overflow 0
		.amdhsa_workgroup_processor_mode 1
		.amdhsa_memory_ordered 1
		.amdhsa_forward_progress 0
		.amdhsa_shared_vgpr_count 0
		.amdhsa_exception_fp_ieee_invalid_op 0
		.amdhsa_exception_fp_denorm_src 0
		.amdhsa_exception_fp_ieee_div_zero 0
		.amdhsa_exception_fp_ieee_overflow 0
		.amdhsa_exception_fp_ieee_underflow 0
		.amdhsa_exception_fp_ieee_inexact 0
		.amdhsa_exception_int_div_zero 0
	.end_amdhsa_kernel
	.section	.text._ZN7rocprim17ROCPRIM_304000_NS6detail16transform_kernelINS1_24wrapped_transform_configINS0_14default_configE6__halfEES5_PS5_S7_NS0_8identityIS5_EEEEvT1_mT2_T3_,"axG",@progbits,_ZN7rocprim17ROCPRIM_304000_NS6detail16transform_kernelINS1_24wrapped_transform_configINS0_14default_configE6__halfEES5_PS5_S7_NS0_8identityIS5_EEEEvT1_mT2_T3_,comdat
.Lfunc_end187:
	.size	_ZN7rocprim17ROCPRIM_304000_NS6detail16transform_kernelINS1_24wrapped_transform_configINS0_14default_configE6__halfEES5_PS5_S7_NS0_8identityIS5_EEEEvT1_mT2_T3_, .Lfunc_end187-_ZN7rocprim17ROCPRIM_304000_NS6detail16transform_kernelINS1_24wrapped_transform_configINS0_14default_configE6__halfEES5_PS5_S7_NS0_8identityIS5_EEEEvT1_mT2_T3_
                                        ; -- End function
	.section	.AMDGPU.csdata,"",@progbits
; Kernel info:
; codeLenInByte = 316
; NumSgprs: 18
; NumVgprs: 6
; ScratchSize: 0
; MemoryBound: 0
; FloatMode: 240
; IeeeMode: 1
; LDSByteSize: 0 bytes/workgroup (compile time only)
; SGPRBlocks: 2
; VGPRBlocks: 0
; NumSGPRsForWavesPerEU: 18
; NumVGPRsForWavesPerEU: 6
; Occupancy: 16
; WaveLimiterHint : 1
; COMPUTE_PGM_RSRC2:SCRATCH_EN: 0
; COMPUTE_PGM_RSRC2:USER_SGPR: 15
; COMPUTE_PGM_RSRC2:TRAP_HANDLER: 0
; COMPUTE_PGM_RSRC2:TGID_X_EN: 1
; COMPUTE_PGM_RSRC2:TGID_Y_EN: 0
; COMPUTE_PGM_RSRC2:TGID_Z_EN: 0
; COMPUTE_PGM_RSRC2:TIDIG_COMP_CNT: 0
	.section	.text._ZN7rocprim17ROCPRIM_304000_NS6detail26onesweep_histograms_kernelINS1_34wrapped_radix_sort_onesweep_configINS0_14default_configE6__halfN2at4cuda3cub6detail10OpaqueTypeILi8EEEEELb1EPKS5_mNS0_19identity_decomposerEEEvT1_PT2_SH_SH_T3_jj,"axG",@progbits,_ZN7rocprim17ROCPRIM_304000_NS6detail26onesweep_histograms_kernelINS1_34wrapped_radix_sort_onesweep_configINS0_14default_configE6__halfN2at4cuda3cub6detail10OpaqueTypeILi8EEEEELb1EPKS5_mNS0_19identity_decomposerEEEvT1_PT2_SH_SH_T3_jj,comdat
	.protected	_ZN7rocprim17ROCPRIM_304000_NS6detail26onesweep_histograms_kernelINS1_34wrapped_radix_sort_onesweep_configINS0_14default_configE6__halfN2at4cuda3cub6detail10OpaqueTypeILi8EEEEELb1EPKS5_mNS0_19identity_decomposerEEEvT1_PT2_SH_SH_T3_jj ; -- Begin function _ZN7rocprim17ROCPRIM_304000_NS6detail26onesweep_histograms_kernelINS1_34wrapped_radix_sort_onesweep_configINS0_14default_configE6__halfN2at4cuda3cub6detail10OpaqueTypeILi8EEEEELb1EPKS5_mNS0_19identity_decomposerEEEvT1_PT2_SH_SH_T3_jj
	.globl	_ZN7rocprim17ROCPRIM_304000_NS6detail26onesweep_histograms_kernelINS1_34wrapped_radix_sort_onesweep_configINS0_14default_configE6__halfN2at4cuda3cub6detail10OpaqueTypeILi8EEEEELb1EPKS5_mNS0_19identity_decomposerEEEvT1_PT2_SH_SH_T3_jj
	.p2align	8
	.type	_ZN7rocprim17ROCPRIM_304000_NS6detail26onesweep_histograms_kernelINS1_34wrapped_radix_sort_onesweep_configINS0_14default_configE6__halfN2at4cuda3cub6detail10OpaqueTypeILi8EEEEELb1EPKS5_mNS0_19identity_decomposerEEEvT1_PT2_SH_SH_T3_jj,@function
_ZN7rocprim17ROCPRIM_304000_NS6detail26onesweep_histograms_kernelINS1_34wrapped_radix_sort_onesweep_configINS0_14default_configE6__halfN2at4cuda3cub6detail10OpaqueTypeILi8EEEEELb1EPKS5_mNS0_19identity_decomposerEEEvT1_PT2_SH_SH_T3_jj: ; @_ZN7rocprim17ROCPRIM_304000_NS6detail26onesweep_histograms_kernelINS1_34wrapped_radix_sort_onesweep_configINS0_14default_configE6__halfN2at4cuda3cub6detail10OpaqueTypeILi8EEEEELb1EPKS5_mNS0_19identity_decomposerEEEvT1_PT2_SH_SH_T3_jj
; %bb.0:
	s_clause 0x1
	s_load_b256 s[4:11], s[0:1], 0x0
	s_load_b64 s[12:13], s[0:1], 0x24
	s_mov_b32 s2, s15
	s_mov_b32 s3, 0
	v_lshlrev_b32_e32 v3, 1, v0
	s_lshl_b64 s[0:1], s[2:3], 13
	s_waitcnt lgkmcnt(0)
	v_cmp_ge_u64_e64 s9, s[2:3], s[10:11]
	s_add_u32 s4, s4, s0
	s_addc_u32 s5, s5, s1
	s_mov_b32 s0, -1
	s_delay_alu instid0(VALU_DEP_1)
	s_and_b32 vcc_lo, exec_lo, s9
	s_cbranch_vccz .LBB188_34
; %bb.1:
	s_lshl_b32 s0, s10, 12
                                        ; implicit-def: $vgpr7
	s_delay_alu instid0(SALU_CYCLE_1) | instskip(SKIP_1) | instid1(VALU_DEP_1)
	s_sub_i32 s3, s8, s0
	v_add_co_u32 v1, s0, s4, v3
	v_add_co_ci_u32_e64 v2, null, s5, 0, s0
	v_cmp_gt_u32_e64 s2, s3, v0
	s_delay_alu instid0(VALU_DEP_1)
	s_and_saveexec_b32 s0, s2
	s_cbranch_execz .LBB188_3
; %bb.2:
	global_load_u16 v7, v[1:2], off
.LBB188_3:
	s_or_b32 exec_lo, exec_lo, s0
	v_or_b32_e32 v4, 0x400, v0
                                        ; implicit-def: $vgpr6
	s_delay_alu instid0(VALU_DEP_1) | instskip(NEXT) | instid1(VALU_DEP_1)
	v_cmp_gt_u32_e64 s1, s3, v4
	s_and_saveexec_b32 s0, s1
	s_cbranch_execz .LBB188_5
; %bb.4:
	global_load_u16 v6, v[1:2], off offset:2048
.LBB188_5:
	s_or_b32 exec_lo, exec_lo, s0
	v_or_b32_e32 v4, 0x800, v0
                                        ; implicit-def: $vgpr5
	s_delay_alu instid0(VALU_DEP_1) | instskip(NEXT) | instid1(VALU_DEP_1)
	v_cmp_gt_u32_e64 s0, s3, v4
	s_and_saveexec_b32 s8, s0
	s_cbranch_execz .LBB188_7
; %bb.6:
	v_add_co_u32 v4, vcc_lo, 0x1000, v1
	v_add_co_ci_u32_e32 v5, vcc_lo, 0, v2, vcc_lo
	global_load_u16 v5, v[4:5], off
.LBB188_7:
	s_or_b32 exec_lo, exec_lo, s8
	v_or_b32_e32 v4, 0xc00, v0
	s_delay_alu instid0(VALU_DEP_1)
	v_cmp_gt_u32_e32 vcc_lo, s3, v4
                                        ; implicit-def: $vgpr4
	s_and_saveexec_b32 s8, vcc_lo
	s_cbranch_execz .LBB188_9
; %bb.8:
	v_add_co_u32 v1, s3, 0x1000, v1
	s_delay_alu instid0(VALU_DEP_1)
	v_add_co_ci_u32_e64 v2, s3, 0, v2, s3
	global_load_u16 v4, v[1:2], off offset:2048
.LBB188_9:
	s_or_b32 exec_lo, exec_lo, s8
	v_or_b32_e32 v1, 0xfffffc00, v0
	v_lshlrev_b32_e32 v2, 2, v0
	v_mov_b32_e32 v8, 0
	s_mov_b32 s3, 0
.LBB188_10:                             ; =>This Inner Loop Header: Depth=1
	s_delay_alu instid0(VALU_DEP_3) | instskip(NEXT) | instid1(VALU_DEP_1)
	v_add_co_u32 v1, s8, 0x400, v1
	s_xor_b32 s8, s8, -1
	ds_store_b32 v2, v8
	v_add_nc_u32_e32 v2, 0x1000, v2
	s_and_b32 s8, exec_lo, s8
	s_delay_alu instid0(SALU_CYCLE_1) | instskip(NEXT) | instid1(SALU_CYCLE_1)
	s_or_b32 s3, s8, s3
	s_and_not1_b32 exec_lo, exec_lo, s3
	s_cbranch_execnz .LBB188_10
; %bb.11:
	s_or_b32 exec_lo, exec_lo, s3
	s_cmp_gt_u32 s13, s12
	s_waitcnt vmcnt(0) lgkmcnt(0)
	s_cselect_b32 s8, -1, 0
	s_cmp_le_u32 s13, s12
	s_barrier
	buffer_gl0_inv
	s_cbranch_scc1 .LBB188_28
; %bb.12:
	v_cmp_gt_i16_e64 s3, 0, v7
	v_and_b32_e32 v2, 3, v0
	s_mov_b32 s10, s12
	s_delay_alu instid0(VALU_DEP_2) | instskip(NEXT) | instid1(VALU_DEP_1)
	v_cndmask_b32_e64 v1, 0x7fff, 0, s3
	v_xor_b32_e32 v1, v1, v7
	s_delay_alu instid0(VALU_DEP_1) | instskip(NEXT) | instid1(VALU_DEP_1)
	v_cmp_ne_u16_e64 s3, 0x8000, v1
	v_cndmask_b32_e64 v7, 0x7fff, v1, s3
	v_dual_mov_b32 v2, 1 :: v_dual_lshlrev_b32 v1, 2, v2
	s_sub_i32 s3, s13, s12
	s_delay_alu instid0(SALU_CYCLE_1) | instskip(NEXT) | instid1(VALU_DEP_1)
	s_mov_b32 s9, s3
	v_dual_mov_b32 v8, v1 :: v_dual_and_b32 v7, 0xffff, v7
	s_branch .LBB188_14
	.p2align	6
.LBB188_13:                             ;   in Loop: Header=BB188_14 Depth=1
	s_or_b32 exec_lo, exec_lo, s11
	v_add_nc_u32_e32 v8, 0x1000, v8
	s_add_i32 s10, s10, 8
	s_add_i32 s9, s9, -8
	s_cmp_ge_u32 s10, s13
	s_cbranch_scc1 .LBB188_16
.LBB188_14:                             ; =>This Inner Loop Header: Depth=1
	s_and_saveexec_b32 s11, s2
	s_cbranch_execz .LBB188_13
; %bb.15:                               ;   in Loop: Header=BB188_14 Depth=1
	s_delay_alu instid0(VALU_DEP_1)
	v_lshrrev_b32_e32 v9, s10, v7
	s_min_u32 s14, s9, 8
	s_delay_alu instid0(VALU_DEP_1) | instid1(SALU_CYCLE_1)
	v_bfe_u32 v9, v9, 0, s14
	s_delay_alu instid0(VALU_DEP_1)
	v_lshl_add_u32 v9, v9, 4, v8
	ds_add_u32 v9, v2
	s_branch .LBB188_13
.LBB188_16:
	v_cmp_gt_i16_e64 s2, 0, v6
	s_mov_b32 s9, s12
	v_mov_b32_e32 v7, v1
	s_delay_alu instid0(VALU_DEP_2) | instskip(NEXT) | instid1(VALU_DEP_1)
	v_cndmask_b32_e64 v2, 0x7fff, 0, s2
	v_xor_b32_e32 v2, v2, v6
	s_delay_alu instid0(VALU_DEP_1) | instskip(NEXT) | instid1(VALU_DEP_1)
	v_cmp_ne_u16_e64 s2, 0x8000, v2
	v_cndmask_b32_e64 v6, 0x7fff, v2, s2
	v_mov_b32_e32 v2, 1
	s_mov_b32 s2, s3
	s_delay_alu instid0(VALU_DEP_2)
	v_and_b32_e32 v6, 0xffff, v6
	s_branch .LBB188_18
	.p2align	6
.LBB188_17:                             ;   in Loop: Header=BB188_18 Depth=1
	s_or_b32 exec_lo, exec_lo, s10
	v_add_nc_u32_e32 v7, 0x1000, v7
	s_add_i32 s9, s9, 8
	s_add_i32 s2, s2, -8
	s_cmp_lt_u32 s9, s13
	s_cbranch_scc0 .LBB188_20
.LBB188_18:                             ; =>This Inner Loop Header: Depth=1
	s_and_saveexec_b32 s10, s1
	s_cbranch_execz .LBB188_17
; %bb.19:                               ;   in Loop: Header=BB188_18 Depth=1
	s_delay_alu instid0(VALU_DEP_1)
	v_lshrrev_b32_e32 v8, s9, v6
	s_min_u32 s11, s2, 8
	s_delay_alu instid0(VALU_DEP_1) | instid1(SALU_CYCLE_1)
	v_bfe_u32 v8, v8, 0, s11
	s_delay_alu instid0(VALU_DEP_1)
	v_lshl_add_u32 v8, v8, 4, v7
	ds_add_u32 v8, v2
	s_branch .LBB188_17
.LBB188_20:
	v_cmp_gt_i16_e64 s1, 0, v5
	v_mov_b32_e32 v6, v1
	s_mov_b32 s2, s12
	s_delay_alu instid0(VALU_DEP_2) | instskip(NEXT) | instid1(VALU_DEP_1)
	v_cndmask_b32_e64 v2, 0x7fff, 0, s1
	v_xor_b32_e32 v2, v2, v5
	s_delay_alu instid0(VALU_DEP_1) | instskip(NEXT) | instid1(VALU_DEP_1)
	v_cmp_ne_u16_e64 s1, 0x8000, v2
	v_cndmask_b32_e64 v5, 0x7fff, v2, s1
	v_mov_b32_e32 v2, 1
	s_mov_b32 s1, s3
	s_delay_alu instid0(VALU_DEP_2)
	v_and_b32_e32 v5, 0xffff, v5
	s_branch .LBB188_22
	.p2align	6
.LBB188_21:                             ;   in Loop: Header=BB188_22 Depth=1
	s_or_b32 exec_lo, exec_lo, s9
	v_add_nc_u32_e32 v6, 0x1000, v6
	s_add_i32 s2, s2, 8
	s_add_i32 s1, s1, -8
	s_cmp_lt_u32 s2, s13
	s_cbranch_scc0 .LBB188_24
.LBB188_22:                             ; =>This Inner Loop Header: Depth=1
	s_and_saveexec_b32 s9, s0
	s_cbranch_execz .LBB188_21
; %bb.23:                               ;   in Loop: Header=BB188_22 Depth=1
	s_delay_alu instid0(VALU_DEP_1)
	v_lshrrev_b32_e32 v7, s2, v5
	s_min_u32 s10, s1, 8
	s_delay_alu instid0(VALU_DEP_1) | instid1(SALU_CYCLE_1)
	v_bfe_u32 v7, v7, 0, s10
	s_delay_alu instid0(VALU_DEP_1)
	v_lshl_add_u32 v7, v7, 4, v6
	ds_add_u32 v7, v2
	s_branch .LBB188_21
.LBB188_24:
	v_cmp_gt_i16_e64 s0, 0, v4
	s_delay_alu instid0(VALU_DEP_1) | instskip(NEXT) | instid1(VALU_DEP_1)
	v_cndmask_b32_e64 v2, 0x7fff, 0, s0
	v_xor_b32_e32 v2, v2, v4
	v_mov_b32_e32 v4, 1
	s_delay_alu instid0(VALU_DEP_2) | instskip(NEXT) | instid1(VALU_DEP_1)
	v_cmp_ne_u16_e64 s0, 0x8000, v2
	v_cndmask_b32_e64 v2, 0x7fff, v2, s0
	s_mov_b32 s0, s12
	s_delay_alu instid0(VALU_DEP_1)
	v_and_b32_e32 v2, 0xffff, v2
	s_branch .LBB188_26
	.p2align	6
.LBB188_25:                             ;   in Loop: Header=BB188_26 Depth=1
	s_or_b32 exec_lo, exec_lo, s1
	v_add_nc_u32_e32 v1, 0x1000, v1
	s_add_i32 s0, s0, 8
	s_add_i32 s3, s3, -8
	s_cmp_lt_u32 s0, s13
	s_cbranch_scc0 .LBB188_28
.LBB188_26:                             ; =>This Inner Loop Header: Depth=1
	s_and_saveexec_b32 s1, vcc_lo
	s_cbranch_execz .LBB188_25
; %bb.27:                               ;   in Loop: Header=BB188_26 Depth=1
	s_delay_alu instid0(VALU_DEP_1)
	v_lshrrev_b32_e32 v5, s0, v2
	s_min_u32 s2, s3, 8
	s_delay_alu instid0(VALU_DEP_1) | instid1(SALU_CYCLE_1)
	v_bfe_u32 v5, v5, 0, s2
	s_delay_alu instid0(VALU_DEP_1)
	v_lshl_add_u32 v5, v5, 4, v1
	ds_add_u32 v5, v4
	s_branch .LBB188_25
.LBB188_28:
	s_and_b32 vcc_lo, exec_lo, s8
	s_waitcnt lgkmcnt(0)
	s_barrier
	buffer_gl0_inv
	s_cbranch_vccz .LBB188_33
; %bb.29:
	v_cmp_gt_u32_e32 vcc_lo, 0x100, v0
	v_dual_mov_b32 v1, v0 :: v_dual_lshlrev_b32 v4, 4, v0
	v_mov_b32_e32 v2, 0
	s_mov_b32 s1, s12
	s_set_inst_prefetch_distance 0x1
	s_branch .LBB188_31
	.p2align	6
.LBB188_30:                             ;   in Loop: Header=BB188_31 Depth=1
	s_or_b32 exec_lo, exec_lo, s2
	v_add_nc_u32_e32 v1, 0x100, v1
	v_add_nc_u32_e32 v4, 0x1000, v4
	s_add_i32 s1, s1, 8
	s_delay_alu instid0(SALU_CYCLE_1)
	s_cmp_lt_u32 s1, s13
	s_cbranch_scc0 .LBB188_33
.LBB188_31:                             ; =>This Inner Loop Header: Depth=1
	s_and_saveexec_b32 s2, vcc_lo
	s_cbranch_execz .LBB188_30
; %bb.32:                               ;   in Loop: Header=BB188_31 Depth=1
	ds_load_2addr_b32 v[5:6], v4 offset1:1
	ds_load_2addr_b32 v[7:8], v4 offset0:2 offset1:3
	v_lshlrev_b64 v[9:10], 3, v[1:2]
	s_waitcnt lgkmcnt(1)
	v_add_nc_u32_e32 v11, v6, v5
	s_delay_alu instid0(VALU_DEP_2) | instskip(NEXT) | instid1(VALU_DEP_1)
	v_add_co_u32 v5, s0, s6, v9
	v_add_co_ci_u32_e64 v6, s0, s7, v10, s0
	s_waitcnt lgkmcnt(0)
	s_delay_alu instid0(VALU_DEP_3)
	v_add3_u32 v7, v11, v7, v8
	v_mov_b32_e32 v8, v2
	global_atomic_add_u64 v[5:6], v[7:8], off
	s_branch .LBB188_30
.LBB188_33:
	s_set_inst_prefetch_distance 0x2
	s_mov_b32 s0, 0
.LBB188_34:
	s_delay_alu instid0(SALU_CYCLE_1)
	s_and_b32 vcc_lo, exec_lo, s0
	s_cbranch_vccz .LBB188_58
; %bb.35:
	v_add_co_u32 v1, s0, s4, v3
	s_delay_alu instid0(VALU_DEP_1) | instskip(SKIP_1) | instid1(VALU_DEP_2)
	v_add_co_ci_u32_e64 v2, null, s5, 0, s0
	s_cmp_eq_u32 s12, 0
	v_add_co_u32 v1, vcc_lo, 0x1000, v1
	s_delay_alu instid0(VALU_DEP_2)
	v_add_co_ci_u32_e32 v2, vcc_lo, 0, v2, vcc_lo
	s_cselect_b32 s0, -1, 0
	s_cmp_eq_u32 s13, 16
	s_clause 0x3
	global_load_u16 v6, v3, s[4:5] offset:2048
	global_load_u16 v4, v[1:2], off
	global_load_u16 v7, v3, s[4:5]
	global_load_u16 v5, v[1:2], off offset:2048
	s_cselect_b32 s1, -1, 0
	v_or_b32_e32 v8, 0xfffffc00, v0
	v_lshlrev_b32_e32 v3, 2, v0
	s_and_b32 s1, s0, s1
	s_mov_b32 s0, 0
	s_and_b32 vcc_lo, exec_lo, s1
	s_mov_b32 s1, -1
	s_cbranch_vccnz .LBB188_53
; %bb.36:
	v_or_b32_e32 v1, 0xfffffc00, v0
	v_dual_mov_b32 v9, 0 :: v_dual_lshlrev_b32 v2, 2, v0
.LBB188_37:                             ; =>This Inner Loop Header: Depth=1
	s_delay_alu instid0(VALU_DEP_2) | instskip(NEXT) | instid1(VALU_DEP_1)
	v_add_co_u32 v1, s1, 0x400, v1
	s_xor_b32 s1, s1, -1
	ds_store_b32 v2, v9
	v_add_nc_u32_e32 v2, 0x1000, v2
	s_and_b32 s1, exec_lo, s1
	s_delay_alu instid0(SALU_CYCLE_1) | instskip(NEXT) | instid1(SALU_CYCLE_1)
	s_or_b32 s0, s1, s0
	s_and_not1_b32 exec_lo, exec_lo, s0
	s_cbranch_execnz .LBB188_37
; %bb.38:
	s_or_b32 exec_lo, exec_lo, s0
	s_cmp_gt_u32 s13, s12
	s_waitcnt vmcnt(0) lgkmcnt(0)
	s_waitcnt_vscnt null, 0x0
	s_cselect_b32 s0, -1, 0
	s_cmp_le_u32 s13, s12
	s_barrier
	buffer_gl0_inv
	s_cbranch_scc1 .LBB188_47
; %bb.39:
	v_cmp_gt_i16_e32 vcc_lo, 0, v7
	s_sub_i32 s1, s13, s12
	s_mov_b32 s3, s12
	s_mov_b32 s2, s1
	v_cndmask_b32_e64 v1, 0x7fff, 0, vcc_lo
	s_delay_alu instid0(VALU_DEP_1) | instskip(NEXT) | instid1(VALU_DEP_1)
	v_xor_b32_e32 v1, v1, v7
	v_cmp_ne_u16_e32 vcc_lo, 0x8000, v1
	v_dual_cndmask_b32 v9, 0x7fff, v1 :: v_dual_and_b32 v2, 3, v0
	s_delay_alu instid0(VALU_DEP_1) | instskip(NEXT) | instid1(VALU_DEP_1)
	v_dual_mov_b32 v2, 1 :: v_dual_lshlrev_b32 v1, 2, v2
	v_dual_mov_b32 v10, v1 :: v_dual_and_b32 v9, 0xffff, v9
.LBB188_40:                             ; =>This Inner Loop Header: Depth=1
	s_delay_alu instid0(VALU_DEP_1)
	v_lshrrev_b32_e32 v11, s3, v9
	s_min_u32 s4, s2, 8
	s_add_i32 s3, s3, 8
	s_add_i32 s2, s2, -8
	s_cmp_ge_u32 s3, s13
	v_bfe_u32 v11, v11, 0, s4
	s_delay_alu instid0(VALU_DEP_1)
	v_lshl_add_u32 v11, v11, 4, v10
	v_add_nc_u32_e32 v10, 0x1000, v10
	ds_add_u32 v11, v2
	s_cbranch_scc0 .LBB188_40
; %bb.41:
	v_cmp_gt_i16_e32 vcc_lo, 0, v6
	s_mov_b32 s2, s1
	s_mov_b32 s3, s12
	v_mov_b32_e32 v10, v1
	v_cndmask_b32_e64 v2, 0x7fff, 0, vcc_lo
	s_delay_alu instid0(VALU_DEP_1) | instskip(NEXT) | instid1(VALU_DEP_1)
	v_xor_b32_e32 v2, v2, v6
	v_cmp_ne_u16_e32 vcc_lo, 0x8000, v2
	v_dual_cndmask_b32 v9, 0x7fff, v2 :: v_dual_mov_b32 v2, 1
	s_delay_alu instid0(VALU_DEP_1)
	v_and_b32_e32 v9, 0xffff, v9
.LBB188_42:                             ; =>This Inner Loop Header: Depth=1
	s_delay_alu instid0(VALU_DEP_1)
	v_lshrrev_b32_e32 v11, s3, v9
	s_min_u32 s4, s2, 8
	s_add_i32 s3, s3, 8
	s_add_i32 s2, s2, -8
	s_cmp_lt_u32 s3, s13
	v_bfe_u32 v11, v11, 0, s4
	s_delay_alu instid0(VALU_DEP_1)
	v_lshl_add_u32 v11, v11, 4, v10
	v_add_nc_u32_e32 v10, 0x1000, v10
	ds_add_u32 v11, v2
	s_cbranch_scc1 .LBB188_42
; %bb.43:
	v_cmp_gt_i16_e32 vcc_lo, 0, v4
	s_mov_b32 s2, s1
	s_mov_b32 s3, s12
	v_mov_b32_e32 v10, v1
	v_cndmask_b32_e64 v2, 0x7fff, 0, vcc_lo
	s_delay_alu instid0(VALU_DEP_1) | instskip(NEXT) | instid1(VALU_DEP_1)
	v_xor_b32_e32 v2, v2, v4
	v_cmp_ne_u16_e32 vcc_lo, 0x8000, v2
	v_dual_cndmask_b32 v9, 0x7fff, v2 :: v_dual_mov_b32 v2, 1
	s_delay_alu instid0(VALU_DEP_1)
	v_and_b32_e32 v9, 0xffff, v9
.LBB188_44:                             ; =>This Inner Loop Header: Depth=1
	s_delay_alu instid0(VALU_DEP_1)
	v_lshrrev_b32_e32 v11, s3, v9
	s_min_u32 s4, s2, 8
	s_add_i32 s3, s3, 8
	s_add_i32 s2, s2, -8
	s_cmp_lt_u32 s3, s13
	v_bfe_u32 v11, v11, 0, s4
	s_delay_alu instid0(VALU_DEP_1)
	v_lshl_add_u32 v11, v11, 4, v10
	v_add_nc_u32_e32 v10, 0x1000, v10
	ds_add_u32 v11, v2
	s_cbranch_scc1 .LBB188_44
; %bb.45:
	v_cmp_gt_i16_e32 vcc_lo, 0, v5
	s_mov_b32 s2, s12
	v_mov_b32_e32 v9, 1
	v_cndmask_b32_e64 v2, 0x7fff, 0, vcc_lo
	s_delay_alu instid0(VALU_DEP_1) | instskip(NEXT) | instid1(VALU_DEP_1)
	v_xor_b32_e32 v2, v2, v5
	v_cmp_ne_u16_e32 vcc_lo, 0x8000, v2
	v_cndmask_b32_e32 v2, 0x7fff, v2, vcc_lo
	s_delay_alu instid0(VALU_DEP_1)
	v_and_b32_e32 v2, 0xffff, v2
.LBB188_46:                             ; =>This Inner Loop Header: Depth=1
	s_delay_alu instid0(VALU_DEP_1)
	v_lshrrev_b32_e32 v10, s2, v2
	s_min_u32 s3, s1, 8
	s_add_i32 s2, s2, 8
	s_add_i32 s1, s1, -8
	s_cmp_lt_u32 s2, s13
	v_bfe_u32 v10, v10, 0, s3
	s_delay_alu instid0(VALU_DEP_1)
	v_lshl_add_u32 v10, v10, 4, v1
	v_add_nc_u32_e32 v1, 0x1000, v1
	ds_add_u32 v10, v9
	s_cbranch_scc1 .LBB188_46
.LBB188_47:
	s_and_b32 vcc_lo, exec_lo, s0
	s_waitcnt lgkmcnt(0)
	s_barrier
	buffer_gl0_inv
	s_cbranch_vccz .LBB188_52
; %bb.48:
	v_cmp_gt_u32_e32 vcc_lo, 0x100, v0
	v_dual_mov_b32 v2, 0 :: v_dual_lshlrev_b32 v9, 4, v0
	v_mov_b32_e32 v1, v0
	s_set_inst_prefetch_distance 0x1
	s_branch .LBB188_50
	.p2align	6
.LBB188_49:                             ;   in Loop: Header=BB188_50 Depth=1
	s_or_b32 exec_lo, exec_lo, s1
	v_add_nc_u32_e32 v1, 0x100, v1
	v_add_nc_u32_e32 v9, 0x1000, v9
	s_add_i32 s12, s12, 8
	s_delay_alu instid0(SALU_CYCLE_1)
	s_cmp_ge_u32 s12, s13
	s_cbranch_scc1 .LBB188_52
.LBB188_50:                             ; =>This Inner Loop Header: Depth=1
	s_and_saveexec_b32 s1, vcc_lo
	s_cbranch_execz .LBB188_49
; %bb.51:                               ;   in Loop: Header=BB188_50 Depth=1
	ds_load_2addr_b32 v[10:11], v9 offset1:1
	ds_load_2addr_b32 v[12:13], v9 offset0:2 offset1:3
	v_lshlrev_b64 v[14:15], 3, v[1:2]
	s_waitcnt lgkmcnt(1)
	v_add_nc_u32_e32 v16, v11, v10
	s_delay_alu instid0(VALU_DEP_2) | instskip(NEXT) | instid1(VALU_DEP_1)
	v_add_co_u32 v10, s0, s6, v14
	v_add_co_ci_u32_e64 v11, s0, s7, v15, s0
	s_waitcnt lgkmcnt(0)
	s_delay_alu instid0(VALU_DEP_3)
	v_add3_u32 v12, v16, v12, v13
	v_mov_b32_e32 v13, v2
	global_atomic_add_u64 v[10:11], v[12:13], off
	s_branch .LBB188_49
.LBB188_52:
	s_set_inst_prefetch_distance 0x2
	s_mov_b32 s1, 0
.LBB188_53:
	s_delay_alu instid0(SALU_CYCLE_1)
	s_and_b32 vcc_lo, exec_lo, s1
	s_cbranch_vccz .LBB188_58
; %bb.54:
	v_dual_mov_b32 v1, 0 :: v_dual_mov_b32 v2, v3
	s_mov_b32 s0, 0
.LBB188_55:                             ; =>This Inner Loop Header: Depth=1
	v_add_co_u32 v8, s1, 0x400, v8
	s_delay_alu instid0(VALU_DEP_1) | instskip(SKIP_3) | instid1(SALU_CYCLE_1)
	s_xor_b32 s1, s1, -1
	ds_store_b32 v2, v1
	v_add_nc_u32_e32 v2, 0x1000, v2
	s_and_b32 s1, exec_lo, s1
	s_or_b32 s0, s1, s0
	s_delay_alu instid0(SALU_CYCLE_1)
	s_and_not1_b32 exec_lo, exec_lo, s0
	s_cbranch_execnz .LBB188_55
; %bb.56:
	s_or_b32 exec_lo, exec_lo, s0
	s_waitcnt vmcnt(1)
	v_cmp_gt_i16_e32 vcc_lo, 0, v7
	s_waitcnt vmcnt(0) lgkmcnt(0)
	s_waitcnt_vscnt null, 0x0
	s_barrier
	buffer_gl0_inv
	s_mov_b32 s0, exec_lo
	v_cndmask_b32_e64 v1, 0x7fff, 0, vcc_lo
	v_cmp_gt_i16_e32 vcc_lo, 0, v6
	v_mov_b32_e32 v10, 1
	s_delay_alu instid0(VALU_DEP_3) | instskip(SKIP_2) | instid1(VALU_DEP_3)
	v_xor_b32_e32 v1, v1, v7
	v_cndmask_b32_e64 v2, 0x7fff, 0, vcc_lo
	v_and_b32_e32 v7, 3, v0
	v_cmp_ne_u16_e32 vcc_lo, 0x8000, v1
	s_delay_alu instid0(VALU_DEP_3) | instskip(SKIP_1) | instid1(VALU_DEP_2)
	v_xor_b32_e32 v2, v2, v6
	v_cndmask_b32_e32 v1, 0x7fff, v1, vcc_lo
	v_cmp_ne_u16_e32 vcc_lo, 0x8000, v2
	s_delay_alu instid0(VALU_DEP_2) | instskip(SKIP_2) | instid1(VALU_DEP_3)
	v_and_b32_e32 v1, 0xffff, v1
	v_cndmask_b32_e32 v2, 0x7fff, v2, vcc_lo
	v_cmp_gt_i16_e32 vcc_lo, 0, v4
	v_lshlrev_b32_e32 v8, 2, v1
	s_delay_alu instid0(VALU_DEP_3) | instskip(SKIP_4) | instid1(VALU_DEP_4)
	v_and_b32_e32 v2, 0xffff, v2
	v_cndmask_b32_e64 v6, 0x7fff, 0, vcc_lo
	v_cmp_gt_i16_e32 vcc_lo, 0, v5
	v_lshrrev_b32_e32 v1, 6, v1
	v_and_or_b32 v8, 0x3fc, v8, v7
	v_xor_b32_e32 v4, v6, v4
	v_cndmask_b32_e64 v9, 0x7fff, 0, vcc_lo
	s_delay_alu instid0(VALU_DEP_4) | instskip(NEXT) | instid1(VALU_DEP_3)
	v_and_or_b32 v1, 0x3fc, v1, v7
	v_cmp_ne_u16_e32 vcc_lo, 0x8000, v4
	s_delay_alu instid0(VALU_DEP_3) | instskip(SKIP_1) | instid1(VALU_DEP_4)
	v_xor_b32_e32 v5, v9, v5
	v_lshlrev_b32_e32 v11, 2, v2
	v_lshlrev_b32_e32 v1, 2, v1
	v_lshrrev_b32_e32 v2, 6, v2
	v_cndmask_b32_e32 v4, 0x7fff, v4, vcc_lo
	v_cmp_ne_u16_e32 vcc_lo, 0x8000, v5
	v_lshlrev_b32_e32 v8, 2, v8
	v_and_or_b32 v6, 0x3fc, v11, v7
	v_and_or_b32 v2, 0x3fc, v2, v7
	v_and_b32_e32 v4, 0xffff, v4
	v_cndmask_b32_e32 v5, 0x7fff, v5, vcc_lo
	ds_add_u32 v8, v10
	v_lshlrev_b32_e32 v6, 2, v6
	ds_add_u32 v1, v10 offset:4096
	v_lshlrev_b32_e32 v2, 2, v2
	v_and_b32_e32 v1, 0xffff, v5
	v_lshlrev_b32_e32 v5, 2, v4
	v_lshrrev_b32_e32 v4, 6, v4
	ds_add_u32 v6, v10
	v_lshlrev_b32_e32 v6, 2, v1
	v_lshrrev_b32_e32 v1, 6, v1
	v_and_or_b32 v5, 0x3fc, v5, v7
	v_and_or_b32 v4, 0x3fc, v4, v7
	s_delay_alu instid0(VALU_DEP_4) | instskip(NEXT) | instid1(VALU_DEP_4)
	v_and_or_b32 v6, 0x3fc, v6, v7
	v_and_or_b32 v1, 0x3fc, v1, v7
	s_delay_alu instid0(VALU_DEP_4) | instskip(NEXT) | instid1(VALU_DEP_4)
	v_lshlrev_b32_e32 v5, 2, v5
	v_lshlrev_b32_e32 v4, 2, v4
	s_delay_alu instid0(VALU_DEP_4) | instskip(NEXT) | instid1(VALU_DEP_4)
	v_lshlrev_b32_e32 v6, 2, v6
	v_lshlrev_b32_e32 v1, 2, v1
	ds_add_u32 v2, v10 offset:4096
	ds_add_u32 v5, v10
	ds_add_u32 v4, v10 offset:4096
	ds_add_u32 v6, v10
	ds_add_u32 v1, v10 offset:4096
	s_waitcnt lgkmcnt(0)
	s_barrier
	buffer_gl0_inv
	v_cmpx_gt_u32_e32 0x100, v0
	s_cbranch_execz .LBB188_58
; %bb.57:
	v_lshlrev_b32_e32 v5, 2, v3
	v_lshlrev_b32_e32 v6, 3, v0
	ds_load_2addr_b32 v[1:2], v5 offset1:1
	ds_load_2addr_b32 v[3:4], v5 offset0:2 offset1:3
	s_waitcnt lgkmcnt(1)
	v_dual_mov_b32 v1, 0 :: v_dual_add_nc_u32 v2, v2, v1
	s_waitcnt lgkmcnt(0)
	s_delay_alu instid0(VALU_DEP_1)
	v_add3_u32 v0, v2, v3, v4
	v_add_nc_u32_e32 v2, 0x1000, v5
	global_atomic_add_u64 v6, v[0:1], s[6:7]
	v_add_nc_u32_e32 v0, 0x1008, v5
	ds_load_2addr_b32 v[2:3], v2 offset1:1
	ds_load_2addr_b32 v[4:5], v0 offset1:1
	s_waitcnt lgkmcnt(1)
	v_add_nc_u32_e32 v0, v3, v2
	s_waitcnt lgkmcnt(0)
	s_delay_alu instid0(VALU_DEP_1)
	v_add3_u32 v0, v0, v4, v5
	global_atomic_add_u64 v6, v[0:1], s[6:7] offset:2048
.LBB188_58:
	s_nop 0
	s_sendmsg sendmsg(MSG_DEALLOC_VGPRS)
	s_endpgm
	.section	.rodata,"a",@progbits
	.p2align	6, 0x0
	.amdhsa_kernel _ZN7rocprim17ROCPRIM_304000_NS6detail26onesweep_histograms_kernelINS1_34wrapped_radix_sort_onesweep_configINS0_14default_configE6__halfN2at4cuda3cub6detail10OpaqueTypeILi8EEEEELb1EPKS5_mNS0_19identity_decomposerEEEvT1_PT2_SH_SH_T3_jj
		.amdhsa_group_segment_fixed_size 8192
		.amdhsa_private_segment_fixed_size 0
		.amdhsa_kernarg_size 44
		.amdhsa_user_sgpr_count 15
		.amdhsa_user_sgpr_dispatch_ptr 0
		.amdhsa_user_sgpr_queue_ptr 0
		.amdhsa_user_sgpr_kernarg_segment_ptr 1
		.amdhsa_user_sgpr_dispatch_id 0
		.amdhsa_user_sgpr_private_segment_size 0
		.amdhsa_wavefront_size32 1
		.amdhsa_uses_dynamic_stack 0
		.amdhsa_enable_private_segment 0
		.amdhsa_system_sgpr_workgroup_id_x 1
		.amdhsa_system_sgpr_workgroup_id_y 0
		.amdhsa_system_sgpr_workgroup_id_z 0
		.amdhsa_system_sgpr_workgroup_info 0
		.amdhsa_system_vgpr_workitem_id 0
		.amdhsa_next_free_vgpr 17
		.amdhsa_next_free_sgpr 16
		.amdhsa_reserve_vcc 1
		.amdhsa_float_round_mode_32 0
		.amdhsa_float_round_mode_16_64 0
		.amdhsa_float_denorm_mode_32 3
		.amdhsa_float_denorm_mode_16_64 3
		.amdhsa_dx10_clamp 1
		.amdhsa_ieee_mode 1
		.amdhsa_fp16_overflow 0
		.amdhsa_workgroup_processor_mode 1
		.amdhsa_memory_ordered 1
		.amdhsa_forward_progress 0
		.amdhsa_shared_vgpr_count 0
		.amdhsa_exception_fp_ieee_invalid_op 0
		.amdhsa_exception_fp_denorm_src 0
		.amdhsa_exception_fp_ieee_div_zero 0
		.amdhsa_exception_fp_ieee_overflow 0
		.amdhsa_exception_fp_ieee_underflow 0
		.amdhsa_exception_fp_ieee_inexact 0
		.amdhsa_exception_int_div_zero 0
	.end_amdhsa_kernel
	.section	.text._ZN7rocprim17ROCPRIM_304000_NS6detail26onesweep_histograms_kernelINS1_34wrapped_radix_sort_onesweep_configINS0_14default_configE6__halfN2at4cuda3cub6detail10OpaqueTypeILi8EEEEELb1EPKS5_mNS0_19identity_decomposerEEEvT1_PT2_SH_SH_T3_jj,"axG",@progbits,_ZN7rocprim17ROCPRIM_304000_NS6detail26onesweep_histograms_kernelINS1_34wrapped_radix_sort_onesweep_configINS0_14default_configE6__halfN2at4cuda3cub6detail10OpaqueTypeILi8EEEEELb1EPKS5_mNS0_19identity_decomposerEEEvT1_PT2_SH_SH_T3_jj,comdat
.Lfunc_end188:
	.size	_ZN7rocprim17ROCPRIM_304000_NS6detail26onesweep_histograms_kernelINS1_34wrapped_radix_sort_onesweep_configINS0_14default_configE6__halfN2at4cuda3cub6detail10OpaqueTypeILi8EEEEELb1EPKS5_mNS0_19identity_decomposerEEEvT1_PT2_SH_SH_T3_jj, .Lfunc_end188-_ZN7rocprim17ROCPRIM_304000_NS6detail26onesweep_histograms_kernelINS1_34wrapped_radix_sort_onesweep_configINS0_14default_configE6__halfN2at4cuda3cub6detail10OpaqueTypeILi8EEEEELb1EPKS5_mNS0_19identity_decomposerEEEvT1_PT2_SH_SH_T3_jj
                                        ; -- End function
	.section	.AMDGPU.csdata,"",@progbits
; Kernel info:
; codeLenInByte = 2972
; NumSgprs: 18
; NumVgprs: 17
; ScratchSize: 0
; MemoryBound: 0
; FloatMode: 240
; IeeeMode: 1
; LDSByteSize: 8192 bytes/workgroup (compile time only)
; SGPRBlocks: 2
; VGPRBlocks: 2
; NumSGPRsForWavesPerEU: 18
; NumVGPRsForWavesPerEU: 17
; Occupancy: 16
; WaveLimiterHint : 1
; COMPUTE_PGM_RSRC2:SCRATCH_EN: 0
; COMPUTE_PGM_RSRC2:USER_SGPR: 15
; COMPUTE_PGM_RSRC2:TRAP_HANDLER: 0
; COMPUTE_PGM_RSRC2:TGID_X_EN: 1
; COMPUTE_PGM_RSRC2:TGID_Y_EN: 0
; COMPUTE_PGM_RSRC2:TGID_Z_EN: 0
; COMPUTE_PGM_RSRC2:TIDIG_COMP_CNT: 0
	.section	.text._ZN7rocprim17ROCPRIM_304000_NS6detail31onesweep_scan_histograms_kernelINS1_34wrapped_radix_sort_onesweep_configINS0_14default_configE6__halfN2at4cuda3cub6detail10OpaqueTypeILi8EEEEEmEEvPT0_,"axG",@progbits,_ZN7rocprim17ROCPRIM_304000_NS6detail31onesweep_scan_histograms_kernelINS1_34wrapped_radix_sort_onesweep_configINS0_14default_configE6__halfN2at4cuda3cub6detail10OpaqueTypeILi8EEEEEmEEvPT0_,comdat
	.protected	_ZN7rocprim17ROCPRIM_304000_NS6detail31onesweep_scan_histograms_kernelINS1_34wrapped_radix_sort_onesweep_configINS0_14default_configE6__halfN2at4cuda3cub6detail10OpaqueTypeILi8EEEEEmEEvPT0_ ; -- Begin function _ZN7rocprim17ROCPRIM_304000_NS6detail31onesweep_scan_histograms_kernelINS1_34wrapped_radix_sort_onesweep_configINS0_14default_configE6__halfN2at4cuda3cub6detail10OpaqueTypeILi8EEEEEmEEvPT0_
	.globl	_ZN7rocprim17ROCPRIM_304000_NS6detail31onesweep_scan_histograms_kernelINS1_34wrapped_radix_sort_onesweep_configINS0_14default_configE6__halfN2at4cuda3cub6detail10OpaqueTypeILi8EEEEEmEEvPT0_
	.p2align	8
	.type	_ZN7rocprim17ROCPRIM_304000_NS6detail31onesweep_scan_histograms_kernelINS1_34wrapped_radix_sort_onesweep_configINS0_14default_configE6__halfN2at4cuda3cub6detail10OpaqueTypeILi8EEEEEmEEvPT0_,@function
_ZN7rocprim17ROCPRIM_304000_NS6detail31onesweep_scan_histograms_kernelINS1_34wrapped_radix_sort_onesweep_configINS0_14default_configE6__halfN2at4cuda3cub6detail10OpaqueTypeILi8EEEEEmEEvPT0_: ; @_ZN7rocprim17ROCPRIM_304000_NS6detail31onesweep_scan_histograms_kernelINS1_34wrapped_radix_sort_onesweep_configINS0_14default_configE6__halfN2at4cuda3cub6detail10OpaqueTypeILi8EEEEEmEEvPT0_
; %bb.0:
	s_load_b64 s[0:1], s[0:1], 0x0
	s_lshl_b32 s2, s15, 8
	s_mov_b32 s3, 0
	v_cmp_gt_u32_e32 vcc_lo, 0x100, v0
	s_lshl_b64 s[2:3], s[2:3], 3
	v_lshlrev_b32_e32 v5, 3, v0
                                        ; implicit-def: $vgpr1_vgpr2
	s_waitcnt lgkmcnt(0)
	s_add_u32 s8, s0, s2
	s_addc_u32 s9, s1, s3
	s_and_saveexec_b32 s0, vcc_lo
	s_cbranch_execz .LBB189_2
; %bb.1:
	global_load_b64 v[1:2], v5, s[8:9]
.LBB189_2:
	s_or_b32 exec_lo, exec_lo, s0
	v_mbcnt_lo_u32_b32 v6, -1, 0
	s_waitcnt vmcnt(0)
	v_mov_b32_dpp v8, v1 row_shr:1 row_mask:0xf bank_mask:0xf
	v_mov_b32_dpp v7, v2 row_shr:1 row_mask:0xf bank_mask:0xf
	s_delay_alu instid0(VALU_DEP_3) | instskip(NEXT) | instid1(VALU_DEP_1)
	v_dual_mov_b32 v3, v1 :: v_dual_and_b32 v4, 15, v6
	v_cmp_ne_u32_e64 s0, 0, v4
	s_delay_alu instid0(VALU_DEP_1)
	s_and_saveexec_b32 s2, s0
; %bb.3:
	v_add_co_u32 v3, s1, v1, v8
	s_delay_alu instid0(VALU_DEP_1) | instskip(NEXT) | instid1(VALU_DEP_2)
	v_add_co_ci_u32_e64 v2, s1, 0, v2, s1
	v_add_co_u32 v1, s1, 0, v3
	s_delay_alu instid0(VALU_DEP_1)
	v_add_co_ci_u32_e64 v2, s1, v7, v2, s1
; %bb.4:
	s_or_b32 exec_lo, exec_lo, s2
	v_mov_b32_dpp v8, v3 row_shr:2 row_mask:0xf bank_mask:0xf
	s_delay_alu instid0(VALU_DEP_2) | instskip(SKIP_1) | instid1(VALU_DEP_1)
	v_mov_b32_dpp v7, v2 row_shr:2 row_mask:0xf bank_mask:0xf
	v_cmp_lt_u32_e64 s1, 1, v4
	s_and_saveexec_b32 s3, s1
; %bb.5:
	s_delay_alu instid0(VALU_DEP_3) | instskip(NEXT) | instid1(VALU_DEP_1)
	v_add_co_u32 v3, s2, v1, v8
	v_add_co_ci_u32_e64 v2, s2, 0, v2, s2
	s_delay_alu instid0(VALU_DEP_2) | instskip(NEXT) | instid1(VALU_DEP_1)
	v_add_co_u32 v1, s2, 0, v3
	v_add_co_ci_u32_e64 v2, s2, v7, v2, s2
; %bb.6:
	s_or_b32 exec_lo, exec_lo, s3
	v_mov_b32_dpp v8, v3 row_shr:4 row_mask:0xf bank_mask:0xf
	s_delay_alu instid0(VALU_DEP_2) | instskip(SKIP_1) | instid1(VALU_DEP_1)
	v_mov_b32_dpp v7, v2 row_shr:4 row_mask:0xf bank_mask:0xf
	v_cmp_lt_u32_e64 s2, 3, v4
	s_and_saveexec_b32 s4, s2
; %bb.7:
	s_delay_alu instid0(VALU_DEP_3) | instskip(NEXT) | instid1(VALU_DEP_1)
	v_add_co_u32 v3, s3, v1, v8
	v_add_co_ci_u32_e64 v2, s3, 0, v2, s3
	s_delay_alu instid0(VALU_DEP_2) | instskip(NEXT) | instid1(VALU_DEP_1)
	v_add_co_u32 v1, s3, 0, v3
	;; [unrolled: 14-line block ×3, first 2 shown]
	v_add_co_ci_u32_e64 v2, s4, v7, v2, s4
; %bb.10:
	s_or_b32 exec_lo, exec_lo, s5
	ds_swizzle_b32 v4, v3 offset:swizzle(BROADCAST,32,15)
	ds_swizzle_b32 v3, v2 offset:swizzle(BROADCAST,32,15)
	v_and_b32_e32 v7, 16, v6
	s_delay_alu instid0(VALU_DEP_1) | instskip(NEXT) | instid1(VALU_DEP_1)
	v_cmp_ne_u32_e64 s4, 0, v7
	s_and_saveexec_b32 s6, s4
	s_cbranch_execz .LBB189_12
; %bb.11:
	s_waitcnt lgkmcnt(1)
	v_add_co_u32 v1, s5, v1, v4
	s_delay_alu instid0(VALU_DEP_1) | instskip(NEXT) | instid1(VALU_DEP_2)
	v_add_co_ci_u32_e64 v2, s5, 0, v2, s5
	v_add_co_u32 v1, s5, v1, 0
	s_waitcnt lgkmcnt(0)
	s_delay_alu instid0(VALU_DEP_2)
	v_add_co_ci_u32_e64 v2, s5, v2, v3, s5
.LBB189_12:
	s_or_b32 exec_lo, exec_lo, s6
	s_waitcnt lgkmcnt(0)
	v_and_b32_e32 v3, 31, v0
	v_lshrrev_b32_e32 v7, 5, v0
	s_mov_b32 s6, exec_lo
	s_delay_alu instid0(VALU_DEP_2)
	v_cmpx_eq_u32_e32 31, v3
	s_cbranch_execz .LBB189_14
; %bb.13:
	s_delay_alu instid0(VALU_DEP_2)
	v_lshlrev_b32_e32 v3, 3, v7
	ds_store_b64 v3, v[1:2]
.LBB189_14:
	s_or_b32 exec_lo, exec_lo, s6
	v_cmp_lt_u32_e64 s5, 31, v0
	s_mov_b32 s7, exec_lo
	s_waitcnt lgkmcnt(0)
	s_barrier
	buffer_gl0_inv
	v_cmpx_gt_u32_e32 32, v0
	s_cbranch_execz .LBB189_26
; %bb.15:
	ds_load_b64 v[3:4], v5
	s_waitcnt lgkmcnt(0)
	v_mov_b32_dpp v9, v3 row_shr:1 row_mask:0xf bank_mask:0xf
	v_mov_b32_dpp v8, v4 row_shr:1 row_mask:0xf bank_mask:0xf
	v_mov_b32_e32 v0, v3
	s_and_saveexec_b32 s6, s0
; %bb.16:
	s_delay_alu instid0(VALU_DEP_3) | instskip(NEXT) | instid1(VALU_DEP_1)
	v_add_co_u32 v0, s0, v3, v9
	v_add_co_ci_u32_e64 v4, s0, 0, v4, s0
	s_delay_alu instid0(VALU_DEP_2) | instskip(NEXT) | instid1(VALU_DEP_1)
	v_add_co_u32 v3, s0, 0, v0
	v_add_co_ci_u32_e64 v4, s0, v8, v4, s0
; %bb.17:
	s_or_b32 exec_lo, exec_lo, s6
	v_mov_b32_dpp v9, v0 row_shr:2 row_mask:0xf bank_mask:0xf
	s_delay_alu instid0(VALU_DEP_2)
	v_mov_b32_dpp v8, v4 row_shr:2 row_mask:0xf bank_mask:0xf
	s_and_saveexec_b32 s6, s1
; %bb.18:
	s_delay_alu instid0(VALU_DEP_2) | instskip(NEXT) | instid1(VALU_DEP_1)
	v_add_co_u32 v0, s0, v3, v9
	v_add_co_ci_u32_e64 v4, s0, 0, v4, s0
	s_delay_alu instid0(VALU_DEP_2) | instskip(NEXT) | instid1(VALU_DEP_1)
	v_add_co_u32 v3, s0, 0, v0
	v_add_co_ci_u32_e64 v4, s0, v8, v4, s0
; %bb.19:
	s_or_b32 exec_lo, exec_lo, s6
	v_mov_b32_dpp v9, v0 row_shr:4 row_mask:0xf bank_mask:0xf
	s_delay_alu instid0(VALU_DEP_2)
	v_mov_b32_dpp v8, v4 row_shr:4 row_mask:0xf bank_mask:0xf
	s_and_saveexec_b32 s1, s2
; %bb.20:
	s_delay_alu instid0(VALU_DEP_2) | instskip(NEXT) | instid1(VALU_DEP_1)
	;; [unrolled: 13-line block ×3, first 2 shown]
	v_add_co_u32 v0, s0, v3, v9
	v_add_co_ci_u32_e64 v4, s0, 0, v4, s0
	s_delay_alu instid0(VALU_DEP_2) | instskip(NEXT) | instid1(VALU_DEP_1)
	v_add_co_u32 v3, s0, 0, v0
	v_add_co_ci_u32_e64 v4, s0, v8, v4, s0
; %bb.23:
	s_or_b32 exec_lo, exec_lo, s1
	ds_swizzle_b32 v8, v0 offset:swizzle(BROADCAST,32,15)
	ds_swizzle_b32 v0, v4 offset:swizzle(BROADCAST,32,15)
	s_and_saveexec_b32 s1, s4
	s_cbranch_execz .LBB189_25
; %bb.24:
	s_waitcnt lgkmcnt(1)
	v_add_co_u32 v3, s0, v3, v8
	s_delay_alu instid0(VALU_DEP_1) | instskip(NEXT) | instid1(VALU_DEP_2)
	v_add_co_ci_u32_e64 v4, s0, 0, v4, s0
	v_add_co_u32 v3, s0, v3, 0
	s_waitcnt lgkmcnt(0)
	s_delay_alu instid0(VALU_DEP_2)
	v_add_co_ci_u32_e64 v4, s0, v4, v0, s0
.LBB189_25:
	s_or_b32 exec_lo, exec_lo, s1
	ds_store_b64 v5, v[3:4]
.LBB189_26:
	s_or_b32 exec_lo, exec_lo, s7
	v_mov_b32_e32 v3, 0
	v_mov_b32_e32 v4, 0
	s_waitcnt lgkmcnt(0)
	s_barrier
	buffer_gl0_inv
	s_and_saveexec_b32 s0, s5
	s_cbranch_execz .LBB189_28
; %bb.27:
	v_lshl_add_u32 v0, v7, 3, -8
	ds_load_b64 v[3:4], v0
.LBB189_28:
	s_or_b32 exec_lo, exec_lo, s0
	v_add_nc_u32_e32 v0, -1, v6
	s_delay_alu instid0(VALU_DEP_1) | instskip(NEXT) | instid1(VALU_DEP_1)
	v_cmp_gt_i32_e64 s0, 0, v0
	v_cndmask_b32_e64 v0, v0, v6, s0
	s_delay_alu instid0(VALU_DEP_1) | instskip(SKIP_2) | instid1(VALU_DEP_1)
	v_lshlrev_b32_e32 v7, 2, v0
	s_waitcnt lgkmcnt(0)
	v_add_co_u32 v0, s0, v3, v1
	v_add_co_ci_u32_e64 v1, s0, v4, v2, s0
	ds_bpermute_b32 v0, v7, v0
	ds_bpermute_b32 v1, v7, v1
	s_and_saveexec_b32 s0, vcc_lo
	s_cbranch_execz .LBB189_30
; %bb.29:
	v_cmp_eq_u32_e32 vcc_lo, 0, v6
	s_waitcnt lgkmcnt(0)
	v_dual_cndmask_b32 v1, v1, v4 :: v_dual_cndmask_b32 v0, v0, v3
	global_store_b64 v5, v[0:1], s[8:9]
.LBB189_30:
	s_nop 0
	s_sendmsg sendmsg(MSG_DEALLOC_VGPRS)
	s_endpgm
	.section	.rodata,"a",@progbits
	.p2align	6, 0x0
	.amdhsa_kernel _ZN7rocprim17ROCPRIM_304000_NS6detail31onesweep_scan_histograms_kernelINS1_34wrapped_radix_sort_onesweep_configINS0_14default_configE6__halfN2at4cuda3cub6detail10OpaqueTypeILi8EEEEEmEEvPT0_
		.amdhsa_group_segment_fixed_size 256
		.amdhsa_private_segment_fixed_size 0
		.amdhsa_kernarg_size 8
		.amdhsa_user_sgpr_count 15
		.amdhsa_user_sgpr_dispatch_ptr 0
		.amdhsa_user_sgpr_queue_ptr 0
		.amdhsa_user_sgpr_kernarg_segment_ptr 1
		.amdhsa_user_sgpr_dispatch_id 0
		.amdhsa_user_sgpr_private_segment_size 0
		.amdhsa_wavefront_size32 1
		.amdhsa_uses_dynamic_stack 0
		.amdhsa_enable_private_segment 0
		.amdhsa_system_sgpr_workgroup_id_x 1
		.amdhsa_system_sgpr_workgroup_id_y 0
		.amdhsa_system_sgpr_workgroup_id_z 0
		.amdhsa_system_sgpr_workgroup_info 0
		.amdhsa_system_vgpr_workitem_id 0
		.amdhsa_next_free_vgpr 10
		.amdhsa_next_free_sgpr 16
		.amdhsa_reserve_vcc 1
		.amdhsa_float_round_mode_32 0
		.amdhsa_float_round_mode_16_64 0
		.amdhsa_float_denorm_mode_32 3
		.amdhsa_float_denorm_mode_16_64 3
		.amdhsa_dx10_clamp 1
		.amdhsa_ieee_mode 1
		.amdhsa_fp16_overflow 0
		.amdhsa_workgroup_processor_mode 1
		.amdhsa_memory_ordered 1
		.amdhsa_forward_progress 0
		.amdhsa_shared_vgpr_count 0
		.amdhsa_exception_fp_ieee_invalid_op 0
		.amdhsa_exception_fp_denorm_src 0
		.amdhsa_exception_fp_ieee_div_zero 0
		.amdhsa_exception_fp_ieee_overflow 0
		.amdhsa_exception_fp_ieee_underflow 0
		.amdhsa_exception_fp_ieee_inexact 0
		.amdhsa_exception_int_div_zero 0
	.end_amdhsa_kernel
	.section	.text._ZN7rocprim17ROCPRIM_304000_NS6detail31onesweep_scan_histograms_kernelINS1_34wrapped_radix_sort_onesweep_configINS0_14default_configE6__halfN2at4cuda3cub6detail10OpaqueTypeILi8EEEEEmEEvPT0_,"axG",@progbits,_ZN7rocprim17ROCPRIM_304000_NS6detail31onesweep_scan_histograms_kernelINS1_34wrapped_radix_sort_onesweep_configINS0_14default_configE6__halfN2at4cuda3cub6detail10OpaqueTypeILi8EEEEEmEEvPT0_,comdat
.Lfunc_end189:
	.size	_ZN7rocprim17ROCPRIM_304000_NS6detail31onesweep_scan_histograms_kernelINS1_34wrapped_radix_sort_onesweep_configINS0_14default_configE6__halfN2at4cuda3cub6detail10OpaqueTypeILi8EEEEEmEEvPT0_, .Lfunc_end189-_ZN7rocprim17ROCPRIM_304000_NS6detail31onesweep_scan_histograms_kernelINS1_34wrapped_radix_sort_onesweep_configINS0_14default_configE6__halfN2at4cuda3cub6detail10OpaqueTypeILi8EEEEEmEEvPT0_
                                        ; -- End function
	.section	.AMDGPU.csdata,"",@progbits
; Kernel info:
; codeLenInByte = 1104
; NumSgprs: 18
; NumVgprs: 10
; ScratchSize: 0
; MemoryBound: 0
; FloatMode: 240
; IeeeMode: 1
; LDSByteSize: 256 bytes/workgroup (compile time only)
; SGPRBlocks: 2
; VGPRBlocks: 1
; NumSGPRsForWavesPerEU: 18
; NumVGPRsForWavesPerEU: 10
; Occupancy: 16
; WaveLimiterHint : 0
; COMPUTE_PGM_RSRC2:SCRATCH_EN: 0
; COMPUTE_PGM_RSRC2:USER_SGPR: 15
; COMPUTE_PGM_RSRC2:TRAP_HANDLER: 0
; COMPUTE_PGM_RSRC2:TGID_X_EN: 1
; COMPUTE_PGM_RSRC2:TGID_Y_EN: 0
; COMPUTE_PGM_RSRC2:TGID_Z_EN: 0
; COMPUTE_PGM_RSRC2:TIDIG_COMP_CNT: 0
	.section	.text._ZN7rocprim17ROCPRIM_304000_NS6detail16transform_kernelINS1_24wrapped_transform_configINS0_14default_configE6__halfEES5_PKS5_PS5_NS0_8identityIS5_EEEEvT1_mT2_T3_,"axG",@progbits,_ZN7rocprim17ROCPRIM_304000_NS6detail16transform_kernelINS1_24wrapped_transform_configINS0_14default_configE6__halfEES5_PKS5_PS5_NS0_8identityIS5_EEEEvT1_mT2_T3_,comdat
	.protected	_ZN7rocprim17ROCPRIM_304000_NS6detail16transform_kernelINS1_24wrapped_transform_configINS0_14default_configE6__halfEES5_PKS5_PS5_NS0_8identityIS5_EEEEvT1_mT2_T3_ ; -- Begin function _ZN7rocprim17ROCPRIM_304000_NS6detail16transform_kernelINS1_24wrapped_transform_configINS0_14default_configE6__halfEES5_PKS5_PS5_NS0_8identityIS5_EEEEvT1_mT2_T3_
	.globl	_ZN7rocprim17ROCPRIM_304000_NS6detail16transform_kernelINS1_24wrapped_transform_configINS0_14default_configE6__halfEES5_PKS5_PS5_NS0_8identityIS5_EEEEvT1_mT2_T3_
	.p2align	8
	.type	_ZN7rocprim17ROCPRIM_304000_NS6detail16transform_kernelINS1_24wrapped_transform_configINS0_14default_configE6__halfEES5_PKS5_PS5_NS0_8identityIS5_EEEEvT1_mT2_T3_,@function
_ZN7rocprim17ROCPRIM_304000_NS6detail16transform_kernelINS1_24wrapped_transform_configINS0_14default_configE6__halfEES5_PKS5_PS5_NS0_8identityIS5_EEEEvT1_mT2_T3_: ; @_ZN7rocprim17ROCPRIM_304000_NS6detail16transform_kernelINS1_24wrapped_transform_configINS0_14default_configE6__halfEES5_PKS5_PS5_NS0_8identityIS5_EEEEvT1_mT2_T3_
; %bb.0:
	s_clause 0x2
	s_load_b32 s10, s[0:1], 0x20
	s_load_b128 s[4:7], s[0:1], 0x0
	s_load_b64 s[0:1], s[0:1], 0x10
	s_mov_b32 s9, 0
	s_lshl_b32 s8, s15, 11
	v_lshlrev_b32_e32 v3, 1, v0
	s_lshl_b64 s[2:3], s[8:9], 1
	s_waitcnt lgkmcnt(0)
	s_add_i32 s10, s10, -1
	s_add_u32 s4, s4, s2
	s_addc_u32 s5, s5, s3
	v_add_co_u32 v1, s4, s4, v3
	s_delay_alu instid0(VALU_DEP_1)
	v_add_co_ci_u32_e64 v2, null, s5, 0, s4
	s_cmp_lg_u32 s15, s10
	s_mov_b32 s4, -1
	s_cbranch_scc0 .LBB190_2
; %bb.1:
	s_clause 0x1
	global_load_u16 v5, v[1:2], off
	global_load_u16 v4, v[1:2], off offset:2048
	s_add_u32 s10, s0, s2
	s_addc_u32 s11, s1, s3
	s_mov_b32 s9, -1
	s_waitcnt vmcnt(1)
	global_store_b16 v3, v5, s[10:11]
	s_cbranch_execz .LBB190_3
	s_branch .LBB190_10
.LBB190_2:
                                        ; implicit-def: $vgpr4
	s_and_not1_b32 vcc_lo, exec_lo, s4
	s_cbranch_vccnz .LBB190_10
.LBB190_3:
	s_sub_i32 s4, s6, s8
                                        ; implicit-def: $vgpr5
	s_delay_alu instid0(SALU_CYCLE_1)
	v_cmp_gt_u32_e32 vcc_lo, s4, v0
	s_and_saveexec_b32 s5, vcc_lo
	s_cbranch_execz .LBB190_5
; %bb.4:
	global_load_u16 v5, v[1:2], off
.LBB190_5:
	s_or_b32 exec_lo, exec_lo, s5
	v_or_b32_e32 v0, 0x400, v0
                                        ; implicit-def: $vgpr4
	s_delay_alu instid0(VALU_DEP_1) | instskip(NEXT) | instid1(VALU_DEP_1)
	v_cmp_gt_u32_e64 s9, s4, v0
	s_and_saveexec_b32 s4, s9
	s_cbranch_execz .LBB190_7
; %bb.6:
	global_load_u16 v4, v[1:2], off offset:2048
.LBB190_7:
	s_or_b32 exec_lo, exec_lo, s4
	s_and_saveexec_b32 s4, vcc_lo
	s_delay_alu instid0(SALU_CYCLE_1)
	s_xor_b32 s4, exec_lo, s4
	s_cbranch_execz .LBB190_9
; %bb.8:
	s_add_u32 s6, s0, s2
	s_addc_u32 s7, s1, s3
	s_waitcnt vmcnt(0)
	global_store_b16 v3, v5, s[6:7]
.LBB190_9:
	s_or_b32 exec_lo, exec_lo, s4
.LBB190_10:
	s_and_saveexec_b32 s4, s9
	s_cbranch_execnz .LBB190_12
; %bb.11:
	s_nop 0
	s_sendmsg sendmsg(MSG_DEALLOC_VGPRS)
	s_endpgm
.LBB190_12:
	s_add_u32 s0, s0, s2
	s_addc_u32 s1, s1, s3
	s_waitcnt vmcnt(0)
	global_store_b16 v3, v4, s[0:1] offset:2048
	s_nop 0
	s_sendmsg sendmsg(MSG_DEALLOC_VGPRS)
	s_endpgm
	.section	.rodata,"a",@progbits
	.p2align	6, 0x0
	.amdhsa_kernel _ZN7rocprim17ROCPRIM_304000_NS6detail16transform_kernelINS1_24wrapped_transform_configINS0_14default_configE6__halfEES5_PKS5_PS5_NS0_8identityIS5_EEEEvT1_mT2_T3_
		.amdhsa_group_segment_fixed_size 0
		.amdhsa_private_segment_fixed_size 0
		.amdhsa_kernarg_size 288
		.amdhsa_user_sgpr_count 15
		.amdhsa_user_sgpr_dispatch_ptr 0
		.amdhsa_user_sgpr_queue_ptr 0
		.amdhsa_user_sgpr_kernarg_segment_ptr 1
		.amdhsa_user_sgpr_dispatch_id 0
		.amdhsa_user_sgpr_private_segment_size 0
		.amdhsa_wavefront_size32 1
		.amdhsa_uses_dynamic_stack 0
		.amdhsa_enable_private_segment 0
		.amdhsa_system_sgpr_workgroup_id_x 1
		.amdhsa_system_sgpr_workgroup_id_y 0
		.amdhsa_system_sgpr_workgroup_id_z 0
		.amdhsa_system_sgpr_workgroup_info 0
		.amdhsa_system_vgpr_workitem_id 0
		.amdhsa_next_free_vgpr 6
		.amdhsa_next_free_sgpr 16
		.amdhsa_reserve_vcc 1
		.amdhsa_float_round_mode_32 0
		.amdhsa_float_round_mode_16_64 0
		.amdhsa_float_denorm_mode_32 3
		.amdhsa_float_denorm_mode_16_64 3
		.amdhsa_dx10_clamp 1
		.amdhsa_ieee_mode 1
		.amdhsa_fp16_overflow 0
		.amdhsa_workgroup_processor_mode 1
		.amdhsa_memory_ordered 1
		.amdhsa_forward_progress 0
		.amdhsa_shared_vgpr_count 0
		.amdhsa_exception_fp_ieee_invalid_op 0
		.amdhsa_exception_fp_denorm_src 0
		.amdhsa_exception_fp_ieee_div_zero 0
		.amdhsa_exception_fp_ieee_overflow 0
		.amdhsa_exception_fp_ieee_underflow 0
		.amdhsa_exception_fp_ieee_inexact 0
		.amdhsa_exception_int_div_zero 0
	.end_amdhsa_kernel
	.section	.text._ZN7rocprim17ROCPRIM_304000_NS6detail16transform_kernelINS1_24wrapped_transform_configINS0_14default_configE6__halfEES5_PKS5_PS5_NS0_8identityIS5_EEEEvT1_mT2_T3_,"axG",@progbits,_ZN7rocprim17ROCPRIM_304000_NS6detail16transform_kernelINS1_24wrapped_transform_configINS0_14default_configE6__halfEES5_PKS5_PS5_NS0_8identityIS5_EEEEvT1_mT2_T3_,comdat
.Lfunc_end190:
	.size	_ZN7rocprim17ROCPRIM_304000_NS6detail16transform_kernelINS1_24wrapped_transform_configINS0_14default_configE6__halfEES5_PKS5_PS5_NS0_8identityIS5_EEEEvT1_mT2_T3_, .Lfunc_end190-_ZN7rocprim17ROCPRIM_304000_NS6detail16transform_kernelINS1_24wrapped_transform_configINS0_14default_configE6__halfEES5_PKS5_PS5_NS0_8identityIS5_EEEEvT1_mT2_T3_
                                        ; -- End function
	.section	.AMDGPU.csdata,"",@progbits
; Kernel info:
; codeLenInByte = 316
; NumSgprs: 18
; NumVgprs: 6
; ScratchSize: 0
; MemoryBound: 0
; FloatMode: 240
; IeeeMode: 1
; LDSByteSize: 0 bytes/workgroup (compile time only)
; SGPRBlocks: 2
; VGPRBlocks: 0
; NumSGPRsForWavesPerEU: 18
; NumVGPRsForWavesPerEU: 6
; Occupancy: 16
; WaveLimiterHint : 1
; COMPUTE_PGM_RSRC2:SCRATCH_EN: 0
; COMPUTE_PGM_RSRC2:USER_SGPR: 15
; COMPUTE_PGM_RSRC2:TRAP_HANDLER: 0
; COMPUTE_PGM_RSRC2:TGID_X_EN: 1
; COMPUTE_PGM_RSRC2:TGID_Y_EN: 0
; COMPUTE_PGM_RSRC2:TGID_Z_EN: 0
; COMPUTE_PGM_RSRC2:TIDIG_COMP_CNT: 0
	.section	.text._ZN7rocprim17ROCPRIM_304000_NS6detail25onesweep_iteration_kernelINS1_34wrapped_radix_sort_onesweep_configINS0_14default_configE6__halfN2at4cuda3cub6detail10OpaqueTypeILi8EEEEELb1EPKS5_PS5_PKSB_PSB_mNS0_19identity_decomposerEEEvT1_T2_T3_T4_jPT5_SP_PNS1_23onesweep_lookback_stateET6_jjj,"axG",@progbits,_ZN7rocprim17ROCPRIM_304000_NS6detail25onesweep_iteration_kernelINS1_34wrapped_radix_sort_onesweep_configINS0_14default_configE6__halfN2at4cuda3cub6detail10OpaqueTypeILi8EEEEELb1EPKS5_PS5_PKSB_PSB_mNS0_19identity_decomposerEEEvT1_T2_T3_T4_jPT5_SP_PNS1_23onesweep_lookback_stateET6_jjj,comdat
	.protected	_ZN7rocprim17ROCPRIM_304000_NS6detail25onesweep_iteration_kernelINS1_34wrapped_radix_sort_onesweep_configINS0_14default_configE6__halfN2at4cuda3cub6detail10OpaqueTypeILi8EEEEELb1EPKS5_PS5_PKSB_PSB_mNS0_19identity_decomposerEEEvT1_T2_T3_T4_jPT5_SP_PNS1_23onesweep_lookback_stateET6_jjj ; -- Begin function _ZN7rocprim17ROCPRIM_304000_NS6detail25onesweep_iteration_kernelINS1_34wrapped_radix_sort_onesweep_configINS0_14default_configE6__halfN2at4cuda3cub6detail10OpaqueTypeILi8EEEEELb1EPKS5_PS5_PKSB_PSB_mNS0_19identity_decomposerEEEvT1_T2_T3_T4_jPT5_SP_PNS1_23onesweep_lookback_stateET6_jjj
	.globl	_ZN7rocprim17ROCPRIM_304000_NS6detail25onesweep_iteration_kernelINS1_34wrapped_radix_sort_onesweep_configINS0_14default_configE6__halfN2at4cuda3cub6detail10OpaqueTypeILi8EEEEELb1EPKS5_PS5_PKSB_PSB_mNS0_19identity_decomposerEEEvT1_T2_T3_T4_jPT5_SP_PNS1_23onesweep_lookback_stateET6_jjj
	.p2align	8
	.type	_ZN7rocprim17ROCPRIM_304000_NS6detail25onesweep_iteration_kernelINS1_34wrapped_radix_sort_onesweep_configINS0_14default_configE6__halfN2at4cuda3cub6detail10OpaqueTypeILi8EEEEELb1EPKS5_PS5_PKSB_PSB_mNS0_19identity_decomposerEEEvT1_T2_T3_T4_jPT5_SP_PNS1_23onesweep_lookback_stateET6_jjj,@function
_ZN7rocprim17ROCPRIM_304000_NS6detail25onesweep_iteration_kernelINS1_34wrapped_radix_sort_onesweep_configINS0_14default_configE6__halfN2at4cuda3cub6detail10OpaqueTypeILi8EEEEELb1EPKS5_PS5_PKSB_PSB_mNS0_19identity_decomposerEEEvT1_T2_T3_T4_jPT5_SP_PNS1_23onesweep_lookback_stateET6_jjj: ; @_ZN7rocprim17ROCPRIM_304000_NS6detail25onesweep_iteration_kernelINS1_34wrapped_radix_sort_onesweep_configINS0_14default_configE6__halfN2at4cuda3cub6detail10OpaqueTypeILi8EEEEELb1EPKS5_PS5_PKSB_PSB_mNS0_19identity_decomposerEEEvT1_T2_T3_T4_jPT5_SP_PNS1_23onesweep_lookback_stateET6_jjj
; %bb.0:
	s_clause 0x3
	s_load_b128 s[28:31], s[0:1], 0x44
	s_load_b256 s[16:23], s[0:1], 0x0
	s_load_b128 s[24:27], s[0:1], 0x28
	s_load_b64 s[12:13], s[0:1], 0x38
	v_and_b32_e32 v5, 0x3ff, v0
	v_mbcnt_lo_u32_b32 v14, -1, 0
	s_waitcnt lgkmcnt(0)
	s_cmp_ge_u32 s15, s30
	s_cbranch_scc0 .LBB191_62
; %bb.1:
	s_load_b32 s4, s[0:1], 0x20
	v_dual_mov_b32 v7, -1 :: v_dual_lshlrev_b32 v12, 2, v5
	s_lshl_b32 s5, s30, 12
	s_lshl_b32 s30, s15, 12
	s_mov_b32 s31, 0
	s_delay_alu instid0(VALU_DEP_1) | instskip(SKIP_2) | instid1(VALU_DEP_2)
	v_and_b32_e32 v10, 0xf80, v12
	v_dual_mov_b32 v6, -1 :: v_dual_lshlrev_b32 v1, 1, v14
	s_lshl_b64 s[2:3], s[30:31], 1
	v_lshlrev_b32_e32 v2, 1, v10
	v_or_b32_e32 v8, v14, v10
	s_waitcnt lgkmcnt(0)
	s_sub_i32 s34, s4, s5
	s_add_u32 s2, s16, s2
	s_addc_u32 s3, s17, s3
	v_add_co_u32 v1, s2, s2, v1
	s_delay_alu instid0(VALU_DEP_1) | instskip(SKIP_1) | instid1(VALU_DEP_3)
	v_add_co_ci_u32_e64 v3, null, s3, 0, s2
	v_cmp_gt_u32_e32 vcc_lo, s34, v8
	v_add_co_u32 v1, s2, v1, v2
	s_delay_alu instid0(VALU_DEP_1)
	v_add_co_ci_u32_e64 v2, s2, 0, v3, s2
	s_and_saveexec_b32 s2, vcc_lo
	s_cbranch_execz .LBB191_3
; %bb.2:
	global_load_u16 v7, v[1:2], off
.LBB191_3:
	s_or_b32 exec_lo, exec_lo, s2
	v_add_nc_u32_e32 v3, 32, v8
	s_delay_alu instid0(VALU_DEP_1) | instskip(NEXT) | instid1(VALU_DEP_1)
	v_cmp_gt_u32_e64 s2, s34, v3
	s_and_saveexec_b32 s3, s2
	s_cbranch_execz .LBB191_5
; %bb.4:
	global_load_u16 v6, v[1:2], off offset:64
.LBB191_5:
	s_or_b32 exec_lo, exec_lo, s3
	v_dual_mov_b32 v3, -1 :: v_dual_add_nc_u32 v4, 64, v8
	s_delay_alu instid0(VALU_DEP_1) | instskip(SKIP_1) | instid1(VALU_DEP_2)
	v_cmp_gt_u32_e64 s3, s34, v4
	v_mov_b32_e32 v4, -1
	s_and_saveexec_b32 s4, s3
	s_cbranch_execz .LBB191_7
; %bb.6:
	global_load_u16 v4, v[1:2], off offset:128
.LBB191_7:
	s_or_b32 exec_lo, exec_lo, s4
	v_add_nc_u32_e32 v8, 0x60, v8
	s_delay_alu instid0(VALU_DEP_1) | instskip(NEXT) | instid1(VALU_DEP_1)
	v_cmp_gt_u32_e64 s4, s34, v8
	s_and_saveexec_b32 s5, s4
	s_cbranch_execz .LBB191_9
; %bb.8:
	global_load_u16 v3, v[1:2], off offset:192
.LBB191_9:
	s_or_b32 exec_lo, exec_lo, s5
	s_clause 0x1
	s_load_b32 s5, s[0:1], 0x5c
	s_load_b32 s14, s[0:1], 0x50
	s_add_u32 s6, s0, 0x50
	s_addc_u32 s7, s1, 0
	s_waitcnt lgkmcnt(0)
	s_lshr_b32 s8, s5, 16
	s_cmp_lt_u32 s15, s14
	s_cselect_b32 s5, 12, 18
	s_delay_alu instid0(SALU_CYCLE_1) | instskip(SKIP_3) | instid1(VALU_DEP_1)
	s_add_u32 s6, s6, s5
	s_waitcnt vmcnt(0)
	v_cmp_gt_i16_e64 s5, 0, v7
	s_addc_u32 s7, s7, 0
	v_cndmask_b32_e64 v1, 0x7fff, 0, s5
	s_delay_alu instid0(VALU_DEP_1) | instskip(NEXT) | instid1(VALU_DEP_1)
	v_xor_b32_e32 v11, v1, v7
	v_cmp_ne_u16_e64 s5, 0x8000, v11
	s_delay_alu instid0(VALU_DEP_1) | instskip(SKIP_2) | instid1(SALU_CYCLE_1)
	v_cndmask_b32_e64 v1, 0x7fff, v11, s5
	v_mov_b32_e32 v8, 0
	s_lshl_b32 s5, -1, s29
	s_not_b32 s33, s5
	s_delay_alu instid0(VALU_DEP_2) | instskip(SKIP_2) | instid1(VALU_DEP_1)
	v_and_b32_e32 v1, 0xffff, v1
	global_load_u16 v9, v8, s[6:7]
	v_lshrrev_b32_e32 v1, s28, v1
	v_and_b32_e32 v7, s33, v1
	v_bfe_u32 v1, v0, 10, 10
	s_delay_alu instid0(VALU_DEP_2)
	v_and_b32_e32 v2, 1, v7
	v_lshlrev_b32_e32 v13, 30, v7
	v_lshlrev_b32_e32 v15, 29, v7
	;; [unrolled: 1-line block ×4, first 2 shown]
	v_add_co_u32 v2, s5, v2, -1
	s_delay_alu instid0(VALU_DEP_1)
	v_cndmask_b32_e64 v17, 0, 1, s5
	v_not_b32_e32 v21, v13
	v_cmp_gt_i32_e64 s6, 0, v13
	v_not_b32_e32 v13, v15
	v_lshlrev_b32_e32 v19, 26, v7
	v_cmp_ne_u32_e64 s5, 0, v17
	v_ashrrev_i32_e32 v21, 31, v21
	v_lshlrev_b32_e32 v20, 25, v7
	v_ashrrev_i32_e32 v13, 31, v13
	v_lshlrev_b32_e32 v17, 24, v7
	v_xor_b32_e32 v2, s5, v2
	v_cmp_gt_i32_e64 s5, 0, v15
	v_not_b32_e32 v15, v16
	v_xor_b32_e32 v21, s6, v21
	v_cmp_gt_i32_e64 s6, 0, v16
	v_and_b32_e32 v2, exec_lo, v2
	v_not_b32_e32 v16, v18
	v_ashrrev_i32_e32 v15, 31, v15
	v_xor_b32_e32 v13, s5, v13
	v_cmp_gt_i32_e64 s5, 0, v18
	v_and_b32_e32 v2, v2, v21
	v_not_b32_e32 v18, v19
	v_ashrrev_i32_e32 v16, 31, v16
	v_xor_b32_e32 v15, s6, v15
	v_cmp_gt_i32_e64 s6, 0, v19
	v_and_b32_e32 v2, v2, v13
	;; [unrolled: 5-line block ×4, first 2 shown]
	v_bfe_u32 v16, v0, 20, 10
	v_ashrrev_i32_e32 v15, 31, v15
	v_xor_b32_e32 v13, s5, v13
	v_mul_u32_u24_e32 v17, 9, v5
	v_and_b32_e32 v2, v2, v18
	v_mad_u32_u24 v16, v16, s8, v1
	v_xor_b32_e32 v18, s6, v15
	v_mul_u32_u24_e32 v7, 33, v7
	v_lshlrev_b32_e32 v15, 2, v17
	v_and_b32_e32 v13, v2, v13
	ds_store_2addr_b32 v15, v8, v8 offset0:32 offset1:33
	ds_store_2addr_b32 v15, v8, v8 offset0:34 offset1:35
	;; [unrolled: 1-line block ×4, first 2 shown]
	ds_store_b32 v15, v8 offset:160
	s_waitcnt vmcnt(0) lgkmcnt(0)
	s_barrier
	buffer_gl0_inv
	; wave barrier
	v_mad_u64_u32 v[1:2], null, v16, v9, v[5:6]
	v_and_b32_e32 v2, v13, v18
	s_delay_alu instid0(VALU_DEP_1) | instskip(NEXT) | instid1(VALU_DEP_3)
	v_mbcnt_lo_u32_b32 v13, v2, 0
	v_lshrrev_b32_e32 v1, 5, v1
	v_cmp_ne_u32_e64 s6, 0, v2
	s_delay_alu instid0(VALU_DEP_3) | instskip(NEXT) | instid1(VALU_DEP_3)
	v_cmp_eq_u32_e64 s5, 0, v13
	v_add_lshl_u32 v16, v1, v7, 2
	s_delay_alu instid0(VALU_DEP_2) | instskip(NEXT) | instid1(SALU_CYCLE_1)
	s_and_b32 s6, s6, s5
	s_and_saveexec_b32 s5, s6
	s_cbranch_execz .LBB191_11
; %bb.10:
	v_bcnt_u32_b32 v2, v2, 0
	ds_store_b32 v16, v2 offset:128
.LBB191_11:
	s_or_b32 exec_lo, exec_lo, s5
	v_cmp_gt_i16_e64 s5, 0, v6
	; wave barrier
	s_delay_alu instid0(VALU_DEP_1) | instskip(NEXT) | instid1(VALU_DEP_1)
	v_cndmask_b32_e64 v2, 0x7fff, 0, s5
	v_xor_b32_e32 v17, v2, v6
	s_delay_alu instid0(VALU_DEP_1) | instskip(NEXT) | instid1(VALU_DEP_1)
	v_cmp_ne_u16_e64 s5, 0x8000, v17
	v_cndmask_b32_e64 v2, 0x7fff, v17, s5
	s_delay_alu instid0(VALU_DEP_1) | instskip(NEXT) | instid1(VALU_DEP_1)
	v_and_b32_e32 v2, 0xffff, v2
	v_lshrrev_b32_e32 v2, s28, v2
	s_delay_alu instid0(VALU_DEP_1) | instskip(NEXT) | instid1(VALU_DEP_1)
	v_and_b32_e32 v2, s33, v2
	v_and_b32_e32 v6, 1, v2
	v_lshlrev_b32_e32 v7, 30, v2
	v_lshlrev_b32_e32 v8, 29, v2
	;; [unrolled: 1-line block ×4, first 2 shown]
	v_add_co_u32 v6, s5, v6, -1
	s_delay_alu instid0(VALU_DEP_1)
	v_cndmask_b32_e64 v18, 0, 1, s5
	v_not_b32_e32 v22, v7
	v_cmp_gt_i32_e64 s6, 0, v7
	v_not_b32_e32 v7, v8
	v_lshlrev_b32_e32 v20, 26, v2
	v_cmp_ne_u32_e64 s5, 0, v18
	v_ashrrev_i32_e32 v22, 31, v22
	v_lshlrev_b32_e32 v21, 25, v2
	v_ashrrev_i32_e32 v7, 31, v7
	v_lshlrev_b32_e32 v18, 24, v2
	v_xor_b32_e32 v6, s5, v6
	v_cmp_gt_i32_e64 s5, 0, v8
	v_not_b32_e32 v8, v9
	v_xor_b32_e32 v22, s6, v22
	v_cmp_gt_i32_e64 s6, 0, v9
	v_and_b32_e32 v6, exec_lo, v6
	v_not_b32_e32 v9, v19
	v_ashrrev_i32_e32 v8, 31, v8
	v_xor_b32_e32 v7, s5, v7
	v_cmp_gt_i32_e64 s5, 0, v19
	v_and_b32_e32 v6, v6, v22
	v_not_b32_e32 v19, v20
	v_ashrrev_i32_e32 v9, 31, v9
	v_xor_b32_e32 v8, s6, v8
	v_cmp_gt_i32_e64 s6, 0, v20
	v_and_b32_e32 v6, v6, v7
	;; [unrolled: 5-line block ×3, first 2 shown]
	v_not_b32_e32 v8, v18
	v_ashrrev_i32_e32 v7, 31, v7
	v_xor_b32_e32 v19, s6, v19
	v_mul_u32_u24_e32 v2, 33, v2
	v_and_b32_e32 v6, v6, v9
	v_cmp_gt_i32_e64 s6, 0, v18
	v_ashrrev_i32_e32 v8, 31, v8
	v_xor_b32_e32 v7, s5, v7
	v_add_lshl_u32 v21, v1, v2, 2
	v_and_b32_e32 v6, v6, v19
	s_delay_alu instid0(VALU_DEP_4) | instskip(SKIP_2) | instid1(VALU_DEP_1)
	v_xor_b32_e32 v2, s6, v8
	ds_load_b32 v18, v21 offset:128
	v_and_b32_e32 v6, v6, v7
	; wave barrier
	v_and_b32_e32 v2, v6, v2
	s_delay_alu instid0(VALU_DEP_1) | instskip(SKIP_1) | instid1(VALU_DEP_2)
	v_mbcnt_lo_u32_b32 v19, v2, 0
	v_cmp_ne_u32_e64 s6, 0, v2
	v_cmp_eq_u32_e64 s5, 0, v19
	s_delay_alu instid0(VALU_DEP_1) | instskip(NEXT) | instid1(SALU_CYCLE_1)
	s_and_b32 s6, s6, s5
	s_and_saveexec_b32 s5, s6
	s_cbranch_execz .LBB191_13
; %bb.12:
	s_waitcnt lgkmcnt(0)
	v_bcnt_u32_b32 v2, v2, v18
	ds_store_b32 v21, v2 offset:128
.LBB191_13:
	s_or_b32 exec_lo, exec_lo, s5
	v_cmp_gt_i16_e64 s5, 0, v4
	; wave barrier
	s_delay_alu instid0(VALU_DEP_1) | instskip(NEXT) | instid1(VALU_DEP_1)
	v_cndmask_b32_e64 v2, 0x7fff, 0, s5
	v_xor_b32_e32 v20, v2, v4
	s_delay_alu instid0(VALU_DEP_1) | instskip(NEXT) | instid1(VALU_DEP_1)
	v_cmp_ne_u16_e64 s5, 0x8000, v20
	v_cndmask_b32_e64 v2, 0x7fff, v20, s5
	s_delay_alu instid0(VALU_DEP_1) | instskip(NEXT) | instid1(VALU_DEP_1)
	v_and_b32_e32 v2, 0xffff, v2
	v_lshrrev_b32_e32 v2, s28, v2
	s_delay_alu instid0(VALU_DEP_1) | instskip(NEXT) | instid1(VALU_DEP_1)
	v_and_b32_e32 v2, s33, v2
	v_and_b32_e32 v4, 1, v2
	v_lshlrev_b32_e32 v6, 30, v2
	v_lshlrev_b32_e32 v7, 29, v2
	;; [unrolled: 1-line block ×4, first 2 shown]
	v_add_co_u32 v4, s5, v4, -1
	s_delay_alu instid0(VALU_DEP_1)
	v_cndmask_b32_e64 v9, 0, 1, s5
	v_not_b32_e32 v25, v6
	v_cmp_gt_i32_e64 s6, 0, v6
	v_not_b32_e32 v6, v7
	v_lshlrev_b32_e32 v23, 26, v2
	v_cmp_ne_u32_e64 s5, 0, v9
	v_ashrrev_i32_e32 v25, 31, v25
	v_lshlrev_b32_e32 v24, 25, v2
	v_ashrrev_i32_e32 v6, 31, v6
	v_lshlrev_b32_e32 v9, 24, v2
	v_xor_b32_e32 v4, s5, v4
	v_cmp_gt_i32_e64 s5, 0, v7
	v_not_b32_e32 v7, v8
	v_xor_b32_e32 v25, s6, v25
	v_cmp_gt_i32_e64 s6, 0, v8
	v_and_b32_e32 v4, exec_lo, v4
	v_not_b32_e32 v8, v22
	v_ashrrev_i32_e32 v7, 31, v7
	v_xor_b32_e32 v6, s5, v6
	v_cmp_gt_i32_e64 s5, 0, v22
	v_and_b32_e32 v4, v4, v25
	v_not_b32_e32 v22, v23
	v_ashrrev_i32_e32 v8, 31, v8
	v_xor_b32_e32 v7, s6, v7
	v_cmp_gt_i32_e64 s6, 0, v23
	v_and_b32_e32 v4, v4, v6
	;; [unrolled: 5-line block ×3, first 2 shown]
	v_not_b32_e32 v7, v9
	v_ashrrev_i32_e32 v6, 31, v6
	v_xor_b32_e32 v22, s6, v22
	v_mul_u32_u24_e32 v2, 33, v2
	v_and_b32_e32 v4, v4, v8
	v_cmp_gt_i32_e64 s6, 0, v9
	v_ashrrev_i32_e32 v7, 31, v7
	v_xor_b32_e32 v6, s5, v6
	s_delay_alu instid0(VALU_DEP_4) | instskip(SKIP_1) | instid1(VALU_DEP_4)
	v_and_b32_e32 v4, v4, v22
	v_add_lshl_u32 v22, v1, v2, 2
	v_xor_b32_e32 v2, s6, v7
	s_delay_alu instid0(VALU_DEP_3) | instskip(SKIP_2) | instid1(VALU_DEP_1)
	v_and_b32_e32 v4, v4, v6
	ds_load_b32 v23, v22 offset:128
	; wave barrier
	v_and_b32_e32 v2, v4, v2
	v_mbcnt_lo_u32_b32 v24, v2, 0
	v_cmp_ne_u32_e64 s6, 0, v2
	s_delay_alu instid0(VALU_DEP_2) | instskip(NEXT) | instid1(VALU_DEP_1)
	v_cmp_eq_u32_e64 s5, 0, v24
	s_and_b32 s6, s6, s5
	s_delay_alu instid0(SALU_CYCLE_1)
	s_and_saveexec_b32 s5, s6
	s_cbranch_execz .LBB191_15
; %bb.14:
	s_waitcnt lgkmcnt(0)
	v_bcnt_u32_b32 v2, v2, v23
	ds_store_b32 v22, v2 offset:128
.LBB191_15:
	s_or_b32 exec_lo, exec_lo, s5
	v_cmp_gt_i16_e64 s5, 0, v3
	; wave barrier
	v_add_nc_u32_e32 v29, 0x80, v15
	s_delay_alu instid0(VALU_DEP_2) | instskip(NEXT) | instid1(VALU_DEP_1)
	v_cndmask_b32_e64 v2, 0x7fff, 0, s5
	v_xor_b32_e32 v25, v2, v3
	s_delay_alu instid0(VALU_DEP_1) | instskip(NEXT) | instid1(VALU_DEP_1)
	v_cmp_ne_u16_e64 s5, 0x8000, v25
	v_cndmask_b32_e64 v2, 0x7fff, v25, s5
	s_delay_alu instid0(VALU_DEP_1) | instskip(NEXT) | instid1(VALU_DEP_1)
	v_and_b32_e32 v2, 0xffff, v2
	v_lshrrev_b32_e32 v2, s28, v2
	s_delay_alu instid0(VALU_DEP_1) | instskip(NEXT) | instid1(VALU_DEP_1)
	v_and_b32_e32 v2, s33, v2
	v_and_b32_e32 v3, 1, v2
	v_lshlrev_b32_e32 v4, 30, v2
	v_lshlrev_b32_e32 v6, 29, v2
	;; [unrolled: 1-line block ×4, first 2 shown]
	v_add_co_u32 v3, s5, v3, -1
	s_delay_alu instid0(VALU_DEP_1)
	v_cndmask_b32_e64 v8, 0, 1, s5
	v_not_b32_e32 v28, v4
	v_cmp_gt_i32_e64 s6, 0, v4
	v_not_b32_e32 v4, v6
	v_lshlrev_b32_e32 v26, 26, v2
	v_cmp_ne_u32_e64 s5, 0, v8
	v_ashrrev_i32_e32 v28, 31, v28
	v_lshlrev_b32_e32 v27, 25, v2
	v_ashrrev_i32_e32 v4, 31, v4
	v_lshlrev_b32_e32 v8, 24, v2
	v_xor_b32_e32 v3, s5, v3
	v_cmp_gt_i32_e64 s5, 0, v6
	v_not_b32_e32 v6, v7
	v_xor_b32_e32 v28, s6, v28
	v_cmp_gt_i32_e64 s6, 0, v7
	v_and_b32_e32 v3, exec_lo, v3
	v_not_b32_e32 v7, v9
	v_ashrrev_i32_e32 v6, 31, v6
	v_xor_b32_e32 v4, s5, v4
	v_cmp_gt_i32_e64 s5, 0, v9
	v_and_b32_e32 v3, v3, v28
	v_not_b32_e32 v9, v26
	v_ashrrev_i32_e32 v7, 31, v7
	v_xor_b32_e32 v6, s6, v6
	v_cmp_gt_i32_e64 s6, 0, v26
	v_and_b32_e32 v3, v3, v4
	;; [unrolled: 5-line block ×3, first 2 shown]
	v_not_b32_e32 v6, v8
	v_ashrrev_i32_e32 v4, 31, v4
	v_xor_b32_e32 v9, s6, v9
	v_mul_u32_u24_e32 v2, 33, v2
	v_and_b32_e32 v3, v3, v7
	v_cmp_gt_i32_e64 s6, 0, v8
	v_ashrrev_i32_e32 v6, 31, v6
	v_xor_b32_e32 v4, s5, v4
	v_add_lshl_u32 v28, v2, v1, 2
	v_and_b32_e32 v3, v3, v9
	s_delay_alu instid0(VALU_DEP_4) | instskip(SKIP_2) | instid1(VALU_DEP_1)
	v_xor_b32_e32 v1, s6, v6
	ds_load_b32 v26, v28 offset:128
	v_and_b32_e32 v2, v3, v4
	; wave barrier
	v_and_b32_e32 v1, v2, v1
	s_delay_alu instid0(VALU_DEP_1) | instskip(SKIP_1) | instid1(VALU_DEP_2)
	v_mbcnt_lo_u32_b32 v27, v1, 0
	v_cmp_ne_u32_e64 s6, 0, v1
	v_cmp_eq_u32_e64 s5, 0, v27
	s_delay_alu instid0(VALU_DEP_1) | instskip(NEXT) | instid1(SALU_CYCLE_1)
	s_and_b32 s6, s6, s5
	s_and_saveexec_b32 s5, s6
	s_cbranch_execz .LBB191_17
; %bb.16:
	s_waitcnt lgkmcnt(0)
	v_bcnt_u32_b32 v1, v1, v26
	ds_store_b32 v28, v1 offset:128
.LBB191_17:
	s_or_b32 exec_lo, exec_lo, s5
	; wave barrier
	s_waitcnt lgkmcnt(0)
	s_barrier
	buffer_gl0_inv
	ds_load_2addr_b32 v[8:9], v15 offset0:32 offset1:33
	ds_load_2addr_b32 v[6:7], v29 offset0:2 offset1:3
	;; [unrolled: 1-line block ×4, first 2 shown]
	ds_load_b32 v30, v29 offset:32
	v_and_b32_e32 v33, 16, v14
	v_and_b32_e32 v34, 31, v5
	s_mov_b32 s11, exec_lo
	s_delay_alu instid0(VALU_DEP_2) | instskip(SKIP_3) | instid1(VALU_DEP_1)
	v_cmp_eq_u32_e64 s9, 0, v33
	s_waitcnt lgkmcnt(3)
	v_add3_u32 v31, v9, v8, v6
	s_waitcnt lgkmcnt(2)
	v_add3_u32 v31, v31, v7, v3
	s_waitcnt lgkmcnt(1)
	s_delay_alu instid0(VALU_DEP_1) | instskip(SKIP_1) | instid1(VALU_DEP_1)
	v_add3_u32 v31, v31, v4, v1
	s_waitcnt lgkmcnt(0)
	v_add3_u32 v30, v31, v2, v30
	v_and_b32_e32 v31, 15, v14
	s_delay_alu instid0(VALU_DEP_2) | instskip(NEXT) | instid1(VALU_DEP_2)
	v_mov_b32_dpp v32, v30 row_shr:1 row_mask:0xf bank_mask:0xf
	v_cmp_eq_u32_e64 s5, 0, v31
	v_cmp_lt_u32_e64 s6, 1, v31
	v_cmp_lt_u32_e64 s7, 3, v31
	;; [unrolled: 1-line block ×3, first 2 shown]
	s_delay_alu instid0(VALU_DEP_4) | instskip(NEXT) | instid1(VALU_DEP_1)
	v_cndmask_b32_e64 v32, v32, 0, s5
	v_add_nc_u32_e32 v30, v32, v30
	s_delay_alu instid0(VALU_DEP_1) | instskip(NEXT) | instid1(VALU_DEP_1)
	v_mov_b32_dpp v32, v30 row_shr:2 row_mask:0xf bank_mask:0xf
	v_cndmask_b32_e64 v32, 0, v32, s6
	s_delay_alu instid0(VALU_DEP_1) | instskip(NEXT) | instid1(VALU_DEP_1)
	v_add_nc_u32_e32 v30, v30, v32
	v_mov_b32_dpp v32, v30 row_shr:4 row_mask:0xf bank_mask:0xf
	s_delay_alu instid0(VALU_DEP_1) | instskip(NEXT) | instid1(VALU_DEP_1)
	v_cndmask_b32_e64 v32, 0, v32, s7
	v_add_nc_u32_e32 v30, v30, v32
	s_delay_alu instid0(VALU_DEP_1) | instskip(NEXT) | instid1(VALU_DEP_1)
	v_mov_b32_dpp v32, v30 row_shr:8 row_mask:0xf bank_mask:0xf
	v_cndmask_b32_e64 v31, 0, v32, s8
	v_bfe_i32 v32, v14, 4, 1
	s_delay_alu instid0(VALU_DEP_2) | instskip(SKIP_4) | instid1(VALU_DEP_2)
	v_add_nc_u32_e32 v30, v30, v31
	ds_swizzle_b32 v31, v30 offset:swizzle(BROADCAST,32,15)
	s_waitcnt lgkmcnt(0)
	v_and_b32_e32 v32, v32, v31
	v_lshrrev_b32_e32 v31, 5, v5
	v_add_nc_u32_e32 v30, v30, v32
	v_cmpx_eq_u32_e32 31, v34
	s_cbranch_execz .LBB191_19
; %bb.18:
	s_delay_alu instid0(VALU_DEP_3)
	v_lshlrev_b32_e32 v32, 2, v31
	ds_store_b32 v32, v30
.LBB191_19:
	s_or_b32 exec_lo, exec_lo, s11
	v_cmp_lt_u32_e64 s10, 31, v5
	s_mov_b32 s35, exec_lo
	s_waitcnt lgkmcnt(0)
	s_barrier
	buffer_gl0_inv
	v_cmpx_gt_u32_e32 32, v5
	s_cbranch_execz .LBB191_21
; %bb.20:
	ds_load_b32 v32, v12
	s_waitcnt lgkmcnt(0)
	v_mov_b32_dpp v33, v32 row_shr:1 row_mask:0xf bank_mask:0xf
	s_delay_alu instid0(VALU_DEP_1) | instskip(NEXT) | instid1(VALU_DEP_1)
	v_cndmask_b32_e64 v33, v33, 0, s5
	v_add_nc_u32_e32 v32, v33, v32
	s_delay_alu instid0(VALU_DEP_1) | instskip(NEXT) | instid1(VALU_DEP_1)
	v_mov_b32_dpp v33, v32 row_shr:2 row_mask:0xf bank_mask:0xf
	v_cndmask_b32_e64 v33, 0, v33, s6
	s_delay_alu instid0(VALU_DEP_1) | instskip(NEXT) | instid1(VALU_DEP_1)
	v_add_nc_u32_e32 v32, v32, v33
	v_mov_b32_dpp v33, v32 row_shr:4 row_mask:0xf bank_mask:0xf
	s_delay_alu instid0(VALU_DEP_1) | instskip(NEXT) | instid1(VALU_DEP_1)
	v_cndmask_b32_e64 v33, 0, v33, s7
	v_add_nc_u32_e32 v32, v32, v33
	s_delay_alu instid0(VALU_DEP_1) | instskip(NEXT) | instid1(VALU_DEP_1)
	v_mov_b32_dpp v33, v32 row_shr:8 row_mask:0xf bank_mask:0xf
	v_cndmask_b32_e64 v33, 0, v33, s8
	s_delay_alu instid0(VALU_DEP_1) | instskip(SKIP_3) | instid1(VALU_DEP_1)
	v_add_nc_u32_e32 v32, v32, v33
	ds_swizzle_b32 v33, v32 offset:swizzle(BROADCAST,32,15)
	s_waitcnt lgkmcnt(0)
	v_cndmask_b32_e64 v33, v33, 0, s9
	v_add_nc_u32_e32 v32, v32, v33
	ds_store_b32 v12, v32
.LBB191_21:
	s_or_b32 exec_lo, exec_lo, s35
	v_mov_b32_e32 v12, 0
	s_waitcnt lgkmcnt(0)
	s_barrier
	buffer_gl0_inv
	s_and_saveexec_b32 s5, s10
	s_cbranch_execz .LBB191_23
; %bb.22:
	v_lshl_add_u32 v12, v31, 2, -4
	ds_load_b32 v12, v12
.LBB191_23:
	s_or_b32 exec_lo, exec_lo, s5
	v_add_nc_u32_e32 v31, -1, v14
	s_waitcnt lgkmcnt(0)
	v_add_nc_u32_e32 v30, v12, v30
	s_delay_alu instid0(VALU_DEP_2) | instskip(NEXT) | instid1(VALU_DEP_1)
	v_cmp_gt_i32_e64 s5, 0, v31
	v_cndmask_b32_e64 v31, v31, v14, s5
	v_cmp_eq_u32_e64 s5, 0, v14
	s_delay_alu instid0(VALU_DEP_2) | instskip(SKIP_4) | instid1(VALU_DEP_1)
	v_lshlrev_b32_e32 v31, 2, v31
	ds_bpermute_b32 v30, v31, v30
	s_waitcnt lgkmcnt(0)
	v_cndmask_b32_e64 v12, v30, v12, s5
	v_cmp_ne_u32_e64 s5, 0, v5
	v_cndmask_b32_e64 v12, 0, v12, s5
	v_cmp_gt_u32_e64 s5, 0x100, v5
	s_delay_alu instid0(VALU_DEP_2) | instskip(NEXT) | instid1(VALU_DEP_1)
	v_add_nc_u32_e32 v8, v12, v8
	v_add_nc_u32_e32 v9, v8, v9
	s_delay_alu instid0(VALU_DEP_1) | instskip(NEXT) | instid1(VALU_DEP_1)
	v_add_nc_u32_e32 v6, v9, v6
	v_add_nc_u32_e32 v7, v6, v7
	s_delay_alu instid0(VALU_DEP_1) | instskip(NEXT) | instid1(VALU_DEP_1)
	;; [unrolled: 3-line block ×3, first 2 shown]
	v_add_nc_u32_e32 v1, v4, v1
	v_add_nc_u32_e32 v2, v1, v2
	ds_store_2addr_b32 v15, v12, v8 offset0:32 offset1:33
	ds_store_2addr_b32 v29, v9, v6 offset0:2 offset1:3
	;; [unrolled: 1-line block ×4, first 2 shown]
	ds_store_b32 v29, v2 offset:32
	s_waitcnt lgkmcnt(0)
	s_barrier
	buffer_gl0_inv
	ds_load_b32 v1, v16 offset:128
	ds_load_b32 v2, v21 offset:128
	;; [unrolled: 1-line block ×4, first 2 shown]
                                        ; implicit-def: $vgpr15
                                        ; implicit-def: $vgpr16
	s_and_saveexec_b32 s7, s5
	s_cbranch_execz .LBB191_27
; %bb.24:
	v_mul_u32_u24_e32 v6, 33, v5
	s_mov_b32 s8, exec_lo
	s_delay_alu instid0(VALU_DEP_1)
	v_dual_mov_b32 v6, 0x1000 :: v_dual_lshlrev_b32 v7, 2, v6
	ds_load_b32 v15, v7 offset:128
	v_cmpx_ne_u32_e32 0xff, v5
	s_cbranch_execz .LBB191_26
; %bb.25:
	ds_load_b32 v6, v7 offset:260
.LBB191_26:
	s_or_b32 exec_lo, exec_lo, s8
	s_waitcnt lgkmcnt(0)
	v_sub_nc_u32_e32 v16, v6, v15
.LBB191_27:
	s_or_b32 exec_lo, exec_lo, s7
	s_waitcnt lgkmcnt(3)
	v_add_nc_u32_e32 v22, v1, v13
	s_waitcnt lgkmcnt(2)
	v_add3_u32 v21, v19, v18, v2
	s_waitcnt lgkmcnt(1)
	v_add3_u32 v19, v24, v23, v3
	;; [unrolled: 2-line block ×3, first 2 shown]
	v_lshlrev_b32_e32 v1, 1, v22
	v_lshlrev_b32_e32 v2, 1, v21
	;; [unrolled: 1-line block ×3, first 2 shown]
	s_delay_alu instid0(VALU_DEP_4)
	v_lshlrev_b32_e32 v4, 1, v18
	s_barrier
	buffer_gl0_inv
	ds_store_b16 v1, v11 offset:2048
	ds_store_b16 v2, v17 offset:2048
	;; [unrolled: 1-line block ×4, first 2 shown]
	s_waitcnt lgkmcnt(0)
	s_barrier
	buffer_gl0_inv
	s_and_saveexec_b32 s7, s5
	s_cbranch_execz .LBB191_37
; %bb.28:
	v_lshl_or_b32 v3, s15, 8, v5
	v_mov_b32_e32 v4, 0
	v_mov_b32_e32 v8, 0
	s_mov_b32 s8, 0
	s_mov_b32 s9, s15
	s_delay_alu instid0(VALU_DEP_2) | instskip(SKIP_1) | instid1(VALU_DEP_2)
	v_lshlrev_b64 v[1:2], 2, v[3:4]
	v_or_b32_e32 v3, 2.0, v16
	v_add_co_u32 v1, s6, s12, v1
	s_delay_alu instid0(VALU_DEP_1)
	v_add_co_ci_u32_e64 v2, s6, s13, v2, s6
                                        ; implicit-def: $sgpr6
	global_store_b32 v[1:2], v3, off
	s_branch .LBB191_30
	.p2align	6
.LBB191_29:                             ;   in Loop: Header=BB191_30 Depth=1
	s_or_b32 exec_lo, exec_lo, s10
	v_and_b32_e32 v6, 0x3fffffff, v9
	v_cmp_eq_u32_e64 s6, 0x80000000, v3
	s_delay_alu instid0(VALU_DEP_2) | instskip(NEXT) | instid1(VALU_DEP_2)
	v_add_nc_u32_e32 v8, v6, v8
	s_and_b32 s10, exec_lo, s6
	s_delay_alu instid0(SALU_CYCLE_1) | instskip(NEXT) | instid1(SALU_CYCLE_1)
	s_or_b32 s8, s10, s8
	s_and_not1_b32 exec_lo, exec_lo, s8
	s_cbranch_execz .LBB191_36
.LBB191_30:                             ; =>This Loop Header: Depth=1
                                        ;     Child Loop BB191_33 Depth 2
	s_or_b32 s6, s6, exec_lo
	s_cmp_eq_u32 s9, 0
	s_cbranch_scc1 .LBB191_35
; %bb.31:                               ;   in Loop: Header=BB191_30 Depth=1
	s_add_i32 s9, s9, -1
	s_mov_b32 s10, exec_lo
	v_lshl_or_b32 v3, s9, 8, v5
	s_delay_alu instid0(VALU_DEP_1) | instskip(NEXT) | instid1(VALU_DEP_1)
	v_lshlrev_b64 v[6:7], 2, v[3:4]
	v_add_co_u32 v6, s6, s12, v6
	s_delay_alu instid0(VALU_DEP_1) | instskip(SKIP_3) | instid1(VALU_DEP_1)
	v_add_co_ci_u32_e64 v7, s6, s13, v7, s6
	global_load_b32 v9, v[6:7], off glc
	s_waitcnt vmcnt(0)
	v_and_b32_e32 v3, -2.0, v9
	v_cmpx_eq_u32_e32 0, v3
	s_cbranch_execz .LBB191_29
; %bb.32:                               ;   in Loop: Header=BB191_30 Depth=1
	s_mov_b32 s11, 0
.LBB191_33:                             ;   Parent Loop BB191_30 Depth=1
                                        ; =>  This Inner Loop Header: Depth=2
	global_load_b32 v9, v[6:7], off glc
	s_waitcnt vmcnt(0)
	v_and_b32_e32 v3, -2.0, v9
	s_delay_alu instid0(VALU_DEP_1) | instskip(NEXT) | instid1(VALU_DEP_1)
	v_cmp_ne_u32_e64 s6, 0, v3
	s_or_b32 s11, s6, s11
	s_delay_alu instid0(SALU_CYCLE_1)
	s_and_not1_b32 exec_lo, exec_lo, s11
	s_cbranch_execnz .LBB191_33
; %bb.34:                               ;   in Loop: Header=BB191_30 Depth=1
	s_or_b32 exec_lo, exec_lo, s11
	s_branch .LBB191_29
.LBB191_35:                             ;   in Loop: Header=BB191_30 Depth=1
                                        ; implicit-def: $sgpr9
	s_and_b32 s10, exec_lo, s6
	s_delay_alu instid0(SALU_CYCLE_1) | instskip(NEXT) | instid1(SALU_CYCLE_1)
	s_or_b32 s8, s10, s8
	s_and_not1_b32 exec_lo, exec_lo, s8
	s_cbranch_execnz .LBB191_30
.LBB191_36:
	s_or_b32 exec_lo, exec_lo, s8
	v_add_nc_u32_e32 v3, v8, v16
	v_lshlrev_b32_e32 v4, 3, v5
	s_delay_alu instid0(VALU_DEP_2) | instskip(SKIP_3) | instid1(VALU_DEP_1)
	v_or_b32_e32 v3, 0x80000000, v3
	global_store_b32 v[1:2], v3, off
	global_load_b64 v[1:2], v4, s[24:25]
	v_sub_co_u32 v3, s6, v8, v15
	v_sub_co_ci_u32_e64 v6, null, 0, 0, s6
	s_waitcnt vmcnt(0)
	s_delay_alu instid0(VALU_DEP_2) | instskip(NEXT) | instid1(VALU_DEP_1)
	v_add_co_u32 v1, s6, v3, v1
	v_add_co_ci_u32_e64 v2, s6, v6, v2, s6
	ds_store_b64 v4, v[1:2]
.LBB191_37:
	s_or_b32 exec_lo, exec_lo, s7
	v_cmp_gt_u32_e64 s6, s34, v5
	v_lshlrev_b32_e32 v24, 1, v5
	s_waitcnt lgkmcnt(0)
	s_waitcnt_vscnt null, 0x0
	s_barrier
	buffer_gl0_inv
	s_and_saveexec_b32 s8, s6
	s_cbranch_execz .LBB191_39
; %bb.38:
	ds_load_u16 v3, v24 offset:2048
	s_waitcnt lgkmcnt(0)
	v_cmp_ne_u16_e64 s7, 0x8000, v3
	s_delay_alu instid0(VALU_DEP_1) | instskip(SKIP_1) | instid1(VALU_DEP_2)
	v_cndmask_b32_e64 v1, 0x7fff, v3, s7
	v_cmp_gt_i16_e64 s7, 0, v3
	v_and_b32_e32 v1, 0xffff, v1
	s_delay_alu instid0(VALU_DEP_2) | instskip(NEXT) | instid1(VALU_DEP_2)
	v_cndmask_b32_e64 v4, 0x7fff, 0, s7
	v_lshrrev_b32_e32 v1, s28, v1
	s_delay_alu instid0(VALU_DEP_2) | instskip(NEXT) | instid1(VALU_DEP_2)
	v_xor_b32_e32 v3, v4, v3
	v_and_b32_e32 v1, s33, v1
	s_delay_alu instid0(VALU_DEP_1) | instskip(SKIP_3) | instid1(VALU_DEP_1)
	v_lshlrev_b32_e32 v1, 3, v1
	ds_load_b64 v[1:2], v1
	s_waitcnt lgkmcnt(0)
	v_lshlrev_b64 v[1:2], 1, v[1:2]
	v_add_co_u32 v1, s7, s18, v1
	s_delay_alu instid0(VALU_DEP_1) | instskip(NEXT) | instid1(VALU_DEP_2)
	v_add_co_ci_u32_e64 v2, s7, s19, v2, s7
	v_add_co_u32 v1, s7, v1, v24
	s_delay_alu instid0(VALU_DEP_1)
	v_add_co_ci_u32_e64 v2, s7, 0, v2, s7
	global_store_b16 v[1:2], v3, off
.LBB191_39:
	s_or_b32 exec_lo, exec_lo, s8
	v_or_b32_e32 v17, 0x400, v5
	s_delay_alu instid0(VALU_DEP_1) | instskip(NEXT) | instid1(VALU_DEP_1)
	v_cmp_gt_u32_e64 s7, s34, v17
	s_and_saveexec_b32 s9, s7
	s_cbranch_execz .LBB191_41
; %bb.40:
	ds_load_u16 v3, v24 offset:4096
	s_waitcnt lgkmcnt(0)
	v_cmp_ne_u16_e64 s8, 0x8000, v3
	s_delay_alu instid0(VALU_DEP_1) | instskip(SKIP_1) | instid1(VALU_DEP_2)
	v_cndmask_b32_e64 v1, 0x7fff, v3, s8
	v_cmp_gt_i16_e64 s8, 0, v3
	v_and_b32_e32 v1, 0xffff, v1
	s_delay_alu instid0(VALU_DEP_2) | instskip(NEXT) | instid1(VALU_DEP_2)
	v_cndmask_b32_e64 v4, 0x7fff, 0, s8
	v_lshrrev_b32_e32 v1, s28, v1
	s_delay_alu instid0(VALU_DEP_2) | instskip(NEXT) | instid1(VALU_DEP_2)
	v_xor_b32_e32 v3, v4, v3
	v_and_b32_e32 v1, s33, v1
	s_delay_alu instid0(VALU_DEP_1) | instskip(SKIP_3) | instid1(VALU_DEP_1)
	v_lshlrev_b32_e32 v1, 3, v1
	ds_load_b64 v[1:2], v1
	s_waitcnt lgkmcnt(0)
	v_lshlrev_b64 v[1:2], 1, v[1:2]
	v_add_co_u32 v1, s8, s18, v1
	s_delay_alu instid0(VALU_DEP_1) | instskip(NEXT) | instid1(VALU_DEP_2)
	v_add_co_ci_u32_e64 v2, s8, s19, v2, s8
	v_add_co_u32 v1, s8, v1, v24
	s_delay_alu instid0(VALU_DEP_1)
	v_add_co_ci_u32_e64 v2, s8, 0, v2, s8
	global_store_b16 v[1:2], v3, off offset:2048
.LBB191_41:
	s_or_b32 exec_lo, exec_lo, s9
	v_or_b32_e32 v20, 0x800, v5
	s_delay_alu instid0(VALU_DEP_1) | instskip(NEXT) | instid1(VALU_DEP_1)
	v_cmp_gt_u32_e64 s8, s34, v20
	s_and_saveexec_b32 s10, s8
	s_cbranch_execz .LBB191_43
; %bb.42:
	ds_load_u16 v3, v24 offset:6144
	v_lshlrev_b32_e32 v4, 1, v20
	s_waitcnt lgkmcnt(0)
	v_cmp_ne_u16_e64 s9, 0x8000, v3
	s_delay_alu instid0(VALU_DEP_1) | instskip(SKIP_1) | instid1(VALU_DEP_2)
	v_cndmask_b32_e64 v1, 0x7fff, v3, s9
	v_cmp_gt_i16_e64 s9, 0, v3
	v_and_b32_e32 v1, 0xffff, v1
	s_delay_alu instid0(VALU_DEP_2) | instskip(NEXT) | instid1(VALU_DEP_2)
	v_cndmask_b32_e64 v6, 0x7fff, 0, s9
	v_lshrrev_b32_e32 v1, s28, v1
	s_delay_alu instid0(VALU_DEP_2) | instskip(NEXT) | instid1(VALU_DEP_2)
	v_xor_b32_e32 v3, v6, v3
	v_and_b32_e32 v1, s33, v1
	s_delay_alu instid0(VALU_DEP_1) | instskip(SKIP_3) | instid1(VALU_DEP_1)
	v_lshlrev_b32_e32 v1, 3, v1
	ds_load_b64 v[1:2], v1
	s_waitcnt lgkmcnt(0)
	v_lshlrev_b64 v[1:2], 1, v[1:2]
	v_add_co_u32 v1, s9, s18, v1
	s_delay_alu instid0(VALU_DEP_1) | instskip(NEXT) | instid1(VALU_DEP_2)
	v_add_co_ci_u32_e64 v2, s9, s19, v2, s9
	v_add_co_u32 v1, s9, v1, v4
	s_delay_alu instid0(VALU_DEP_1)
	v_add_co_ci_u32_e64 v2, s9, 0, v2, s9
	global_store_b16 v[1:2], v3, off
.LBB191_43:
	s_or_b32 exec_lo, exec_lo, s10
	v_or_b32_e32 v23, 0xc00, v5
	s_delay_alu instid0(VALU_DEP_1) | instskip(NEXT) | instid1(VALU_DEP_1)
	v_cmp_gt_u32_e64 s9, s34, v23
	s_and_saveexec_b32 s11, s9
	s_cbranch_execz .LBB191_45
; %bb.44:
	ds_load_u16 v3, v24 offset:8192
	v_lshlrev_b32_e32 v4, 1, v23
	s_waitcnt lgkmcnt(0)
	v_cmp_ne_u16_e64 s10, 0x8000, v3
	s_delay_alu instid0(VALU_DEP_1) | instskip(SKIP_1) | instid1(VALU_DEP_2)
	v_cndmask_b32_e64 v1, 0x7fff, v3, s10
	v_cmp_gt_i16_e64 s10, 0, v3
	v_and_b32_e32 v1, 0xffff, v1
	s_delay_alu instid0(VALU_DEP_2) | instskip(NEXT) | instid1(VALU_DEP_2)
	v_cndmask_b32_e64 v6, 0x7fff, 0, s10
	v_lshrrev_b32_e32 v1, s28, v1
	s_delay_alu instid0(VALU_DEP_2) | instskip(NEXT) | instid1(VALU_DEP_2)
	v_xor_b32_e32 v3, v6, v3
	v_and_b32_e32 v1, s33, v1
	s_delay_alu instid0(VALU_DEP_1) | instskip(SKIP_3) | instid1(VALU_DEP_1)
	v_lshlrev_b32_e32 v1, 3, v1
	ds_load_b64 v[1:2], v1
	s_waitcnt lgkmcnt(0)
	v_lshlrev_b64 v[1:2], 1, v[1:2]
	v_add_co_u32 v1, s10, s18, v1
	s_delay_alu instid0(VALU_DEP_1) | instskip(NEXT) | instid1(VALU_DEP_2)
	v_add_co_ci_u32_e64 v2, s10, s19, v2, s10
	v_add_co_u32 v1, s10, v1, v4
	s_delay_alu instid0(VALU_DEP_1)
	v_add_co_ci_u32_e64 v2, s10, 0, v2, s10
	global_store_b16 v[1:2], v3, off
.LBB191_45:
	s_or_b32 exec_lo, exec_lo, s11
	v_lshlrev_b32_e32 v1, 3, v14
	s_lshl_b64 s[10:11], s[30:31], 3
	v_lshlrev_b32_e32 v2, 3, v10
	s_add_u32 s10, s20, s10
	s_addc_u32 s11, s21, s11
	v_add_co_u32 v1, s10, s10, v1
	s_delay_alu instid0(VALU_DEP_1) | instskip(NEXT) | instid1(VALU_DEP_2)
	v_add_co_ci_u32_e64 v3, null, s11, 0, s10
                                        ; implicit-def: $vgpr6_vgpr7
	v_add_co_u32 v1, s10, v1, v2
	s_delay_alu instid0(VALU_DEP_1) | instskip(SKIP_1) | instid1(SALU_CYCLE_1)
	v_add_co_ci_u32_e64 v2, s10, 0, v3, s10
	s_and_saveexec_b32 s10, vcc_lo
	s_xor_b32 s10, exec_lo, s10
	s_cbranch_execnz .LBB191_99
; %bb.46:
	s_or_b32 exec_lo, exec_lo, s10
                                        ; implicit-def: $vgpr8_vgpr9
	s_and_saveexec_b32 s10, s2
	s_cbranch_execnz .LBB191_100
.LBB191_47:
	s_or_b32 exec_lo, exec_lo, s10
                                        ; implicit-def: $vgpr10_vgpr11
	s_and_saveexec_b32 s2, s3
	s_cbranch_execnz .LBB191_101
.LBB191_48:
	s_or_b32 exec_lo, exec_lo, s2
                                        ; implicit-def: $vgpr12_vgpr13
	s_and_saveexec_b32 s2, s4
	s_cbranch_execnz .LBB191_102
.LBB191_49:
	s_or_b32 exec_lo, exec_lo, s2
                                        ; implicit-def: $vgpr1_vgpr2_vgpr3_vgpr4
	s_and_saveexec_b32 s2, s6
	s_cbranch_execnz .LBB191_103
.LBB191_50:
	s_or_b32 exec_lo, exec_lo, s2
	s_and_saveexec_b32 s2, s7
	s_cbranch_execnz .LBB191_104
.LBB191_51:
	s_or_b32 exec_lo, exec_lo, s2
	s_and_saveexec_b32 s2, s8
	s_cbranch_execnz .LBB191_105
.LBB191_52:
	s_or_b32 exec_lo, exec_lo, s2
	s_and_saveexec_b32 s2, s9
	s_cbranch_execz .LBB191_54
.LBB191_53:
	ds_load_u16 v4, v24 offset:8192
	s_waitcnt lgkmcnt(0)
	v_cmp_ne_u16_e32 vcc_lo, 0x8000, v4
	v_cndmask_b32_e32 v4, 0x7fff, v4, vcc_lo
	s_delay_alu instid0(VALU_DEP_1) | instskip(NEXT) | instid1(VALU_DEP_1)
	v_and_b32_e32 v4, 0xffff, v4
	v_lshrrev_b32_e32 v4, s28, v4
	s_delay_alu instid0(VALU_DEP_1)
	v_and_b32_e32 v4, s33, v4
.LBB191_54:
	s_or_b32 exec_lo, exec_lo, s2
	v_lshlrev_b32_e32 v22, 3, v22
	v_lshlrev_b32_e32 v21, 3, v21
	;; [unrolled: 1-line block ×3, first 2 shown]
	s_waitcnt vmcnt(0)
	s_waitcnt_vscnt null, 0x0
	s_barrier
	buffer_gl0_inv
	v_lshlrev_b32_e32 v18, 3, v18
	ds_store_b64 v22, v[6:7] offset:2048
	ds_store_b64 v21, v[8:9] offset:2048
	;; [unrolled: 1-line block ×3, first 2 shown]
	v_lshlrev_b32_e32 v6, 3, v5
	ds_store_b64 v18, v[12:13] offset:2048
	s_waitcnt lgkmcnt(0)
	s_barrier
	buffer_gl0_inv
	s_and_saveexec_b32 s2, s6
	s_cbranch_execnz .LBB191_106
; %bb.55:
	s_or_b32 exec_lo, exec_lo, s2
	s_and_saveexec_b32 s2, s7
	s_cbranch_execnz .LBB191_107
.LBB191_56:
	s_or_b32 exec_lo, exec_lo, s2
	s_and_saveexec_b32 s2, s8
	s_cbranch_execnz .LBB191_108
.LBB191_57:
	s_or_b32 exec_lo, exec_lo, s2
	s_and_saveexec_b32 s2, s9
	s_cbranch_execz .LBB191_59
.LBB191_58:
	v_lshlrev_b32_e32 v1, 3, v4
	ds_load_b64 v[1:2], v1
	ds_load_b64 v[3:4], v6 offset:26624
	v_lshlrev_b32_e32 v6, 3, v23
	s_waitcnt lgkmcnt(1)
	v_lshlrev_b64 v[1:2], 3, v[1:2]
	s_delay_alu instid0(VALU_DEP_1) | instskip(NEXT) | instid1(VALU_DEP_2)
	v_add_co_u32 v1, vcc_lo, s22, v1
	v_add_co_ci_u32_e32 v2, vcc_lo, s23, v2, vcc_lo
	s_delay_alu instid0(VALU_DEP_2) | instskip(NEXT) | instid1(VALU_DEP_2)
	v_add_co_u32 v1, vcc_lo, v1, v6
	v_add_co_ci_u32_e32 v2, vcc_lo, 0, v2, vcc_lo
	s_waitcnt lgkmcnt(0)
	global_store_b64 v[1:2], v[3:4], off
.LBB191_59:
	s_or_b32 exec_lo, exec_lo, s2
	s_add_i32 s14, s14, -1
	s_mov_b32 s2, 0
	s_cmp_eq_u32 s15, s14
	s_mov_b32 s8, 0
	s_cselect_b32 s3, -1, 0
                                        ; implicit-def: $vgpr2_vgpr3
	s_delay_alu instid0(SALU_CYCLE_1) | instskip(NEXT) | instid1(SALU_CYCLE_1)
	s_and_b32 s3, s5, s3
	s_and_saveexec_b32 s4, s3
	s_delay_alu instid0(SALU_CYCLE_1)
	s_xor_b32 s3, exec_lo, s4
; %bb.60:
	v_add_co_u32 v2, s4, v15, v16
	v_mov_b32_e32 v6, 0
	v_add_co_ci_u32_e64 v3, null, 0, 0, s4
	s_mov_b32 s8, exec_lo
; %bb.61:
	s_or_b32 exec_lo, exec_lo, s3
	s_delay_alu instid0(SALU_CYCLE_1)
	s_and_b32 vcc_lo, exec_lo, s2
	s_cbranch_vccnz .LBB191_63
	s_branch .LBB191_96
.LBB191_62:
	s_mov_b32 s8, 0
                                        ; implicit-def: $vgpr2_vgpr3
	s_cbranch_execz .LBB191_96
.LBB191_63:
	v_lshlrev_b32_e32 v11, 2, v5
	s_lshl_b32 s6, s15, 12
	s_mov_b32 s7, 0
	v_lshlrev_b32_e32 v1, 1, v14
	s_lshl_b64 s[2:3], s[6:7], 1
	v_dual_mov_b32 v9, 0 :: v_dual_and_b32 v4, 0xf80, v11
	s_add_u32 s2, s16, s2
	s_addc_u32 s3, s17, s3
	v_add_co_u32 v1, s2, s2, v1
	s_delay_alu instid0(VALU_DEP_2) | instskip(SKIP_1) | instid1(VALU_DEP_2)
	v_lshlrev_b32_e32 v2, 1, v4
	v_add_co_ci_u32_e64 v3, null, s3, 0, s2
	v_add_co_u32 v6, vcc_lo, v1, v2
	s_delay_alu instid0(VALU_DEP_2)
	v_add_co_ci_u32_e32 v7, vcc_lo, 0, v3, vcc_lo
	global_load_u16 v8, v[6:7], off
	s_clause 0x1
	s_load_b32 s2, s[0:1], 0x5c
	s_load_b32 s9, s[0:1], 0x50
	s_add_u32 s0, s0, 0x50
	s_addc_u32 s1, s1, 0
	s_waitcnt lgkmcnt(0)
	s_lshr_b32 s2, s2, 16
	s_cmp_lt_u32 s15, s9
	s_cselect_b32 s3, 12, 18
	s_delay_alu instid0(SALU_CYCLE_1)
	s_add_u32 s0, s0, s3
	s_addc_u32 s1, s1, 0
	global_load_u16 v12, v9, s[0:1]
	s_clause 0x2
	global_load_u16 v3, v[6:7], off offset:64
	global_load_u16 v2, v[6:7], off offset:128
	;; [unrolled: 1-line block ×3, first 2 shown]
	s_lshl_b32 s0, -1, s29
	s_delay_alu instid0(SALU_CYCLE_1) | instskip(SKIP_3) | instid1(VALU_DEP_1)
	s_not_b32 s10, s0
	s_waitcnt vmcnt(4)
	v_cmp_gt_i16_e32 vcc_lo, 0, v8
	v_cndmask_b32_e64 v6, 0x7fff, 0, vcc_lo
	v_xor_b32_e32 v10, v6, v8
	s_delay_alu instid0(VALU_DEP_1) | instskip(SKIP_1) | instid1(VALU_DEP_1)
	v_cmp_ne_u16_e32 vcc_lo, 0x8000, v10
	v_cndmask_b32_e32 v6, 0x7fff, v10, vcc_lo
	v_and_b32_e32 v6, 0xffff, v6
	s_delay_alu instid0(VALU_DEP_1) | instskip(NEXT) | instid1(VALU_DEP_1)
	v_lshrrev_b32_e32 v6, s28, v6
	v_and_b32_e32 v13, s10, v6
	v_bfe_u32 v6, v0, 10, 10
	v_bfe_u32 v0, v0, 20, 10
	s_delay_alu instid0(VALU_DEP_3)
	v_and_b32_e32 v7, 1, v13
	v_lshlrev_b32_e32 v8, 30, v13
	v_lshlrev_b32_e32 v15, 29, v13
	;; [unrolled: 1-line block ×4, first 2 shown]
	v_add_co_u32 v7, s0, v7, -1
	s_delay_alu instid0(VALU_DEP_1)
	v_cndmask_b32_e64 v17, 0, 1, s0
	v_not_b32_e32 v21, v8
	v_cmp_gt_i32_e64 s0, 0, v8
	v_not_b32_e32 v8, v15
	v_lshlrev_b32_e32 v19, 26, v13
	v_cmp_ne_u32_e32 vcc_lo, 0, v17
	v_ashrrev_i32_e32 v21, 31, v21
	v_lshlrev_b32_e32 v20, 25, v13
	v_ashrrev_i32_e32 v8, 31, v8
	v_lshlrev_b32_e32 v17, 24, v13
	v_xor_b32_e32 v7, vcc_lo, v7
	v_cmp_gt_i32_e32 vcc_lo, 0, v15
	v_not_b32_e32 v15, v16
	v_xor_b32_e32 v21, s0, v21
	v_cmp_gt_i32_e64 s0, 0, v16
	v_and_b32_e32 v7, exec_lo, v7
	v_not_b32_e32 v16, v18
	v_ashrrev_i32_e32 v15, 31, v15
	v_xor_b32_e32 v8, vcc_lo, v8
	v_cmp_gt_i32_e32 vcc_lo, 0, v18
	v_and_b32_e32 v7, v7, v21
	v_not_b32_e32 v18, v19
	v_ashrrev_i32_e32 v16, 31, v16
	v_xor_b32_e32 v15, s0, v15
	v_cmp_gt_i32_e64 s0, 0, v19
	v_and_b32_e32 v7, v7, v8
	v_not_b32_e32 v8, v20
	v_ashrrev_i32_e32 v18, 31, v18
	v_xor_b32_e32 v16, vcc_lo, v16
	v_cmp_gt_i32_e32 vcc_lo, 0, v20
	v_and_b32_e32 v7, v7, v15
	v_not_b32_e32 v15, v17
	v_ashrrev_i32_e32 v8, 31, v8
	v_xor_b32_e32 v18, s0, v18
	v_cmp_gt_i32_e64 s0, 0, v17
	v_and_b32_e32 v7, v7, v16
	v_ashrrev_i32_e32 v15, 31, v15
	v_xor_b32_e32 v8, vcc_lo, v8
	v_mad_u32_u24 v0, v0, s2, v6
	v_mul_u32_u24_e32 v16, 9, v5
	v_and_b32_e32 v7, v7, v18
	v_xor_b32_e32 v6, s0, v15
	s_delay_alu instid0(VALU_DEP_3) | instskip(NEXT) | instid1(VALU_DEP_3)
	v_lshlrev_b32_e32 v15, 2, v16
	v_and_b32_e32 v17, v7, v8
	s_waitcnt vmcnt(3)
	s_delay_alu instid0(VALU_DEP_3)
	v_mad_u64_u32 v[7:8], null, v0, v12, v[5:6]
	ds_store_2addr_b32 v15, v9, v9 offset0:32 offset1:33
	ds_store_2addr_b32 v15, v9, v9 offset0:34 offset1:35
	;; [unrolled: 1-line block ×4, first 2 shown]
	v_and_b32_e32 v6, v17, v6
	ds_store_b32 v15, v9 offset:160
	s_waitcnt vmcnt(0) lgkmcnt(0)
	s_waitcnt_vscnt null, 0x0
	s_barrier
	v_lshrrev_b32_e32 v0, 5, v7
	v_mbcnt_lo_u32_b32 v12, v6, 0
	v_mul_u32_u24_e32 v7, 33, v13
	v_cmp_ne_u32_e64 s0, 0, v6
	buffer_gl0_inv
	v_cmp_eq_u32_e32 vcc_lo, 0, v12
	v_add_lshl_u32 v16, v0, v7, 2
	; wave barrier
	s_and_b32 s1, s0, vcc_lo
	s_delay_alu instid0(SALU_CYCLE_1)
	s_and_saveexec_b32 s0, s1
	s_cbranch_execz .LBB191_65
; %bb.64:
	v_bcnt_u32_b32 v6, v6, 0
	ds_store_b32 v16, v6 offset:128
.LBB191_65:
	s_or_b32 exec_lo, exec_lo, s0
	v_cmp_gt_i16_e32 vcc_lo, 0, v3
	; wave barrier
	v_cndmask_b32_e64 v6, 0x7fff, 0, vcc_lo
	s_delay_alu instid0(VALU_DEP_1) | instskip(NEXT) | instid1(VALU_DEP_1)
	v_xor_b32_e32 v13, v6, v3
	v_cmp_ne_u16_e32 vcc_lo, 0x8000, v13
	v_cndmask_b32_e32 v3, 0x7fff, v13, vcc_lo
	s_delay_alu instid0(VALU_DEP_1) | instskip(NEXT) | instid1(VALU_DEP_1)
	v_and_b32_e32 v3, 0xffff, v3
	v_lshrrev_b32_e32 v3, s28, v3
	s_delay_alu instid0(VALU_DEP_1) | instskip(NEXT) | instid1(VALU_DEP_1)
	v_and_b32_e32 v3, s10, v3
	v_and_b32_e32 v6, 1, v3
	v_lshlrev_b32_e32 v7, 30, v3
	v_lshlrev_b32_e32 v8, 29, v3
	;; [unrolled: 1-line block ×4, first 2 shown]
	v_add_co_u32 v6, s0, v6, -1
	s_delay_alu instid0(VALU_DEP_1)
	v_cndmask_b32_e64 v17, 0, 1, s0
	v_not_b32_e32 v21, v7
	v_cmp_gt_i32_e64 s0, 0, v7
	v_not_b32_e32 v7, v8
	v_lshlrev_b32_e32 v19, 26, v3
	v_cmp_ne_u32_e32 vcc_lo, 0, v17
	v_ashrrev_i32_e32 v21, 31, v21
	v_lshlrev_b32_e32 v20, 25, v3
	v_ashrrev_i32_e32 v7, 31, v7
	v_lshlrev_b32_e32 v17, 24, v3
	v_xor_b32_e32 v6, vcc_lo, v6
	v_cmp_gt_i32_e32 vcc_lo, 0, v8
	v_not_b32_e32 v8, v9
	v_xor_b32_e32 v21, s0, v21
	v_cmp_gt_i32_e64 s0, 0, v9
	v_and_b32_e32 v6, exec_lo, v6
	v_not_b32_e32 v9, v18
	v_ashrrev_i32_e32 v8, 31, v8
	v_xor_b32_e32 v7, vcc_lo, v7
	v_cmp_gt_i32_e32 vcc_lo, 0, v18
	v_and_b32_e32 v6, v6, v21
	v_not_b32_e32 v18, v19
	v_ashrrev_i32_e32 v9, 31, v9
	v_xor_b32_e32 v8, s0, v8
	v_cmp_gt_i32_e64 s0, 0, v19
	v_and_b32_e32 v6, v6, v7
	v_not_b32_e32 v7, v20
	v_ashrrev_i32_e32 v18, 31, v18
	v_xor_b32_e32 v9, vcc_lo, v9
	v_cmp_gt_i32_e32 vcc_lo, 0, v20
	v_and_b32_e32 v6, v6, v8
	v_not_b32_e32 v8, v17
	v_ashrrev_i32_e32 v7, 31, v7
	v_xor_b32_e32 v18, s0, v18
	v_mul_u32_u24_e32 v3, 33, v3
	v_and_b32_e32 v6, v6, v9
	v_cmp_gt_i32_e64 s0, 0, v17
	v_ashrrev_i32_e32 v8, 31, v8
	v_xor_b32_e32 v7, vcc_lo, v7
	v_add_lshl_u32 v20, v0, v3, 2
	v_and_b32_e32 v6, v6, v18
	s_delay_alu instid0(VALU_DEP_4) | instskip(SKIP_2) | instid1(VALU_DEP_1)
	v_xor_b32_e32 v3, s0, v8
	ds_load_b32 v17, v20 offset:128
	v_and_b32_e32 v6, v6, v7
	; wave barrier
	v_and_b32_e32 v3, v6, v3
	s_delay_alu instid0(VALU_DEP_1) | instskip(SKIP_1) | instid1(VALU_DEP_2)
	v_mbcnt_lo_u32_b32 v18, v3, 0
	v_cmp_ne_u32_e64 s0, 0, v3
	v_cmp_eq_u32_e32 vcc_lo, 0, v18
	s_delay_alu instid0(VALU_DEP_2) | instskip(NEXT) | instid1(SALU_CYCLE_1)
	s_and_b32 s1, s0, vcc_lo
	s_and_saveexec_b32 s0, s1
	s_cbranch_execz .LBB191_67
; %bb.66:
	s_waitcnt lgkmcnt(0)
	v_bcnt_u32_b32 v3, v3, v17
	ds_store_b32 v20, v3 offset:128
.LBB191_67:
	s_or_b32 exec_lo, exec_lo, s0
	v_cmp_gt_i16_e32 vcc_lo, 0, v2
	; wave barrier
	v_cndmask_b32_e64 v3, 0x7fff, 0, vcc_lo
	s_delay_alu instid0(VALU_DEP_1) | instskip(NEXT) | instid1(VALU_DEP_1)
	v_xor_b32_e32 v19, v3, v2
	v_cmp_ne_u16_e32 vcc_lo, 0x8000, v19
	v_cndmask_b32_e32 v2, 0x7fff, v19, vcc_lo
	s_delay_alu instid0(VALU_DEP_1) | instskip(NEXT) | instid1(VALU_DEP_1)
	v_and_b32_e32 v2, 0xffff, v2
	v_lshrrev_b32_e32 v2, s28, v2
	s_delay_alu instid0(VALU_DEP_1) | instskip(NEXT) | instid1(VALU_DEP_1)
	v_and_b32_e32 v2, s10, v2
	v_and_b32_e32 v3, 1, v2
	v_lshlrev_b32_e32 v6, 30, v2
	v_lshlrev_b32_e32 v7, 29, v2
	;; [unrolled: 1-line block ×4, first 2 shown]
	v_add_co_u32 v3, s0, v3, -1
	s_delay_alu instid0(VALU_DEP_1)
	v_cndmask_b32_e64 v9, 0, 1, s0
	v_not_b32_e32 v24, v6
	v_cmp_gt_i32_e64 s0, 0, v6
	v_not_b32_e32 v6, v7
	v_lshlrev_b32_e32 v22, 26, v2
	v_cmp_ne_u32_e32 vcc_lo, 0, v9
	v_ashrrev_i32_e32 v24, 31, v24
	v_lshlrev_b32_e32 v23, 25, v2
	v_ashrrev_i32_e32 v6, 31, v6
	v_lshlrev_b32_e32 v9, 24, v2
	v_xor_b32_e32 v3, vcc_lo, v3
	v_cmp_gt_i32_e32 vcc_lo, 0, v7
	v_not_b32_e32 v7, v8
	v_xor_b32_e32 v24, s0, v24
	v_cmp_gt_i32_e64 s0, 0, v8
	v_and_b32_e32 v3, exec_lo, v3
	v_not_b32_e32 v8, v21
	v_ashrrev_i32_e32 v7, 31, v7
	v_xor_b32_e32 v6, vcc_lo, v6
	v_cmp_gt_i32_e32 vcc_lo, 0, v21
	v_and_b32_e32 v3, v3, v24
	v_not_b32_e32 v21, v22
	v_ashrrev_i32_e32 v8, 31, v8
	v_xor_b32_e32 v7, s0, v7
	v_cmp_gt_i32_e64 s0, 0, v22
	v_and_b32_e32 v3, v3, v6
	v_not_b32_e32 v6, v23
	v_ashrrev_i32_e32 v21, 31, v21
	v_xor_b32_e32 v8, vcc_lo, v8
	v_cmp_gt_i32_e32 vcc_lo, 0, v23
	v_and_b32_e32 v3, v3, v7
	v_not_b32_e32 v7, v9
	v_ashrrev_i32_e32 v6, 31, v6
	v_xor_b32_e32 v21, s0, v21
	v_mul_u32_u24_e32 v2, 33, v2
	v_and_b32_e32 v3, v3, v8
	v_cmp_gt_i32_e64 s0, 0, v9
	v_ashrrev_i32_e32 v7, 31, v7
	v_xor_b32_e32 v6, vcc_lo, v6
	v_add_lshl_u32 v24, v2, v0, 2
	v_and_b32_e32 v3, v3, v21
	s_delay_alu instid0(VALU_DEP_4) | instskip(SKIP_2) | instid1(VALU_DEP_1)
	v_xor_b32_e32 v2, s0, v7
	ds_load_b32 v21, v24 offset:128
	v_and_b32_e32 v3, v3, v6
	; wave barrier
	v_and_b32_e32 v2, v3, v2
	s_delay_alu instid0(VALU_DEP_1) | instskip(SKIP_1) | instid1(VALU_DEP_2)
	v_mbcnt_lo_u32_b32 v22, v2, 0
	v_cmp_ne_u32_e64 s0, 0, v2
	v_cmp_eq_u32_e32 vcc_lo, 0, v22
	s_delay_alu instid0(VALU_DEP_2) | instskip(NEXT) | instid1(SALU_CYCLE_1)
	s_and_b32 s1, s0, vcc_lo
	s_and_saveexec_b32 s0, s1
	s_cbranch_execz .LBB191_69
; %bb.68:
	s_waitcnt lgkmcnt(0)
	v_bcnt_u32_b32 v2, v2, v21
	ds_store_b32 v24, v2 offset:128
.LBB191_69:
	s_or_b32 exec_lo, exec_lo, s0
	v_cmp_gt_i16_e32 vcc_lo, 0, v1
	; wave barrier
	v_add_nc_u32_e32 v28, 0x80, v15
	v_cndmask_b32_e64 v2, 0x7fff, 0, vcc_lo
	s_delay_alu instid0(VALU_DEP_1) | instskip(NEXT) | instid1(VALU_DEP_1)
	v_xor_b32_e32 v23, v2, v1
	v_cmp_ne_u16_e32 vcc_lo, 0x8000, v23
	v_cndmask_b32_e32 v1, 0x7fff, v23, vcc_lo
	s_delay_alu instid0(VALU_DEP_1) | instskip(NEXT) | instid1(VALU_DEP_1)
	v_and_b32_e32 v1, 0xffff, v1
	v_lshrrev_b32_e32 v1, s28, v1
	s_delay_alu instid0(VALU_DEP_1) | instskip(NEXT) | instid1(VALU_DEP_1)
	v_and_b32_e32 v1, s10, v1
	v_and_b32_e32 v2, 1, v1
	v_lshlrev_b32_e32 v3, 30, v1
	v_lshlrev_b32_e32 v6, 29, v1
	;; [unrolled: 1-line block ×4, first 2 shown]
	v_add_co_u32 v2, s0, v2, -1
	s_delay_alu instid0(VALU_DEP_1)
	v_cndmask_b32_e64 v8, 0, 1, s0
	v_not_b32_e32 v27, v3
	v_cmp_gt_i32_e64 s0, 0, v3
	v_not_b32_e32 v3, v6
	v_lshlrev_b32_e32 v25, 26, v1
	v_cmp_ne_u32_e32 vcc_lo, 0, v8
	v_ashrrev_i32_e32 v27, 31, v27
	v_lshlrev_b32_e32 v26, 25, v1
	v_ashrrev_i32_e32 v3, 31, v3
	v_lshlrev_b32_e32 v8, 24, v1
	v_xor_b32_e32 v2, vcc_lo, v2
	v_cmp_gt_i32_e32 vcc_lo, 0, v6
	v_not_b32_e32 v6, v7
	v_xor_b32_e32 v27, s0, v27
	v_cmp_gt_i32_e64 s0, 0, v7
	v_and_b32_e32 v2, exec_lo, v2
	v_not_b32_e32 v7, v9
	v_ashrrev_i32_e32 v6, 31, v6
	v_xor_b32_e32 v3, vcc_lo, v3
	v_cmp_gt_i32_e32 vcc_lo, 0, v9
	v_and_b32_e32 v2, v2, v27
	v_not_b32_e32 v9, v25
	v_ashrrev_i32_e32 v7, 31, v7
	v_xor_b32_e32 v6, s0, v6
	v_cmp_gt_i32_e64 s0, 0, v25
	v_and_b32_e32 v2, v2, v3
	v_not_b32_e32 v3, v26
	v_ashrrev_i32_e32 v9, 31, v9
	v_xor_b32_e32 v7, vcc_lo, v7
	v_cmp_gt_i32_e32 vcc_lo, 0, v26
	v_and_b32_e32 v2, v2, v6
	v_not_b32_e32 v6, v8
	v_ashrrev_i32_e32 v3, 31, v3
	v_xor_b32_e32 v9, s0, v9
	v_mul_u32_u24_e32 v1, 33, v1
	v_and_b32_e32 v2, v2, v7
	v_cmp_gt_i32_e64 s0, 0, v8
	v_ashrrev_i32_e32 v6, 31, v6
	v_xor_b32_e32 v3, vcc_lo, v3
	v_add_lshl_u32 v27, v1, v0, 2
	v_and_b32_e32 v2, v2, v9
	s_delay_alu instid0(VALU_DEP_4) | instskip(SKIP_2) | instid1(VALU_DEP_1)
	v_xor_b32_e32 v0, s0, v6
	ds_load_b32 v25, v27 offset:128
	v_and_b32_e32 v1, v2, v3
	; wave barrier
	v_and_b32_e32 v0, v1, v0
	s_delay_alu instid0(VALU_DEP_1) | instskip(SKIP_1) | instid1(VALU_DEP_2)
	v_mbcnt_lo_u32_b32 v26, v0, 0
	v_cmp_ne_u32_e64 s0, 0, v0
	v_cmp_eq_u32_e32 vcc_lo, 0, v26
	s_delay_alu instid0(VALU_DEP_2) | instskip(NEXT) | instid1(SALU_CYCLE_1)
	s_and_b32 s1, s0, vcc_lo
	s_and_saveexec_b32 s0, s1
	s_cbranch_execz .LBB191_71
; %bb.70:
	s_waitcnt lgkmcnt(0)
	v_bcnt_u32_b32 v0, v0, v25
	ds_store_b32 v27, v0 offset:128
.LBB191_71:
	s_or_b32 exec_lo, exec_lo, s0
	; wave barrier
	s_waitcnt lgkmcnt(0)
	s_barrier
	buffer_gl0_inv
	ds_load_2addr_b32 v[8:9], v15 offset0:32 offset1:33
	ds_load_2addr_b32 v[6:7], v28 offset0:2 offset1:3
	;; [unrolled: 1-line block ×4, first 2 shown]
	ds_load_b32 v29, v28 offset:32
	v_and_b32_e32 v32, 16, v14
	v_and_b32_e32 v33, 31, v5
	s_mov_b32 s5, exec_lo
	s_delay_alu instid0(VALU_DEP_2) | instskip(SKIP_3) | instid1(VALU_DEP_1)
	v_cmp_eq_u32_e64 s3, 0, v32
	s_waitcnt lgkmcnt(3)
	v_add3_u32 v30, v9, v8, v6
	s_waitcnt lgkmcnt(2)
	v_add3_u32 v30, v30, v7, v2
	s_waitcnt lgkmcnt(1)
	s_delay_alu instid0(VALU_DEP_1) | instskip(SKIP_1) | instid1(VALU_DEP_1)
	v_add3_u32 v30, v30, v3, v0
	s_waitcnt lgkmcnt(0)
	v_add3_u32 v29, v30, v1, v29
	v_and_b32_e32 v30, 15, v14
	s_delay_alu instid0(VALU_DEP_2) | instskip(NEXT) | instid1(VALU_DEP_2)
	v_mov_b32_dpp v31, v29 row_shr:1 row_mask:0xf bank_mask:0xf
	v_cmp_eq_u32_e32 vcc_lo, 0, v30
	v_cmp_lt_u32_e64 s0, 1, v30
	v_cmp_lt_u32_e64 s1, 3, v30
	;; [unrolled: 1-line block ×3, first 2 shown]
	v_cndmask_b32_e64 v31, v31, 0, vcc_lo
	s_delay_alu instid0(VALU_DEP_1) | instskip(NEXT) | instid1(VALU_DEP_1)
	v_add_nc_u32_e32 v29, v31, v29
	v_mov_b32_dpp v31, v29 row_shr:2 row_mask:0xf bank_mask:0xf
	s_delay_alu instid0(VALU_DEP_1) | instskip(NEXT) | instid1(VALU_DEP_1)
	v_cndmask_b32_e64 v31, 0, v31, s0
	v_add_nc_u32_e32 v29, v29, v31
	s_delay_alu instid0(VALU_DEP_1) | instskip(NEXT) | instid1(VALU_DEP_1)
	v_mov_b32_dpp v31, v29 row_shr:4 row_mask:0xf bank_mask:0xf
	v_cndmask_b32_e64 v31, 0, v31, s1
	s_delay_alu instid0(VALU_DEP_1) | instskip(NEXT) | instid1(VALU_DEP_1)
	v_add_nc_u32_e32 v29, v29, v31
	v_mov_b32_dpp v31, v29 row_shr:8 row_mask:0xf bank_mask:0xf
	s_delay_alu instid0(VALU_DEP_1) | instskip(SKIP_1) | instid1(VALU_DEP_2)
	v_cndmask_b32_e64 v30, 0, v31, s2
	v_bfe_i32 v31, v14, 4, 1
	v_add_nc_u32_e32 v29, v29, v30
	ds_swizzle_b32 v30, v29 offset:swizzle(BROADCAST,32,15)
	s_waitcnt lgkmcnt(0)
	v_and_b32_e32 v31, v31, v30
	v_lshrrev_b32_e32 v30, 5, v5
	s_delay_alu instid0(VALU_DEP_2)
	v_add_nc_u32_e32 v29, v29, v31
	v_cmpx_eq_u32_e32 31, v33
	s_cbranch_execz .LBB191_73
; %bb.72:
	s_delay_alu instid0(VALU_DEP_3)
	v_lshlrev_b32_e32 v31, 2, v30
	ds_store_b32 v31, v29
.LBB191_73:
	s_or_b32 exec_lo, exec_lo, s5
	v_cmp_lt_u32_e64 s4, 31, v5
	s_mov_b32 s11, exec_lo
	s_waitcnt lgkmcnt(0)
	s_barrier
	buffer_gl0_inv
	v_cmpx_gt_u32_e32 32, v5
	s_cbranch_execz .LBB191_75
; %bb.74:
	ds_load_b32 v31, v11
	s_waitcnt lgkmcnt(0)
	v_mov_b32_dpp v32, v31 row_shr:1 row_mask:0xf bank_mask:0xf
	s_delay_alu instid0(VALU_DEP_1) | instskip(NEXT) | instid1(VALU_DEP_1)
	v_cndmask_b32_e64 v32, v32, 0, vcc_lo
	v_add_nc_u32_e32 v31, v32, v31
	s_delay_alu instid0(VALU_DEP_1) | instskip(NEXT) | instid1(VALU_DEP_1)
	v_mov_b32_dpp v32, v31 row_shr:2 row_mask:0xf bank_mask:0xf
	v_cndmask_b32_e64 v32, 0, v32, s0
	s_delay_alu instid0(VALU_DEP_1) | instskip(NEXT) | instid1(VALU_DEP_1)
	v_add_nc_u32_e32 v31, v31, v32
	v_mov_b32_dpp v32, v31 row_shr:4 row_mask:0xf bank_mask:0xf
	s_delay_alu instid0(VALU_DEP_1) | instskip(NEXT) | instid1(VALU_DEP_1)
	v_cndmask_b32_e64 v32, 0, v32, s1
	v_add_nc_u32_e32 v31, v31, v32
	s_delay_alu instid0(VALU_DEP_1) | instskip(NEXT) | instid1(VALU_DEP_1)
	v_mov_b32_dpp v32, v31 row_shr:8 row_mask:0xf bank_mask:0xf
	v_cndmask_b32_e64 v32, 0, v32, s2
	s_delay_alu instid0(VALU_DEP_1) | instskip(SKIP_3) | instid1(VALU_DEP_1)
	v_add_nc_u32_e32 v31, v31, v32
	ds_swizzle_b32 v32, v31 offset:swizzle(BROADCAST,32,15)
	s_waitcnt lgkmcnt(0)
	v_cndmask_b32_e64 v32, v32, 0, s3
	v_add_nc_u32_e32 v31, v31, v32
	ds_store_b32 v11, v31
.LBB191_75:
	s_or_b32 exec_lo, exec_lo, s11
	v_mov_b32_e32 v11, 0
	s_waitcnt lgkmcnt(0)
	s_barrier
	buffer_gl0_inv
	s_and_saveexec_b32 s0, s4
	s_cbranch_execz .LBB191_77
; %bb.76:
	v_lshl_add_u32 v11, v30, 2, -4
	ds_load_b32 v11, v11
.LBB191_77:
	s_or_b32 exec_lo, exec_lo, s0
	v_add_nc_u32_e32 v30, -1, v14
	v_cmp_lt_u32_e64 s0, 0xff, v5
	s_waitcnt lgkmcnt(0)
	v_add_nc_u32_e32 v29, v11, v29
	s_delay_alu instid0(VALU_DEP_3) | instskip(SKIP_2) | instid1(VALU_DEP_2)
	v_cmp_gt_i32_e32 vcc_lo, 0, v30
	v_cndmask_b32_e32 v30, v30, v14, vcc_lo
	v_cmp_eq_u32_e32 vcc_lo, 0, v14
	v_lshlrev_b32_e32 v30, 2, v30
	ds_bpermute_b32 v29, v30, v29
	s_waitcnt lgkmcnt(0)
	v_cndmask_b32_e32 v11, v29, v11, vcc_lo
	v_cmp_ne_u32_e32 vcc_lo, 0, v5
	s_delay_alu instid0(VALU_DEP_2) | instskip(SKIP_1) | instid1(VALU_DEP_2)
	v_cndmask_b32_e32 v11, 0, v11, vcc_lo
	v_cmp_gt_u32_e32 vcc_lo, 0x100, v5
	v_add_nc_u32_e32 v8, v11, v8
	s_delay_alu instid0(VALU_DEP_1) | instskip(NEXT) | instid1(VALU_DEP_1)
	v_add_nc_u32_e32 v9, v8, v9
	v_add_nc_u32_e32 v6, v9, v6
	s_delay_alu instid0(VALU_DEP_1) | instskip(NEXT) | instid1(VALU_DEP_1)
	v_add_nc_u32_e32 v7, v6, v7
	;; [unrolled: 3-line block ×3, first 2 shown]
	v_add_nc_u32_e32 v0, v3, v0
	s_delay_alu instid0(VALU_DEP_1)
	v_add_nc_u32_e32 v1, v0, v1
	ds_store_2addr_b32 v15, v11, v8 offset0:32 offset1:33
	ds_store_2addr_b32 v28, v9, v6 offset0:2 offset1:3
	;; [unrolled: 1-line block ×4, first 2 shown]
	ds_store_b32 v28, v1 offset:32
	v_mov_b32_e32 v0, 0
	s_waitcnt lgkmcnt(0)
	s_barrier
	buffer_gl0_inv
	ds_load_b32 v2, v16 offset:128
	ds_load_b32 v3, v20 offset:128
	;; [unrolled: 1-line block ×4, first 2 shown]
	v_mov_b32_e32 v1, 0
                                        ; implicit-def: $vgpr11
	s_and_saveexec_b32 s2, vcc_lo
	s_cbranch_execz .LBB191_81
; %bb.78:
	v_mul_u32_u24_e32 v0, 33, v5
	s_mov_b32 s3, exec_lo
	s_delay_alu instid0(VALU_DEP_1)
	v_dual_mov_b32 v1, 0x1000 :: v_dual_lshlrev_b32 v8, 2, v0
	ds_load_b32 v0, v8 offset:128
	v_cmpx_ne_u32_e32 0xff, v5
	s_cbranch_execz .LBB191_80
; %bb.79:
	ds_load_b32 v1, v8 offset:260
.LBB191_80:
	s_or_b32 exec_lo, exec_lo, s3
	s_waitcnt lgkmcnt(0)
	v_sub_nc_u32_e32 v11, v1, v0
	v_mov_b32_e32 v1, 0
.LBB191_81:
	s_or_b32 exec_lo, exec_lo, s2
	s_waitcnt lgkmcnt(3)
	v_add_nc_u32_e32 v20, v2, v12
	s_waitcnt lgkmcnt(1)
	v_add3_u32 v15, v22, v21, v6
	v_add3_u32 v16, v18, v17, v3
	s_waitcnt lgkmcnt(0)
	v_add3_u32 v12, v26, v25, v7
	v_lshlrev_b32_e32 v2, 1, v20
	v_lshlrev_b32_e32 v6, 1, v15
	;; [unrolled: 1-line block ×3, first 2 shown]
	s_delay_alu instid0(VALU_DEP_4)
	v_lshlrev_b32_e32 v7, 1, v12
	s_barrier
	buffer_gl0_inv
	ds_store_b16 v2, v10 offset:2048
	ds_store_b16 v3, v13 offset:2048
	;; [unrolled: 1-line block ×4, first 2 shown]
	s_waitcnt lgkmcnt(0)
	s_barrier
	buffer_gl0_inv
	s_and_saveexec_b32 s1, s0
	s_delay_alu instid0(SALU_CYCLE_1)
	s_xor_b32 s0, exec_lo, s1
; %bb.82:
	v_mov_b32_e32 v6, 0
; %bb.83:
	s_and_not1_saveexec_b32 s1, s0
	s_cbranch_execz .LBB191_93
; %bb.84:
	v_lshl_or_b32 v6, s15, 8, v5
	v_dual_mov_b32 v7, 0 :: v_dual_mov_b32 v10, 0
	s_mov_b32 s2, 0
	s_mov_b32 s3, s15
	s_delay_alu instid0(VALU_DEP_1) | instskip(SKIP_1) | instid1(VALU_DEP_2)
	v_lshlrev_b64 v[2:3], 2, v[6:7]
	v_or_b32_e32 v6, 2.0, v11
	v_add_co_u32 v2, s0, s12, v2
	s_delay_alu instid0(VALU_DEP_1)
	v_add_co_ci_u32_e64 v3, s0, s13, v3, s0
                                        ; implicit-def: $sgpr0
	global_store_b32 v[2:3], v6, off
	s_branch .LBB191_87
	.p2align	6
.LBB191_85:                             ;   in Loop: Header=BB191_87 Depth=1
	s_or_b32 exec_lo, exec_lo, s5
.LBB191_86:                             ;   in Loop: Header=BB191_87 Depth=1
	s_delay_alu instid0(SALU_CYCLE_1) | instskip(SKIP_2) | instid1(VALU_DEP_2)
	s_or_b32 exec_lo, exec_lo, s4
	v_and_b32_e32 v8, 0x3fffffff, v13
	v_cmp_eq_u32_e64 s0, 0x80000000, v6
	v_add_nc_u32_e32 v10, v8, v10
	s_delay_alu instid0(VALU_DEP_2) | instskip(NEXT) | instid1(SALU_CYCLE_1)
	s_and_b32 s4, exec_lo, s0
	s_or_b32 s2, s4, s2
	s_delay_alu instid0(SALU_CYCLE_1)
	s_and_not1_b32 exec_lo, exec_lo, s2
	s_cbranch_execz .LBB191_92
.LBB191_87:                             ; =>This Loop Header: Depth=1
                                        ;     Child Loop BB191_90 Depth 2
	s_or_b32 s0, s0, exec_lo
	s_cmp_eq_u32 s3, 0
	s_cbranch_scc1 .LBB191_91
; %bb.88:                               ;   in Loop: Header=BB191_87 Depth=1
	s_add_i32 s3, s3, -1
	s_mov_b32 s4, exec_lo
	v_lshl_or_b32 v6, s3, 8, v5
	s_delay_alu instid0(VALU_DEP_1) | instskip(NEXT) | instid1(VALU_DEP_1)
	v_lshlrev_b64 v[8:9], 2, v[6:7]
	v_add_co_u32 v8, s0, s12, v8
	s_delay_alu instid0(VALU_DEP_1) | instskip(SKIP_3) | instid1(VALU_DEP_1)
	v_add_co_ci_u32_e64 v9, s0, s13, v9, s0
	global_load_b32 v13, v[8:9], off glc
	s_waitcnt vmcnt(0)
	v_and_b32_e32 v6, -2.0, v13
	v_cmpx_eq_u32_e32 0, v6
	s_cbranch_execz .LBB191_86
; %bb.89:                               ;   in Loop: Header=BB191_87 Depth=1
	s_mov_b32 s5, 0
.LBB191_90:                             ;   Parent Loop BB191_87 Depth=1
                                        ; =>  This Inner Loop Header: Depth=2
	global_load_b32 v13, v[8:9], off glc
	s_waitcnt vmcnt(0)
	v_and_b32_e32 v6, -2.0, v13
	s_delay_alu instid0(VALU_DEP_1) | instskip(NEXT) | instid1(VALU_DEP_1)
	v_cmp_ne_u32_e64 s0, 0, v6
	s_or_b32 s5, s0, s5
	s_delay_alu instid0(SALU_CYCLE_1)
	s_and_not1_b32 exec_lo, exec_lo, s5
	s_cbranch_execnz .LBB191_90
	s_branch .LBB191_85
.LBB191_91:                             ;   in Loop: Header=BB191_87 Depth=1
                                        ; implicit-def: $sgpr3
	s_and_b32 s4, exec_lo, s0
	s_delay_alu instid0(SALU_CYCLE_1) | instskip(NEXT) | instid1(SALU_CYCLE_1)
	s_or_b32 s2, s4, s2
	s_and_not1_b32 exec_lo, exec_lo, s2
	s_cbranch_execnz .LBB191_87
.LBB191_92:
	s_or_b32 exec_lo, exec_lo, s2
	v_add_nc_u32_e32 v6, v10, v11
	v_lshlrev_b32_e32 v7, 3, v5
	s_delay_alu instid0(VALU_DEP_2) | instskip(SKIP_3) | instid1(VALU_DEP_1)
	v_or_b32_e32 v6, 0x80000000, v6
	global_store_b32 v[2:3], v6, off
	global_load_b64 v[2:3], v7, s[24:25]
	v_sub_co_u32 v6, s0, v10, v0
	v_sub_co_ci_u32_e64 v8, s0, 0, v1, s0
	s_waitcnt vmcnt(0)
	s_delay_alu instid0(VALU_DEP_2) | instskip(SKIP_1) | instid1(VALU_DEP_3)
	v_add_co_u32 v2, s0, v6, v2
	v_mov_b32_e32 v6, 0
	v_add_co_ci_u32_e64 v3, s0, v8, v3, s0
	ds_store_b64 v7, v[2:3]
.LBB191_93:
	s_or_b32 exec_lo, exec_lo, s1
	v_lshlrev_b32_e32 v19, 1, v5
	s_waitcnt lgkmcnt(0)
	s_waitcnt_vscnt null, 0x0
	s_barrier
	buffer_gl0_inv
	v_lshlrev_b32_e32 v21, 1, v5
	ds_load_u16 v13, v19 offset:8192
	ds_load_u16 v22, v21 offset:2048
	;; [unrolled: 1-line block ×3, first 2 shown]
	v_lshlrev_b32_e32 v14, 3, v14
	s_lshl_b64 s[2:3], s[6:7], 3
	v_lshlrev_b64 v[17:18], 1, v[5:6]
	s_add_u32 s1, s20, s2
	s_addc_u32 s2, s21, s3
	v_or_b32_e32 v29, 0xc00, v5
	v_or_b32_e32 v28, 0x800, v5
	v_lshlrev_b32_e32 v4, 3, v4
	v_lshlrev_b32_e32 v16, 3, v16
	;; [unrolled: 1-line block ×6, first 2 shown]
	s_add_i32 s9, s9, -1
	s_delay_alu instid0(SALU_CYCLE_1) | instskip(SKIP_2) | instid1(VALU_DEP_1)
	s_cmp_eq_u32 s15, s9
	s_waitcnt lgkmcnt(2)
	v_cmp_ne_u16_e64 s0, 0x8000, v13
	v_cndmask_b32_e64 v2, 0x7fff, v13, s0
	s_waitcnt lgkmcnt(1)
	v_cmp_ne_u16_e64 s0, 0x8000, v22
	s_delay_alu instid0(VALU_DEP_2) | instskip(NEXT) | instid1(VALU_DEP_2)
	v_and_b32_e32 v2, 0xffff, v2
	v_cndmask_b32_e64 v3, 0x7fff, v22, s0
	s_waitcnt lgkmcnt(0)
	v_cmp_ne_u16_e64 s0, 0x8000, v23
	s_delay_alu instid0(VALU_DEP_3) | instskip(NEXT) | instid1(VALU_DEP_3)
	v_lshrrev_b32_e32 v2, s28, v2
	v_and_b32_e32 v3, 0xffff, v3
	s_delay_alu instid0(VALU_DEP_3) | instskip(NEXT) | instid1(VALU_DEP_3)
	v_cndmask_b32_e64 v7, 0x7fff, v23, s0
	v_and_b32_e32 v2, s10, v2
	s_delay_alu instid0(VALU_DEP_3) | instskip(NEXT) | instid1(VALU_DEP_3)
	v_lshrrev_b32_e32 v8, s28, v3
	v_and_b32_e32 v7, 0xffff, v7
	s_delay_alu instid0(VALU_DEP_3) | instskip(NEXT) | instid1(VALU_DEP_3)
	v_lshlrev_b32_e32 v24, 3, v2
	v_and_b32_e32 v8, s10, v8
	s_delay_alu instid0(VALU_DEP_3) | instskip(SKIP_4) | instid1(VALU_DEP_1)
	v_lshrrev_b32_e32 v7, s28, v7
	ds_load_b64 v[2:3], v24
	ds_load_u16 v25, v19 offset:6144
	v_lshlrev_b32_e32 v27, 3, v8
	v_and_b32_e32 v7, s10, v7
	v_lshlrev_b32_e32 v26, 3, v7
	ds_load_b64 v[7:8], v26
	ds_load_b64 v[9:10], v27
	s_waitcnt lgkmcnt(3)
	v_lshlrev_b64 v[2:3], 1, v[2:3]
	s_waitcnt lgkmcnt(2)
	v_cmp_ne_u16_e64 s0, 0x8000, v25
	s_delay_alu instid0(VALU_DEP_1) | instskip(SKIP_1) | instid1(VALU_DEP_2)
	v_cndmask_b32_e64 v30, 0x7fff, v25, s0
	v_cmp_gt_i16_e64 s0, 0, v22
	v_and_b32_e32 v30, 0xffff, v30
	s_delay_alu instid0(VALU_DEP_2)
	v_cndmask_b32_e64 v33, 0x7fff, 0, s0
	v_cmp_gt_i16_e64 s0, 0, v23
	s_waitcnt lgkmcnt(0)
	v_lshlrev_b64 v[9:10], 1, v[9:10]
	v_lshlrev_b64 v[7:8], 1, v[7:8]
	v_lshrrev_b32_e32 v30, s28, v30
	v_xor_b32_e32 v22, v33, v22
	v_cndmask_b32_e64 v34, 0x7fff, 0, s0
	v_cmp_gt_i16_e64 s0, 0, v13
	s_delay_alu instid0(VALU_DEP_4) | instskip(NEXT) | instid1(VALU_DEP_3)
	v_and_b32_e32 v30, s10, v30
	v_xor_b32_e32 v23, v34, v23
	s_delay_alu instid0(VALU_DEP_3) | instskip(SKIP_1) | instid1(VALU_DEP_4)
	v_cndmask_b32_e64 v35, 0x7fff, 0, s0
	v_add_co_u32 v36, s0, s1, v14
	v_lshlrev_b32_e32 v30, 3, v30
	v_add_co_ci_u32_e64 v37, null, s2, 0, s0
	s_delay_alu instid0(VALU_DEP_4) | instskip(SKIP_3) | instid1(SALU_CYCLE_1)
	v_xor_b32_e32 v33, v35, v13
	v_cmp_gt_i16_e64 s0, 0, v25
	ds_load_b64 v[13:14], v30
	s_cselect_b32 s1, -1, 0
	s_and_b32 s1, vcc_lo, s1
	v_cndmask_b32_e64 v34, 0x7fff, 0, s0
	v_add_co_u32 v9, s0, s18, v9
	s_delay_alu instid0(VALU_DEP_1) | instskip(NEXT) | instid1(VALU_DEP_3)
	v_add_co_ci_u32_e64 v10, s0, s19, v10, s0
	v_xor_b32_e32 v25, v34, v25
	v_add_co_u32 v34, s0, s18, v7
	s_delay_alu instid0(VALU_DEP_1) | instskip(SKIP_1) | instid1(VALU_DEP_1)
	v_add_co_ci_u32_e64 v35, s0, s19, v8, s0
	v_add_co_u32 v38, s0, s18, v2
	v_add_co_ci_u32_e64 v39, s0, s19, v3, s0
	v_add_co_u32 v2, s0, v9, v17
	s_waitcnt lgkmcnt(0)
	v_lshlrev_b64 v[7:8], 1, v[13:14]
	v_add_co_ci_u32_e64 v3, s0, v10, v18, s0
	v_add_co_u32 v9, s0, v34, v17
	s_delay_alu instid0(VALU_DEP_1) | instskip(NEXT) | instid1(VALU_DEP_4)
	v_add_co_ci_u32_e64 v10, s0, v35, v18, s0
	v_add_co_u32 v13, s0, s18, v7
	s_delay_alu instid0(VALU_DEP_1) | instskip(SKIP_1) | instid1(VALU_DEP_1)
	v_add_co_ci_u32_e64 v14, s0, s19, v8, s0
	v_add_co_u32 v7, s0, v38, v32
	v_add_co_ci_u32_e64 v8, s0, 0, v39, s0
	s_delay_alu instid0(VALU_DEP_4) | instskip(NEXT) | instid1(VALU_DEP_1)
	v_add_co_u32 v13, s0, v13, v31
	v_add_co_ci_u32_e64 v14, s0, 0, v14, s0
	v_add_co_u32 v17, s0, v36, v4
	s_delay_alu instid0(VALU_DEP_1)
	v_add_co_ci_u32_e64 v18, s0, 0, v37, s0
	s_clause 0x3
	global_store_b16 v[2:3], v22, off
	global_store_b16 v[9:10], v23, off offset:2048
	global_store_b16 v[13:14], v25, off
	global_store_b16 v[7:8], v33, off
	s_clause 0x3
	global_load_b64 v[2:3], v[17:18], off
	global_load_b64 v[7:8], v[17:18], off offset:256
	global_load_b64 v[9:10], v[17:18], off offset:512
	;; [unrolled: 1-line block ×3, first 2 shown]
	v_lshlrev_b32_e32 v4, 3, v20
	s_waitcnt vmcnt(0)
	s_waitcnt_vscnt null, 0x0
	s_barrier
	buffer_gl0_inv
	v_mad_i32_i24 v20, v5, 6, v21
	v_lshlrev_b32_e32 v25, 3, v28
	ds_store_b64 v4, v[2:3] offset:2048
	ds_store_b64 v16, v[7:8] offset:2048
	;; [unrolled: 1-line block ×4, first 2 shown]
	s_waitcnt lgkmcnt(0)
	s_barrier
	buffer_gl0_inv
	ds_load_b64 v[2:3], v27
	ds_load_b64 v[12:13], v26
	ds_load_b64 v[14:15], v30
	ds_load_b64 v[16:17], v24
	v_or_b32_e32 v4, 0x800, v19
	v_lshlrev_b64 v[18:19], 3, v[5:6]
	v_lshl_or_b32 v24, v5, 3, 0x2000
	v_lshlrev_b32_e32 v26, 3, v29
	s_delay_alu instid0(VALU_DEP_4)
	v_mad_u32_u24 v4, v5, 6, v4
	ds_load_2addr_stride64_b64 v[7:10], v4 offset0:16 offset1:32
	ds_load_b64 v[20:21], v20 offset:2048
	ds_load_b64 v[22:23], v4 offset:24576
	s_waitcnt lgkmcnt(6)
	v_lshlrev_b64 v[2:3], 3, v[2:3]
	s_waitcnt lgkmcnt(5)
	v_lshlrev_b64 v[12:13], 3, v[12:13]
	s_waitcnt lgkmcnt(4)
	v_lshlrev_b64 v[14:15], 3, v[14:15]
	s_waitcnt lgkmcnt(3)
	v_lshlrev_b64 v[16:17], 3, v[16:17]
	v_add_co_u32 v2, s0, s22, v2
	s_delay_alu instid0(VALU_DEP_1) | instskip(SKIP_1) | instid1(VALU_DEP_1)
	v_add_co_ci_u32_e64 v3, s0, s23, v3, s0
	v_add_co_u32 v4, s0, s22, v12
	v_add_co_ci_u32_e64 v13, s0, s23, v13, s0
	v_add_co_u32 v14, s0, s22, v14
	s_delay_alu instid0(VALU_DEP_1) | instskip(SKIP_1) | instid1(VALU_DEP_1)
	v_add_co_ci_u32_e64 v15, s0, s23, v15, s0
	v_add_co_u32 v16, s0, s22, v16
	v_add_co_ci_u32_e64 v17, s0, s23, v17, s0
	;; [unrolled: 5-line block ×4, first 2 shown]
	s_waitcnt lgkmcnt(1)
	s_clause 0x2
	global_store_b64 v[2:3], v[20:21], off
	global_store_b64 v[12:13], v[7:8], off
	;; [unrolled: 1-line block ×3, first 2 shown]
	s_waitcnt lgkmcnt(0)
	global_store_b64 v[16:17], v[22:23], off
                                        ; implicit-def: $vgpr2_vgpr3
	s_and_saveexec_b32 s0, s1
; %bb.94:
	v_add_co_u32 v2, vcc_lo, v0, v11
	v_add_co_ci_u32_e32 v3, vcc_lo, 0, v1, vcc_lo
	s_or_b32 s8, s8, exec_lo
; %bb.95:
	s_or_b32 exec_lo, exec_lo, s0
.LBB191_96:
	s_and_saveexec_b32 s0, s8
	s_cbranch_execnz .LBB191_98
; %bb.97:
	s_nop 0
	s_sendmsg sendmsg(MSG_DEALLOC_VGPRS)
	s_endpgm
.LBB191_98:
	v_lshlrev_b32_e32 v0, 3, v5
	v_lshlrev_b64 v[4:5], 3, v[5:6]
	ds_load_b64 v[0:1], v0
	v_add_co_u32 v4, vcc_lo, s26, v4
	v_add_co_ci_u32_e32 v5, vcc_lo, s27, v5, vcc_lo
	s_waitcnt lgkmcnt(0)
	v_add_co_u32 v0, vcc_lo, v0, v2
	v_add_co_ci_u32_e32 v1, vcc_lo, v1, v3, vcc_lo
	global_store_b64 v[4:5], v[0:1], off
	s_nop 0
	s_sendmsg sendmsg(MSG_DEALLOC_VGPRS)
	s_endpgm
.LBB191_99:
	global_load_b64 v[6:7], v[1:2], off
	s_or_b32 exec_lo, exec_lo, s10
                                        ; implicit-def: $vgpr8_vgpr9
	s_and_saveexec_b32 s10, s2
	s_cbranch_execz .LBB191_47
.LBB191_100:
	global_load_b64 v[8:9], v[1:2], off offset:256
	s_or_b32 exec_lo, exec_lo, s10
                                        ; implicit-def: $vgpr10_vgpr11
	s_and_saveexec_b32 s2, s3
	s_cbranch_execz .LBB191_48
.LBB191_101:
	global_load_b64 v[10:11], v[1:2], off offset:512
	s_or_b32 exec_lo, exec_lo, s2
                                        ; implicit-def: $vgpr12_vgpr13
	s_and_saveexec_b32 s2, s4
	s_cbranch_execz .LBB191_49
.LBB191_102:
	global_load_b64 v[12:13], v[1:2], off offset:768
	s_or_b32 exec_lo, exec_lo, s2
                                        ; implicit-def: $vgpr1_vgpr2_vgpr3_vgpr4
	s_and_saveexec_b32 s2, s6
	s_cbranch_execz .LBB191_50
.LBB191_103:
	ds_load_u16 v1, v24 offset:2048
	s_waitcnt lgkmcnt(0)
	v_cmp_ne_u16_e32 vcc_lo, 0x8000, v1
	v_cndmask_b32_e32 v1, 0x7fff, v1, vcc_lo
	s_delay_alu instid0(VALU_DEP_1) | instskip(NEXT) | instid1(VALU_DEP_1)
	v_and_b32_e32 v1, 0xffff, v1
	v_lshrrev_b32_e32 v1, s28, v1
	s_delay_alu instid0(VALU_DEP_1)
	v_and_b32_e32 v1, s33, v1
	s_or_b32 exec_lo, exec_lo, s2
	s_and_saveexec_b32 s2, s7
	s_cbranch_execz .LBB191_51
.LBB191_104:
	ds_load_u16 v2, v24 offset:4096
	s_waitcnt lgkmcnt(0)
	v_cmp_ne_u16_e32 vcc_lo, 0x8000, v2
	v_cndmask_b32_e32 v2, 0x7fff, v2, vcc_lo
	s_delay_alu instid0(VALU_DEP_1) | instskip(NEXT) | instid1(VALU_DEP_1)
	v_and_b32_e32 v2, 0xffff, v2
	v_lshrrev_b32_e32 v2, s28, v2
	s_delay_alu instid0(VALU_DEP_1)
	v_and_b32_e32 v2, s33, v2
	s_or_b32 exec_lo, exec_lo, s2
	s_and_saveexec_b32 s2, s8
	s_cbranch_execz .LBB191_52
.LBB191_105:
	ds_load_u16 v3, v24 offset:6144
	s_waitcnt lgkmcnt(0)
	v_cmp_ne_u16_e32 vcc_lo, 0x8000, v3
	v_cndmask_b32_e32 v3, 0x7fff, v3, vcc_lo
	s_delay_alu instid0(VALU_DEP_1) | instskip(NEXT) | instid1(VALU_DEP_1)
	v_and_b32_e32 v3, 0xffff, v3
	v_lshrrev_b32_e32 v3, s28, v3
	s_delay_alu instid0(VALU_DEP_1)
	v_and_b32_e32 v3, s33, v3
	s_or_b32 exec_lo, exec_lo, s2
	s_and_saveexec_b32 s2, s9
	s_cbranch_execnz .LBB191_53
	s_branch .LBB191_54
.LBB191_106:
	v_lshlrev_b32_e32 v1, 3, v1
	ds_load_b64 v[7:8], v1
	ds_load_b64 v[9:10], v6 offset:2048
	s_waitcnt lgkmcnt(1)
	v_lshlrev_b64 v[7:8], 3, v[7:8]
	s_delay_alu instid0(VALU_DEP_1) | instskip(NEXT) | instid1(VALU_DEP_2)
	v_add_co_u32 v1, vcc_lo, s22, v7
	v_add_co_ci_u32_e32 v8, vcc_lo, s23, v8, vcc_lo
	s_delay_alu instid0(VALU_DEP_2) | instskip(NEXT) | instid1(VALU_DEP_2)
	v_add_co_u32 v7, vcc_lo, v1, v6
	v_add_co_ci_u32_e32 v8, vcc_lo, 0, v8, vcc_lo
	s_waitcnt lgkmcnt(0)
	global_store_b64 v[7:8], v[9:10], off
	s_or_b32 exec_lo, exec_lo, s2
	s_and_saveexec_b32 s2, s7
	s_cbranch_execz .LBB191_56
.LBB191_107:
	v_lshlrev_b32_e32 v1, 3, v2
	v_lshlrev_b32_e32 v9, 3, v17
	ds_load_b64 v[1:2], v1
	ds_load_b64 v[7:8], v6 offset:10240
	s_waitcnt lgkmcnt(1)
	v_lshlrev_b64 v[1:2], 3, v[1:2]
	s_delay_alu instid0(VALU_DEP_1) | instskip(NEXT) | instid1(VALU_DEP_2)
	v_add_co_u32 v1, vcc_lo, s22, v1
	v_add_co_ci_u32_e32 v2, vcc_lo, s23, v2, vcc_lo
	s_delay_alu instid0(VALU_DEP_2) | instskip(NEXT) | instid1(VALU_DEP_2)
	v_add_co_u32 v1, vcc_lo, v1, v9
	v_add_co_ci_u32_e32 v2, vcc_lo, 0, v2, vcc_lo
	s_waitcnt lgkmcnt(0)
	global_store_b64 v[1:2], v[7:8], off
	s_or_b32 exec_lo, exec_lo, s2
	s_and_saveexec_b32 s2, s8
	s_cbranch_execz .LBB191_57
.LBB191_108:
	v_lshlrev_b32_e32 v1, 3, v3
	v_lshlrev_b32_e32 v3, 3, v20
	ds_load_b64 v[1:2], v1
	ds_load_b64 v[7:8], v6 offset:18432
	s_waitcnt lgkmcnt(1)
	v_lshlrev_b64 v[1:2], 3, v[1:2]
	s_delay_alu instid0(VALU_DEP_1) | instskip(NEXT) | instid1(VALU_DEP_2)
	v_add_co_u32 v1, vcc_lo, s22, v1
	v_add_co_ci_u32_e32 v2, vcc_lo, s23, v2, vcc_lo
	s_delay_alu instid0(VALU_DEP_2) | instskip(NEXT) | instid1(VALU_DEP_2)
	v_add_co_u32 v1, vcc_lo, v1, v3
	v_add_co_ci_u32_e32 v2, vcc_lo, 0, v2, vcc_lo
	s_waitcnt lgkmcnt(0)
	global_store_b64 v[1:2], v[7:8], off
	s_or_b32 exec_lo, exec_lo, s2
	s_and_saveexec_b32 s2, s9
	s_cbranch_execnz .LBB191_58
	s_branch .LBB191_59
	.section	.rodata,"a",@progbits
	.p2align	6, 0x0
	.amdhsa_kernel _ZN7rocprim17ROCPRIM_304000_NS6detail25onesweep_iteration_kernelINS1_34wrapped_radix_sort_onesweep_configINS0_14default_configE6__halfN2at4cuda3cub6detail10OpaqueTypeILi8EEEEELb1EPKS5_PS5_PKSB_PSB_mNS0_19identity_decomposerEEEvT1_T2_T3_T4_jPT5_SP_PNS1_23onesweep_lookback_stateET6_jjj
		.amdhsa_group_segment_fixed_size 36992
		.amdhsa_private_segment_fixed_size 0
		.amdhsa_kernarg_size 336
		.amdhsa_user_sgpr_count 15
		.amdhsa_user_sgpr_dispatch_ptr 0
		.amdhsa_user_sgpr_queue_ptr 0
		.amdhsa_user_sgpr_kernarg_segment_ptr 1
		.amdhsa_user_sgpr_dispatch_id 0
		.amdhsa_user_sgpr_private_segment_size 0
		.amdhsa_wavefront_size32 1
		.amdhsa_uses_dynamic_stack 0
		.amdhsa_enable_private_segment 0
		.amdhsa_system_sgpr_workgroup_id_x 1
		.amdhsa_system_sgpr_workgroup_id_y 0
		.amdhsa_system_sgpr_workgroup_id_z 0
		.amdhsa_system_sgpr_workgroup_info 0
		.amdhsa_system_vgpr_workitem_id 2
		.amdhsa_next_free_vgpr 40
		.amdhsa_next_free_sgpr 36
		.amdhsa_reserve_vcc 1
		.amdhsa_float_round_mode_32 0
		.amdhsa_float_round_mode_16_64 0
		.amdhsa_float_denorm_mode_32 3
		.amdhsa_float_denorm_mode_16_64 3
		.amdhsa_dx10_clamp 1
		.amdhsa_ieee_mode 1
		.amdhsa_fp16_overflow 0
		.amdhsa_workgroup_processor_mode 1
		.amdhsa_memory_ordered 1
		.amdhsa_forward_progress 0
		.amdhsa_shared_vgpr_count 0
		.amdhsa_exception_fp_ieee_invalid_op 0
		.amdhsa_exception_fp_denorm_src 0
		.amdhsa_exception_fp_ieee_div_zero 0
		.amdhsa_exception_fp_ieee_overflow 0
		.amdhsa_exception_fp_ieee_underflow 0
		.amdhsa_exception_fp_ieee_inexact 0
		.amdhsa_exception_int_div_zero 0
	.end_amdhsa_kernel
	.section	.text._ZN7rocprim17ROCPRIM_304000_NS6detail25onesweep_iteration_kernelINS1_34wrapped_radix_sort_onesweep_configINS0_14default_configE6__halfN2at4cuda3cub6detail10OpaqueTypeILi8EEEEELb1EPKS5_PS5_PKSB_PSB_mNS0_19identity_decomposerEEEvT1_T2_T3_T4_jPT5_SP_PNS1_23onesweep_lookback_stateET6_jjj,"axG",@progbits,_ZN7rocprim17ROCPRIM_304000_NS6detail25onesweep_iteration_kernelINS1_34wrapped_radix_sort_onesweep_configINS0_14default_configE6__halfN2at4cuda3cub6detail10OpaqueTypeILi8EEEEELb1EPKS5_PS5_PKSB_PSB_mNS0_19identity_decomposerEEEvT1_T2_T3_T4_jPT5_SP_PNS1_23onesweep_lookback_stateET6_jjj,comdat
.Lfunc_end191:
	.size	_ZN7rocprim17ROCPRIM_304000_NS6detail25onesweep_iteration_kernelINS1_34wrapped_radix_sort_onesweep_configINS0_14default_configE6__halfN2at4cuda3cub6detail10OpaqueTypeILi8EEEEELb1EPKS5_PS5_PKSB_PSB_mNS0_19identity_decomposerEEEvT1_T2_T3_T4_jPT5_SP_PNS1_23onesweep_lookback_stateET6_jjj, .Lfunc_end191-_ZN7rocprim17ROCPRIM_304000_NS6detail25onesweep_iteration_kernelINS1_34wrapped_radix_sort_onesweep_configINS0_14default_configE6__halfN2at4cuda3cub6detail10OpaqueTypeILi8EEEEELb1EPKS5_PS5_PKSB_PSB_mNS0_19identity_decomposerEEEvT1_T2_T3_T4_jPT5_SP_PNS1_23onesweep_lookback_stateET6_jjj
                                        ; -- End function
	.section	.AMDGPU.csdata,"",@progbits
; Kernel info:
; codeLenInByte = 9936
; NumSgprs: 38
; NumVgprs: 40
; ScratchSize: 0
; MemoryBound: 0
; FloatMode: 240
; IeeeMode: 1
; LDSByteSize: 36992 bytes/workgroup (compile time only)
; SGPRBlocks: 4
; VGPRBlocks: 4
; NumSGPRsForWavesPerEU: 38
; NumVGPRsForWavesPerEU: 40
; Occupancy: 16
; WaveLimiterHint : 1
; COMPUTE_PGM_RSRC2:SCRATCH_EN: 0
; COMPUTE_PGM_RSRC2:USER_SGPR: 15
; COMPUTE_PGM_RSRC2:TRAP_HANDLER: 0
; COMPUTE_PGM_RSRC2:TGID_X_EN: 1
; COMPUTE_PGM_RSRC2:TGID_Y_EN: 0
; COMPUTE_PGM_RSRC2:TGID_Z_EN: 0
; COMPUTE_PGM_RSRC2:TIDIG_COMP_CNT: 2
	.section	.text._ZN7rocprim17ROCPRIM_304000_NS6detail25onesweep_iteration_kernelINS1_34wrapped_radix_sort_onesweep_configINS0_14default_configE6__halfN2at4cuda3cub6detail10OpaqueTypeILi8EEEEELb1EPS5_SD_PSB_SE_mNS0_19identity_decomposerEEEvT1_T2_T3_T4_jPT5_SL_PNS1_23onesweep_lookback_stateET6_jjj,"axG",@progbits,_ZN7rocprim17ROCPRIM_304000_NS6detail25onesweep_iteration_kernelINS1_34wrapped_radix_sort_onesweep_configINS0_14default_configE6__halfN2at4cuda3cub6detail10OpaqueTypeILi8EEEEELb1EPS5_SD_PSB_SE_mNS0_19identity_decomposerEEEvT1_T2_T3_T4_jPT5_SL_PNS1_23onesweep_lookback_stateET6_jjj,comdat
	.protected	_ZN7rocprim17ROCPRIM_304000_NS6detail25onesweep_iteration_kernelINS1_34wrapped_radix_sort_onesweep_configINS0_14default_configE6__halfN2at4cuda3cub6detail10OpaqueTypeILi8EEEEELb1EPS5_SD_PSB_SE_mNS0_19identity_decomposerEEEvT1_T2_T3_T4_jPT5_SL_PNS1_23onesweep_lookback_stateET6_jjj ; -- Begin function _ZN7rocprim17ROCPRIM_304000_NS6detail25onesweep_iteration_kernelINS1_34wrapped_radix_sort_onesweep_configINS0_14default_configE6__halfN2at4cuda3cub6detail10OpaqueTypeILi8EEEEELb1EPS5_SD_PSB_SE_mNS0_19identity_decomposerEEEvT1_T2_T3_T4_jPT5_SL_PNS1_23onesweep_lookback_stateET6_jjj
	.globl	_ZN7rocprim17ROCPRIM_304000_NS6detail25onesweep_iteration_kernelINS1_34wrapped_radix_sort_onesweep_configINS0_14default_configE6__halfN2at4cuda3cub6detail10OpaqueTypeILi8EEEEELb1EPS5_SD_PSB_SE_mNS0_19identity_decomposerEEEvT1_T2_T3_T4_jPT5_SL_PNS1_23onesweep_lookback_stateET6_jjj
	.p2align	8
	.type	_ZN7rocprim17ROCPRIM_304000_NS6detail25onesweep_iteration_kernelINS1_34wrapped_radix_sort_onesweep_configINS0_14default_configE6__halfN2at4cuda3cub6detail10OpaqueTypeILi8EEEEELb1EPS5_SD_PSB_SE_mNS0_19identity_decomposerEEEvT1_T2_T3_T4_jPT5_SL_PNS1_23onesweep_lookback_stateET6_jjj,@function
_ZN7rocprim17ROCPRIM_304000_NS6detail25onesweep_iteration_kernelINS1_34wrapped_radix_sort_onesweep_configINS0_14default_configE6__halfN2at4cuda3cub6detail10OpaqueTypeILi8EEEEELb1EPS5_SD_PSB_SE_mNS0_19identity_decomposerEEEvT1_T2_T3_T4_jPT5_SL_PNS1_23onesweep_lookback_stateET6_jjj: ; @_ZN7rocprim17ROCPRIM_304000_NS6detail25onesweep_iteration_kernelINS1_34wrapped_radix_sort_onesweep_configINS0_14default_configE6__halfN2at4cuda3cub6detail10OpaqueTypeILi8EEEEELb1EPS5_SD_PSB_SE_mNS0_19identity_decomposerEEEvT1_T2_T3_T4_jPT5_SL_PNS1_23onesweep_lookback_stateET6_jjj
; %bb.0:
	s_clause 0x3
	s_load_b128 s[28:31], s[0:1], 0x44
	s_load_b256 s[16:23], s[0:1], 0x0
	s_load_b128 s[24:27], s[0:1], 0x28
	s_load_b64 s[12:13], s[0:1], 0x38
	v_and_b32_e32 v5, 0x3ff, v0
	v_mbcnt_lo_u32_b32 v14, -1, 0
	s_waitcnt lgkmcnt(0)
	s_cmp_ge_u32 s15, s30
	s_cbranch_scc0 .LBB192_62
; %bb.1:
	s_load_b32 s4, s[0:1], 0x20
	v_dual_mov_b32 v7, -1 :: v_dual_lshlrev_b32 v12, 2, v5
	s_lshl_b32 s5, s30, 12
	s_lshl_b32 s30, s15, 12
	s_mov_b32 s31, 0
	s_delay_alu instid0(VALU_DEP_1) | instskip(SKIP_2) | instid1(VALU_DEP_2)
	v_and_b32_e32 v10, 0xf80, v12
	v_dual_mov_b32 v6, -1 :: v_dual_lshlrev_b32 v1, 1, v14
	s_lshl_b64 s[2:3], s[30:31], 1
	v_lshlrev_b32_e32 v2, 1, v10
	v_or_b32_e32 v8, v14, v10
	s_waitcnt lgkmcnt(0)
	s_sub_i32 s34, s4, s5
	s_add_u32 s2, s16, s2
	s_addc_u32 s3, s17, s3
	v_add_co_u32 v1, s2, s2, v1
	s_delay_alu instid0(VALU_DEP_1) | instskip(SKIP_1) | instid1(VALU_DEP_3)
	v_add_co_ci_u32_e64 v3, null, s3, 0, s2
	v_cmp_gt_u32_e32 vcc_lo, s34, v8
	v_add_co_u32 v1, s2, v1, v2
	s_delay_alu instid0(VALU_DEP_1)
	v_add_co_ci_u32_e64 v2, s2, 0, v3, s2
	s_and_saveexec_b32 s2, vcc_lo
	s_cbranch_execz .LBB192_3
; %bb.2:
	global_load_u16 v7, v[1:2], off
.LBB192_3:
	s_or_b32 exec_lo, exec_lo, s2
	v_add_nc_u32_e32 v3, 32, v8
	s_delay_alu instid0(VALU_DEP_1) | instskip(NEXT) | instid1(VALU_DEP_1)
	v_cmp_gt_u32_e64 s2, s34, v3
	s_and_saveexec_b32 s3, s2
	s_cbranch_execz .LBB192_5
; %bb.4:
	global_load_u16 v6, v[1:2], off offset:64
.LBB192_5:
	s_or_b32 exec_lo, exec_lo, s3
	v_dual_mov_b32 v3, -1 :: v_dual_add_nc_u32 v4, 64, v8
	s_delay_alu instid0(VALU_DEP_1) | instskip(SKIP_1) | instid1(VALU_DEP_2)
	v_cmp_gt_u32_e64 s3, s34, v4
	v_mov_b32_e32 v4, -1
	s_and_saveexec_b32 s4, s3
	s_cbranch_execz .LBB192_7
; %bb.6:
	global_load_u16 v4, v[1:2], off offset:128
.LBB192_7:
	s_or_b32 exec_lo, exec_lo, s4
	v_add_nc_u32_e32 v8, 0x60, v8
	s_delay_alu instid0(VALU_DEP_1) | instskip(NEXT) | instid1(VALU_DEP_1)
	v_cmp_gt_u32_e64 s4, s34, v8
	s_and_saveexec_b32 s5, s4
	s_cbranch_execz .LBB192_9
; %bb.8:
	global_load_u16 v3, v[1:2], off offset:192
.LBB192_9:
	s_or_b32 exec_lo, exec_lo, s5
	s_clause 0x1
	s_load_b32 s5, s[0:1], 0x5c
	s_load_b32 s14, s[0:1], 0x50
	s_add_u32 s6, s0, 0x50
	s_addc_u32 s7, s1, 0
	s_waitcnt lgkmcnt(0)
	s_lshr_b32 s8, s5, 16
	s_cmp_lt_u32 s15, s14
	s_cselect_b32 s5, 12, 18
	s_delay_alu instid0(SALU_CYCLE_1) | instskip(SKIP_3) | instid1(VALU_DEP_1)
	s_add_u32 s6, s6, s5
	s_waitcnt vmcnt(0)
	v_cmp_gt_i16_e64 s5, 0, v7
	s_addc_u32 s7, s7, 0
	v_cndmask_b32_e64 v1, 0x7fff, 0, s5
	s_delay_alu instid0(VALU_DEP_1) | instskip(NEXT) | instid1(VALU_DEP_1)
	v_xor_b32_e32 v11, v1, v7
	v_cmp_ne_u16_e64 s5, 0x8000, v11
	s_delay_alu instid0(VALU_DEP_1) | instskip(SKIP_2) | instid1(SALU_CYCLE_1)
	v_cndmask_b32_e64 v1, 0x7fff, v11, s5
	v_mov_b32_e32 v8, 0
	s_lshl_b32 s5, -1, s29
	s_not_b32 s33, s5
	s_delay_alu instid0(VALU_DEP_2) | instskip(SKIP_2) | instid1(VALU_DEP_1)
	v_and_b32_e32 v1, 0xffff, v1
	global_load_u16 v9, v8, s[6:7]
	v_lshrrev_b32_e32 v1, s28, v1
	v_and_b32_e32 v7, s33, v1
	v_bfe_u32 v1, v0, 10, 10
	s_delay_alu instid0(VALU_DEP_2)
	v_and_b32_e32 v2, 1, v7
	v_lshlrev_b32_e32 v13, 30, v7
	v_lshlrev_b32_e32 v15, 29, v7
	;; [unrolled: 1-line block ×4, first 2 shown]
	v_add_co_u32 v2, s5, v2, -1
	s_delay_alu instid0(VALU_DEP_1)
	v_cndmask_b32_e64 v17, 0, 1, s5
	v_not_b32_e32 v21, v13
	v_cmp_gt_i32_e64 s6, 0, v13
	v_not_b32_e32 v13, v15
	v_lshlrev_b32_e32 v19, 26, v7
	v_cmp_ne_u32_e64 s5, 0, v17
	v_ashrrev_i32_e32 v21, 31, v21
	v_lshlrev_b32_e32 v20, 25, v7
	v_ashrrev_i32_e32 v13, 31, v13
	v_lshlrev_b32_e32 v17, 24, v7
	v_xor_b32_e32 v2, s5, v2
	v_cmp_gt_i32_e64 s5, 0, v15
	v_not_b32_e32 v15, v16
	v_xor_b32_e32 v21, s6, v21
	v_cmp_gt_i32_e64 s6, 0, v16
	v_and_b32_e32 v2, exec_lo, v2
	v_not_b32_e32 v16, v18
	v_ashrrev_i32_e32 v15, 31, v15
	v_xor_b32_e32 v13, s5, v13
	v_cmp_gt_i32_e64 s5, 0, v18
	v_and_b32_e32 v2, v2, v21
	v_not_b32_e32 v18, v19
	v_ashrrev_i32_e32 v16, 31, v16
	v_xor_b32_e32 v15, s6, v15
	v_cmp_gt_i32_e64 s6, 0, v19
	v_and_b32_e32 v2, v2, v13
	;; [unrolled: 5-line block ×4, first 2 shown]
	v_bfe_u32 v16, v0, 20, 10
	v_ashrrev_i32_e32 v15, 31, v15
	v_xor_b32_e32 v13, s5, v13
	v_mul_u32_u24_e32 v17, 9, v5
	v_and_b32_e32 v2, v2, v18
	v_mad_u32_u24 v16, v16, s8, v1
	v_xor_b32_e32 v18, s6, v15
	v_mul_u32_u24_e32 v7, 33, v7
	v_lshlrev_b32_e32 v15, 2, v17
	v_and_b32_e32 v13, v2, v13
	ds_store_2addr_b32 v15, v8, v8 offset0:32 offset1:33
	ds_store_2addr_b32 v15, v8, v8 offset0:34 offset1:35
	;; [unrolled: 1-line block ×4, first 2 shown]
	ds_store_b32 v15, v8 offset:160
	s_waitcnt vmcnt(0) lgkmcnt(0)
	s_barrier
	buffer_gl0_inv
	; wave barrier
	v_mad_u64_u32 v[1:2], null, v16, v9, v[5:6]
	v_and_b32_e32 v2, v13, v18
	s_delay_alu instid0(VALU_DEP_1) | instskip(NEXT) | instid1(VALU_DEP_3)
	v_mbcnt_lo_u32_b32 v13, v2, 0
	v_lshrrev_b32_e32 v1, 5, v1
	v_cmp_ne_u32_e64 s6, 0, v2
	s_delay_alu instid0(VALU_DEP_3) | instskip(NEXT) | instid1(VALU_DEP_3)
	v_cmp_eq_u32_e64 s5, 0, v13
	v_add_lshl_u32 v16, v1, v7, 2
	s_delay_alu instid0(VALU_DEP_2) | instskip(NEXT) | instid1(SALU_CYCLE_1)
	s_and_b32 s6, s6, s5
	s_and_saveexec_b32 s5, s6
	s_cbranch_execz .LBB192_11
; %bb.10:
	v_bcnt_u32_b32 v2, v2, 0
	ds_store_b32 v16, v2 offset:128
.LBB192_11:
	s_or_b32 exec_lo, exec_lo, s5
	v_cmp_gt_i16_e64 s5, 0, v6
	; wave barrier
	s_delay_alu instid0(VALU_DEP_1) | instskip(NEXT) | instid1(VALU_DEP_1)
	v_cndmask_b32_e64 v2, 0x7fff, 0, s5
	v_xor_b32_e32 v17, v2, v6
	s_delay_alu instid0(VALU_DEP_1) | instskip(NEXT) | instid1(VALU_DEP_1)
	v_cmp_ne_u16_e64 s5, 0x8000, v17
	v_cndmask_b32_e64 v2, 0x7fff, v17, s5
	s_delay_alu instid0(VALU_DEP_1) | instskip(NEXT) | instid1(VALU_DEP_1)
	v_and_b32_e32 v2, 0xffff, v2
	v_lshrrev_b32_e32 v2, s28, v2
	s_delay_alu instid0(VALU_DEP_1) | instskip(NEXT) | instid1(VALU_DEP_1)
	v_and_b32_e32 v2, s33, v2
	v_and_b32_e32 v6, 1, v2
	v_lshlrev_b32_e32 v7, 30, v2
	v_lshlrev_b32_e32 v8, 29, v2
	;; [unrolled: 1-line block ×4, first 2 shown]
	v_add_co_u32 v6, s5, v6, -1
	s_delay_alu instid0(VALU_DEP_1)
	v_cndmask_b32_e64 v18, 0, 1, s5
	v_not_b32_e32 v22, v7
	v_cmp_gt_i32_e64 s6, 0, v7
	v_not_b32_e32 v7, v8
	v_lshlrev_b32_e32 v20, 26, v2
	v_cmp_ne_u32_e64 s5, 0, v18
	v_ashrrev_i32_e32 v22, 31, v22
	v_lshlrev_b32_e32 v21, 25, v2
	v_ashrrev_i32_e32 v7, 31, v7
	v_lshlrev_b32_e32 v18, 24, v2
	v_xor_b32_e32 v6, s5, v6
	v_cmp_gt_i32_e64 s5, 0, v8
	v_not_b32_e32 v8, v9
	v_xor_b32_e32 v22, s6, v22
	v_cmp_gt_i32_e64 s6, 0, v9
	v_and_b32_e32 v6, exec_lo, v6
	v_not_b32_e32 v9, v19
	v_ashrrev_i32_e32 v8, 31, v8
	v_xor_b32_e32 v7, s5, v7
	v_cmp_gt_i32_e64 s5, 0, v19
	v_and_b32_e32 v6, v6, v22
	v_not_b32_e32 v19, v20
	v_ashrrev_i32_e32 v9, 31, v9
	v_xor_b32_e32 v8, s6, v8
	v_cmp_gt_i32_e64 s6, 0, v20
	v_and_b32_e32 v6, v6, v7
	;; [unrolled: 5-line block ×3, first 2 shown]
	v_not_b32_e32 v8, v18
	v_ashrrev_i32_e32 v7, 31, v7
	v_xor_b32_e32 v19, s6, v19
	v_mul_u32_u24_e32 v2, 33, v2
	v_and_b32_e32 v6, v6, v9
	v_cmp_gt_i32_e64 s6, 0, v18
	v_ashrrev_i32_e32 v8, 31, v8
	v_xor_b32_e32 v7, s5, v7
	v_add_lshl_u32 v21, v1, v2, 2
	v_and_b32_e32 v6, v6, v19
	s_delay_alu instid0(VALU_DEP_4) | instskip(SKIP_2) | instid1(VALU_DEP_1)
	v_xor_b32_e32 v2, s6, v8
	ds_load_b32 v18, v21 offset:128
	v_and_b32_e32 v6, v6, v7
	; wave barrier
	v_and_b32_e32 v2, v6, v2
	s_delay_alu instid0(VALU_DEP_1) | instskip(SKIP_1) | instid1(VALU_DEP_2)
	v_mbcnt_lo_u32_b32 v19, v2, 0
	v_cmp_ne_u32_e64 s6, 0, v2
	v_cmp_eq_u32_e64 s5, 0, v19
	s_delay_alu instid0(VALU_DEP_1) | instskip(NEXT) | instid1(SALU_CYCLE_1)
	s_and_b32 s6, s6, s5
	s_and_saveexec_b32 s5, s6
	s_cbranch_execz .LBB192_13
; %bb.12:
	s_waitcnt lgkmcnt(0)
	v_bcnt_u32_b32 v2, v2, v18
	ds_store_b32 v21, v2 offset:128
.LBB192_13:
	s_or_b32 exec_lo, exec_lo, s5
	v_cmp_gt_i16_e64 s5, 0, v4
	; wave barrier
	s_delay_alu instid0(VALU_DEP_1) | instskip(NEXT) | instid1(VALU_DEP_1)
	v_cndmask_b32_e64 v2, 0x7fff, 0, s5
	v_xor_b32_e32 v20, v2, v4
	s_delay_alu instid0(VALU_DEP_1) | instskip(NEXT) | instid1(VALU_DEP_1)
	v_cmp_ne_u16_e64 s5, 0x8000, v20
	v_cndmask_b32_e64 v2, 0x7fff, v20, s5
	s_delay_alu instid0(VALU_DEP_1) | instskip(NEXT) | instid1(VALU_DEP_1)
	v_and_b32_e32 v2, 0xffff, v2
	v_lshrrev_b32_e32 v2, s28, v2
	s_delay_alu instid0(VALU_DEP_1) | instskip(NEXT) | instid1(VALU_DEP_1)
	v_and_b32_e32 v2, s33, v2
	v_and_b32_e32 v4, 1, v2
	v_lshlrev_b32_e32 v6, 30, v2
	v_lshlrev_b32_e32 v7, 29, v2
	;; [unrolled: 1-line block ×4, first 2 shown]
	v_add_co_u32 v4, s5, v4, -1
	s_delay_alu instid0(VALU_DEP_1)
	v_cndmask_b32_e64 v9, 0, 1, s5
	v_not_b32_e32 v25, v6
	v_cmp_gt_i32_e64 s6, 0, v6
	v_not_b32_e32 v6, v7
	v_lshlrev_b32_e32 v23, 26, v2
	v_cmp_ne_u32_e64 s5, 0, v9
	v_ashrrev_i32_e32 v25, 31, v25
	v_lshlrev_b32_e32 v24, 25, v2
	v_ashrrev_i32_e32 v6, 31, v6
	v_lshlrev_b32_e32 v9, 24, v2
	v_xor_b32_e32 v4, s5, v4
	v_cmp_gt_i32_e64 s5, 0, v7
	v_not_b32_e32 v7, v8
	v_xor_b32_e32 v25, s6, v25
	v_cmp_gt_i32_e64 s6, 0, v8
	v_and_b32_e32 v4, exec_lo, v4
	v_not_b32_e32 v8, v22
	v_ashrrev_i32_e32 v7, 31, v7
	v_xor_b32_e32 v6, s5, v6
	v_cmp_gt_i32_e64 s5, 0, v22
	v_and_b32_e32 v4, v4, v25
	v_not_b32_e32 v22, v23
	v_ashrrev_i32_e32 v8, 31, v8
	v_xor_b32_e32 v7, s6, v7
	v_cmp_gt_i32_e64 s6, 0, v23
	v_and_b32_e32 v4, v4, v6
	;; [unrolled: 5-line block ×3, first 2 shown]
	v_not_b32_e32 v7, v9
	v_ashrrev_i32_e32 v6, 31, v6
	v_xor_b32_e32 v22, s6, v22
	v_mul_u32_u24_e32 v2, 33, v2
	v_and_b32_e32 v4, v4, v8
	v_cmp_gt_i32_e64 s6, 0, v9
	v_ashrrev_i32_e32 v7, 31, v7
	v_xor_b32_e32 v6, s5, v6
	s_delay_alu instid0(VALU_DEP_4) | instskip(SKIP_1) | instid1(VALU_DEP_4)
	v_and_b32_e32 v4, v4, v22
	v_add_lshl_u32 v22, v1, v2, 2
	v_xor_b32_e32 v2, s6, v7
	s_delay_alu instid0(VALU_DEP_3) | instskip(SKIP_2) | instid1(VALU_DEP_1)
	v_and_b32_e32 v4, v4, v6
	ds_load_b32 v23, v22 offset:128
	; wave barrier
	v_and_b32_e32 v2, v4, v2
	v_mbcnt_lo_u32_b32 v24, v2, 0
	v_cmp_ne_u32_e64 s6, 0, v2
	s_delay_alu instid0(VALU_DEP_2) | instskip(NEXT) | instid1(VALU_DEP_1)
	v_cmp_eq_u32_e64 s5, 0, v24
	s_and_b32 s6, s6, s5
	s_delay_alu instid0(SALU_CYCLE_1)
	s_and_saveexec_b32 s5, s6
	s_cbranch_execz .LBB192_15
; %bb.14:
	s_waitcnt lgkmcnt(0)
	v_bcnt_u32_b32 v2, v2, v23
	ds_store_b32 v22, v2 offset:128
.LBB192_15:
	s_or_b32 exec_lo, exec_lo, s5
	v_cmp_gt_i16_e64 s5, 0, v3
	; wave barrier
	v_add_nc_u32_e32 v29, 0x80, v15
	s_delay_alu instid0(VALU_DEP_2) | instskip(NEXT) | instid1(VALU_DEP_1)
	v_cndmask_b32_e64 v2, 0x7fff, 0, s5
	v_xor_b32_e32 v25, v2, v3
	s_delay_alu instid0(VALU_DEP_1) | instskip(NEXT) | instid1(VALU_DEP_1)
	v_cmp_ne_u16_e64 s5, 0x8000, v25
	v_cndmask_b32_e64 v2, 0x7fff, v25, s5
	s_delay_alu instid0(VALU_DEP_1) | instskip(NEXT) | instid1(VALU_DEP_1)
	v_and_b32_e32 v2, 0xffff, v2
	v_lshrrev_b32_e32 v2, s28, v2
	s_delay_alu instid0(VALU_DEP_1) | instskip(NEXT) | instid1(VALU_DEP_1)
	v_and_b32_e32 v2, s33, v2
	v_and_b32_e32 v3, 1, v2
	v_lshlrev_b32_e32 v4, 30, v2
	v_lshlrev_b32_e32 v6, 29, v2
	;; [unrolled: 1-line block ×4, first 2 shown]
	v_add_co_u32 v3, s5, v3, -1
	s_delay_alu instid0(VALU_DEP_1)
	v_cndmask_b32_e64 v8, 0, 1, s5
	v_not_b32_e32 v28, v4
	v_cmp_gt_i32_e64 s6, 0, v4
	v_not_b32_e32 v4, v6
	v_lshlrev_b32_e32 v26, 26, v2
	v_cmp_ne_u32_e64 s5, 0, v8
	v_ashrrev_i32_e32 v28, 31, v28
	v_lshlrev_b32_e32 v27, 25, v2
	v_ashrrev_i32_e32 v4, 31, v4
	v_lshlrev_b32_e32 v8, 24, v2
	v_xor_b32_e32 v3, s5, v3
	v_cmp_gt_i32_e64 s5, 0, v6
	v_not_b32_e32 v6, v7
	v_xor_b32_e32 v28, s6, v28
	v_cmp_gt_i32_e64 s6, 0, v7
	v_and_b32_e32 v3, exec_lo, v3
	v_not_b32_e32 v7, v9
	v_ashrrev_i32_e32 v6, 31, v6
	v_xor_b32_e32 v4, s5, v4
	v_cmp_gt_i32_e64 s5, 0, v9
	v_and_b32_e32 v3, v3, v28
	v_not_b32_e32 v9, v26
	v_ashrrev_i32_e32 v7, 31, v7
	v_xor_b32_e32 v6, s6, v6
	v_cmp_gt_i32_e64 s6, 0, v26
	v_and_b32_e32 v3, v3, v4
	v_not_b32_e32 v4, v27
	v_ashrrev_i32_e32 v9, 31, v9
	v_xor_b32_e32 v7, s5, v7
	v_cmp_gt_i32_e64 s5, 0, v27
	v_and_b32_e32 v3, v3, v6
	v_not_b32_e32 v6, v8
	v_ashrrev_i32_e32 v4, 31, v4
	v_xor_b32_e32 v9, s6, v9
	v_mul_u32_u24_e32 v2, 33, v2
	v_and_b32_e32 v3, v3, v7
	v_cmp_gt_i32_e64 s6, 0, v8
	v_ashrrev_i32_e32 v6, 31, v6
	v_xor_b32_e32 v4, s5, v4
	v_add_lshl_u32 v28, v2, v1, 2
	v_and_b32_e32 v3, v3, v9
	s_delay_alu instid0(VALU_DEP_4) | instskip(SKIP_2) | instid1(VALU_DEP_1)
	v_xor_b32_e32 v1, s6, v6
	ds_load_b32 v26, v28 offset:128
	v_and_b32_e32 v2, v3, v4
	; wave barrier
	v_and_b32_e32 v1, v2, v1
	s_delay_alu instid0(VALU_DEP_1) | instskip(SKIP_1) | instid1(VALU_DEP_2)
	v_mbcnt_lo_u32_b32 v27, v1, 0
	v_cmp_ne_u32_e64 s6, 0, v1
	v_cmp_eq_u32_e64 s5, 0, v27
	s_delay_alu instid0(VALU_DEP_1) | instskip(NEXT) | instid1(SALU_CYCLE_1)
	s_and_b32 s6, s6, s5
	s_and_saveexec_b32 s5, s6
	s_cbranch_execz .LBB192_17
; %bb.16:
	s_waitcnt lgkmcnt(0)
	v_bcnt_u32_b32 v1, v1, v26
	ds_store_b32 v28, v1 offset:128
.LBB192_17:
	s_or_b32 exec_lo, exec_lo, s5
	; wave barrier
	s_waitcnt lgkmcnt(0)
	s_barrier
	buffer_gl0_inv
	ds_load_2addr_b32 v[8:9], v15 offset0:32 offset1:33
	ds_load_2addr_b32 v[6:7], v29 offset0:2 offset1:3
	;; [unrolled: 1-line block ×4, first 2 shown]
	ds_load_b32 v30, v29 offset:32
	v_and_b32_e32 v33, 16, v14
	v_and_b32_e32 v34, 31, v5
	s_mov_b32 s11, exec_lo
	s_delay_alu instid0(VALU_DEP_2) | instskip(SKIP_3) | instid1(VALU_DEP_1)
	v_cmp_eq_u32_e64 s9, 0, v33
	s_waitcnt lgkmcnt(3)
	v_add3_u32 v31, v9, v8, v6
	s_waitcnt lgkmcnt(2)
	v_add3_u32 v31, v31, v7, v3
	s_waitcnt lgkmcnt(1)
	s_delay_alu instid0(VALU_DEP_1) | instskip(SKIP_1) | instid1(VALU_DEP_1)
	v_add3_u32 v31, v31, v4, v1
	s_waitcnt lgkmcnt(0)
	v_add3_u32 v30, v31, v2, v30
	v_and_b32_e32 v31, 15, v14
	s_delay_alu instid0(VALU_DEP_2) | instskip(NEXT) | instid1(VALU_DEP_2)
	v_mov_b32_dpp v32, v30 row_shr:1 row_mask:0xf bank_mask:0xf
	v_cmp_eq_u32_e64 s5, 0, v31
	v_cmp_lt_u32_e64 s6, 1, v31
	v_cmp_lt_u32_e64 s7, 3, v31
	;; [unrolled: 1-line block ×3, first 2 shown]
	s_delay_alu instid0(VALU_DEP_4) | instskip(NEXT) | instid1(VALU_DEP_1)
	v_cndmask_b32_e64 v32, v32, 0, s5
	v_add_nc_u32_e32 v30, v32, v30
	s_delay_alu instid0(VALU_DEP_1) | instskip(NEXT) | instid1(VALU_DEP_1)
	v_mov_b32_dpp v32, v30 row_shr:2 row_mask:0xf bank_mask:0xf
	v_cndmask_b32_e64 v32, 0, v32, s6
	s_delay_alu instid0(VALU_DEP_1) | instskip(NEXT) | instid1(VALU_DEP_1)
	v_add_nc_u32_e32 v30, v30, v32
	v_mov_b32_dpp v32, v30 row_shr:4 row_mask:0xf bank_mask:0xf
	s_delay_alu instid0(VALU_DEP_1) | instskip(NEXT) | instid1(VALU_DEP_1)
	v_cndmask_b32_e64 v32, 0, v32, s7
	v_add_nc_u32_e32 v30, v30, v32
	s_delay_alu instid0(VALU_DEP_1) | instskip(NEXT) | instid1(VALU_DEP_1)
	v_mov_b32_dpp v32, v30 row_shr:8 row_mask:0xf bank_mask:0xf
	v_cndmask_b32_e64 v31, 0, v32, s8
	v_bfe_i32 v32, v14, 4, 1
	s_delay_alu instid0(VALU_DEP_2) | instskip(SKIP_4) | instid1(VALU_DEP_2)
	v_add_nc_u32_e32 v30, v30, v31
	ds_swizzle_b32 v31, v30 offset:swizzle(BROADCAST,32,15)
	s_waitcnt lgkmcnt(0)
	v_and_b32_e32 v32, v32, v31
	v_lshrrev_b32_e32 v31, 5, v5
	v_add_nc_u32_e32 v30, v30, v32
	v_cmpx_eq_u32_e32 31, v34
	s_cbranch_execz .LBB192_19
; %bb.18:
	s_delay_alu instid0(VALU_DEP_3)
	v_lshlrev_b32_e32 v32, 2, v31
	ds_store_b32 v32, v30
.LBB192_19:
	s_or_b32 exec_lo, exec_lo, s11
	v_cmp_lt_u32_e64 s10, 31, v5
	s_mov_b32 s35, exec_lo
	s_waitcnt lgkmcnt(0)
	s_barrier
	buffer_gl0_inv
	v_cmpx_gt_u32_e32 32, v5
	s_cbranch_execz .LBB192_21
; %bb.20:
	ds_load_b32 v32, v12
	s_waitcnt lgkmcnt(0)
	v_mov_b32_dpp v33, v32 row_shr:1 row_mask:0xf bank_mask:0xf
	s_delay_alu instid0(VALU_DEP_1) | instskip(NEXT) | instid1(VALU_DEP_1)
	v_cndmask_b32_e64 v33, v33, 0, s5
	v_add_nc_u32_e32 v32, v33, v32
	s_delay_alu instid0(VALU_DEP_1) | instskip(NEXT) | instid1(VALU_DEP_1)
	v_mov_b32_dpp v33, v32 row_shr:2 row_mask:0xf bank_mask:0xf
	v_cndmask_b32_e64 v33, 0, v33, s6
	s_delay_alu instid0(VALU_DEP_1) | instskip(NEXT) | instid1(VALU_DEP_1)
	v_add_nc_u32_e32 v32, v32, v33
	v_mov_b32_dpp v33, v32 row_shr:4 row_mask:0xf bank_mask:0xf
	s_delay_alu instid0(VALU_DEP_1) | instskip(NEXT) | instid1(VALU_DEP_1)
	v_cndmask_b32_e64 v33, 0, v33, s7
	v_add_nc_u32_e32 v32, v32, v33
	s_delay_alu instid0(VALU_DEP_1) | instskip(NEXT) | instid1(VALU_DEP_1)
	v_mov_b32_dpp v33, v32 row_shr:8 row_mask:0xf bank_mask:0xf
	v_cndmask_b32_e64 v33, 0, v33, s8
	s_delay_alu instid0(VALU_DEP_1) | instskip(SKIP_3) | instid1(VALU_DEP_1)
	v_add_nc_u32_e32 v32, v32, v33
	ds_swizzle_b32 v33, v32 offset:swizzle(BROADCAST,32,15)
	s_waitcnt lgkmcnt(0)
	v_cndmask_b32_e64 v33, v33, 0, s9
	v_add_nc_u32_e32 v32, v32, v33
	ds_store_b32 v12, v32
.LBB192_21:
	s_or_b32 exec_lo, exec_lo, s35
	v_mov_b32_e32 v12, 0
	s_waitcnt lgkmcnt(0)
	s_barrier
	buffer_gl0_inv
	s_and_saveexec_b32 s5, s10
	s_cbranch_execz .LBB192_23
; %bb.22:
	v_lshl_add_u32 v12, v31, 2, -4
	ds_load_b32 v12, v12
.LBB192_23:
	s_or_b32 exec_lo, exec_lo, s5
	v_add_nc_u32_e32 v31, -1, v14
	s_waitcnt lgkmcnt(0)
	v_add_nc_u32_e32 v30, v12, v30
	s_delay_alu instid0(VALU_DEP_2) | instskip(NEXT) | instid1(VALU_DEP_1)
	v_cmp_gt_i32_e64 s5, 0, v31
	v_cndmask_b32_e64 v31, v31, v14, s5
	v_cmp_eq_u32_e64 s5, 0, v14
	s_delay_alu instid0(VALU_DEP_2) | instskip(SKIP_4) | instid1(VALU_DEP_1)
	v_lshlrev_b32_e32 v31, 2, v31
	ds_bpermute_b32 v30, v31, v30
	s_waitcnt lgkmcnt(0)
	v_cndmask_b32_e64 v12, v30, v12, s5
	v_cmp_ne_u32_e64 s5, 0, v5
	v_cndmask_b32_e64 v12, 0, v12, s5
	v_cmp_gt_u32_e64 s5, 0x100, v5
	s_delay_alu instid0(VALU_DEP_2) | instskip(NEXT) | instid1(VALU_DEP_1)
	v_add_nc_u32_e32 v8, v12, v8
	v_add_nc_u32_e32 v9, v8, v9
	s_delay_alu instid0(VALU_DEP_1) | instskip(NEXT) | instid1(VALU_DEP_1)
	v_add_nc_u32_e32 v6, v9, v6
	v_add_nc_u32_e32 v7, v6, v7
	s_delay_alu instid0(VALU_DEP_1) | instskip(NEXT) | instid1(VALU_DEP_1)
	;; [unrolled: 3-line block ×3, first 2 shown]
	v_add_nc_u32_e32 v1, v4, v1
	v_add_nc_u32_e32 v2, v1, v2
	ds_store_2addr_b32 v15, v12, v8 offset0:32 offset1:33
	ds_store_2addr_b32 v29, v9, v6 offset0:2 offset1:3
	;; [unrolled: 1-line block ×4, first 2 shown]
	ds_store_b32 v29, v2 offset:32
	s_waitcnt lgkmcnt(0)
	s_barrier
	buffer_gl0_inv
	ds_load_b32 v1, v16 offset:128
	ds_load_b32 v2, v21 offset:128
	;; [unrolled: 1-line block ×4, first 2 shown]
                                        ; implicit-def: $vgpr15
                                        ; implicit-def: $vgpr16
	s_and_saveexec_b32 s7, s5
	s_cbranch_execz .LBB192_27
; %bb.24:
	v_mul_u32_u24_e32 v6, 33, v5
	s_mov_b32 s8, exec_lo
	s_delay_alu instid0(VALU_DEP_1)
	v_dual_mov_b32 v6, 0x1000 :: v_dual_lshlrev_b32 v7, 2, v6
	ds_load_b32 v15, v7 offset:128
	v_cmpx_ne_u32_e32 0xff, v5
	s_cbranch_execz .LBB192_26
; %bb.25:
	ds_load_b32 v6, v7 offset:260
.LBB192_26:
	s_or_b32 exec_lo, exec_lo, s8
	s_waitcnt lgkmcnt(0)
	v_sub_nc_u32_e32 v16, v6, v15
.LBB192_27:
	s_or_b32 exec_lo, exec_lo, s7
	s_waitcnt lgkmcnt(3)
	v_add_nc_u32_e32 v22, v1, v13
	s_waitcnt lgkmcnt(2)
	v_add3_u32 v21, v19, v18, v2
	s_waitcnt lgkmcnt(1)
	v_add3_u32 v19, v24, v23, v3
	;; [unrolled: 2-line block ×3, first 2 shown]
	v_lshlrev_b32_e32 v1, 1, v22
	v_lshlrev_b32_e32 v2, 1, v21
	;; [unrolled: 1-line block ×3, first 2 shown]
	s_delay_alu instid0(VALU_DEP_4)
	v_lshlrev_b32_e32 v4, 1, v18
	s_barrier
	buffer_gl0_inv
	ds_store_b16 v1, v11 offset:2048
	ds_store_b16 v2, v17 offset:2048
	;; [unrolled: 1-line block ×4, first 2 shown]
	s_waitcnt lgkmcnt(0)
	s_barrier
	buffer_gl0_inv
	s_and_saveexec_b32 s7, s5
	s_cbranch_execz .LBB192_37
; %bb.28:
	v_lshl_or_b32 v3, s15, 8, v5
	v_mov_b32_e32 v4, 0
	v_mov_b32_e32 v8, 0
	s_mov_b32 s8, 0
	s_mov_b32 s9, s15
	s_delay_alu instid0(VALU_DEP_2) | instskip(SKIP_1) | instid1(VALU_DEP_2)
	v_lshlrev_b64 v[1:2], 2, v[3:4]
	v_or_b32_e32 v3, 2.0, v16
	v_add_co_u32 v1, s6, s12, v1
	s_delay_alu instid0(VALU_DEP_1)
	v_add_co_ci_u32_e64 v2, s6, s13, v2, s6
                                        ; implicit-def: $sgpr6
	global_store_b32 v[1:2], v3, off
	s_branch .LBB192_30
	.p2align	6
.LBB192_29:                             ;   in Loop: Header=BB192_30 Depth=1
	s_or_b32 exec_lo, exec_lo, s10
	v_and_b32_e32 v6, 0x3fffffff, v9
	v_cmp_eq_u32_e64 s6, 0x80000000, v3
	s_delay_alu instid0(VALU_DEP_2) | instskip(NEXT) | instid1(VALU_DEP_2)
	v_add_nc_u32_e32 v8, v6, v8
	s_and_b32 s10, exec_lo, s6
	s_delay_alu instid0(SALU_CYCLE_1) | instskip(NEXT) | instid1(SALU_CYCLE_1)
	s_or_b32 s8, s10, s8
	s_and_not1_b32 exec_lo, exec_lo, s8
	s_cbranch_execz .LBB192_36
.LBB192_30:                             ; =>This Loop Header: Depth=1
                                        ;     Child Loop BB192_33 Depth 2
	s_or_b32 s6, s6, exec_lo
	s_cmp_eq_u32 s9, 0
	s_cbranch_scc1 .LBB192_35
; %bb.31:                               ;   in Loop: Header=BB192_30 Depth=1
	s_add_i32 s9, s9, -1
	s_mov_b32 s10, exec_lo
	v_lshl_or_b32 v3, s9, 8, v5
	s_delay_alu instid0(VALU_DEP_1) | instskip(NEXT) | instid1(VALU_DEP_1)
	v_lshlrev_b64 v[6:7], 2, v[3:4]
	v_add_co_u32 v6, s6, s12, v6
	s_delay_alu instid0(VALU_DEP_1) | instskip(SKIP_3) | instid1(VALU_DEP_1)
	v_add_co_ci_u32_e64 v7, s6, s13, v7, s6
	global_load_b32 v9, v[6:7], off glc
	s_waitcnt vmcnt(0)
	v_and_b32_e32 v3, -2.0, v9
	v_cmpx_eq_u32_e32 0, v3
	s_cbranch_execz .LBB192_29
; %bb.32:                               ;   in Loop: Header=BB192_30 Depth=1
	s_mov_b32 s11, 0
.LBB192_33:                             ;   Parent Loop BB192_30 Depth=1
                                        ; =>  This Inner Loop Header: Depth=2
	global_load_b32 v9, v[6:7], off glc
	s_waitcnt vmcnt(0)
	v_and_b32_e32 v3, -2.0, v9
	s_delay_alu instid0(VALU_DEP_1) | instskip(NEXT) | instid1(VALU_DEP_1)
	v_cmp_ne_u32_e64 s6, 0, v3
	s_or_b32 s11, s6, s11
	s_delay_alu instid0(SALU_CYCLE_1)
	s_and_not1_b32 exec_lo, exec_lo, s11
	s_cbranch_execnz .LBB192_33
; %bb.34:                               ;   in Loop: Header=BB192_30 Depth=1
	s_or_b32 exec_lo, exec_lo, s11
	s_branch .LBB192_29
.LBB192_35:                             ;   in Loop: Header=BB192_30 Depth=1
                                        ; implicit-def: $sgpr9
	s_and_b32 s10, exec_lo, s6
	s_delay_alu instid0(SALU_CYCLE_1) | instskip(NEXT) | instid1(SALU_CYCLE_1)
	s_or_b32 s8, s10, s8
	s_and_not1_b32 exec_lo, exec_lo, s8
	s_cbranch_execnz .LBB192_30
.LBB192_36:
	s_or_b32 exec_lo, exec_lo, s8
	v_add_nc_u32_e32 v3, v8, v16
	v_lshlrev_b32_e32 v4, 3, v5
	s_delay_alu instid0(VALU_DEP_2) | instskip(SKIP_3) | instid1(VALU_DEP_1)
	v_or_b32_e32 v3, 0x80000000, v3
	global_store_b32 v[1:2], v3, off
	global_load_b64 v[1:2], v4, s[24:25]
	v_sub_co_u32 v3, s6, v8, v15
	v_sub_co_ci_u32_e64 v6, null, 0, 0, s6
	s_waitcnt vmcnt(0)
	s_delay_alu instid0(VALU_DEP_2) | instskip(NEXT) | instid1(VALU_DEP_1)
	v_add_co_u32 v1, s6, v3, v1
	v_add_co_ci_u32_e64 v2, s6, v6, v2, s6
	ds_store_b64 v4, v[1:2]
.LBB192_37:
	s_or_b32 exec_lo, exec_lo, s7
	v_cmp_gt_u32_e64 s6, s34, v5
	v_lshlrev_b32_e32 v24, 1, v5
	s_waitcnt lgkmcnt(0)
	s_waitcnt_vscnt null, 0x0
	s_barrier
	buffer_gl0_inv
	s_and_saveexec_b32 s8, s6
	s_cbranch_execz .LBB192_39
; %bb.38:
	ds_load_u16 v3, v24 offset:2048
	s_waitcnt lgkmcnt(0)
	v_cmp_ne_u16_e64 s7, 0x8000, v3
	s_delay_alu instid0(VALU_DEP_1) | instskip(SKIP_1) | instid1(VALU_DEP_2)
	v_cndmask_b32_e64 v1, 0x7fff, v3, s7
	v_cmp_gt_i16_e64 s7, 0, v3
	v_and_b32_e32 v1, 0xffff, v1
	s_delay_alu instid0(VALU_DEP_2) | instskip(NEXT) | instid1(VALU_DEP_2)
	v_cndmask_b32_e64 v4, 0x7fff, 0, s7
	v_lshrrev_b32_e32 v1, s28, v1
	s_delay_alu instid0(VALU_DEP_2) | instskip(NEXT) | instid1(VALU_DEP_2)
	v_xor_b32_e32 v3, v4, v3
	v_and_b32_e32 v1, s33, v1
	s_delay_alu instid0(VALU_DEP_1) | instskip(SKIP_3) | instid1(VALU_DEP_1)
	v_lshlrev_b32_e32 v1, 3, v1
	ds_load_b64 v[1:2], v1
	s_waitcnt lgkmcnt(0)
	v_lshlrev_b64 v[1:2], 1, v[1:2]
	v_add_co_u32 v1, s7, s18, v1
	s_delay_alu instid0(VALU_DEP_1) | instskip(NEXT) | instid1(VALU_DEP_2)
	v_add_co_ci_u32_e64 v2, s7, s19, v2, s7
	v_add_co_u32 v1, s7, v1, v24
	s_delay_alu instid0(VALU_DEP_1)
	v_add_co_ci_u32_e64 v2, s7, 0, v2, s7
	global_store_b16 v[1:2], v3, off
.LBB192_39:
	s_or_b32 exec_lo, exec_lo, s8
	v_or_b32_e32 v17, 0x400, v5
	s_delay_alu instid0(VALU_DEP_1) | instskip(NEXT) | instid1(VALU_DEP_1)
	v_cmp_gt_u32_e64 s7, s34, v17
	s_and_saveexec_b32 s9, s7
	s_cbranch_execz .LBB192_41
; %bb.40:
	ds_load_u16 v3, v24 offset:4096
	s_waitcnt lgkmcnt(0)
	v_cmp_ne_u16_e64 s8, 0x8000, v3
	s_delay_alu instid0(VALU_DEP_1) | instskip(SKIP_1) | instid1(VALU_DEP_2)
	v_cndmask_b32_e64 v1, 0x7fff, v3, s8
	v_cmp_gt_i16_e64 s8, 0, v3
	v_and_b32_e32 v1, 0xffff, v1
	s_delay_alu instid0(VALU_DEP_2) | instskip(NEXT) | instid1(VALU_DEP_2)
	v_cndmask_b32_e64 v4, 0x7fff, 0, s8
	v_lshrrev_b32_e32 v1, s28, v1
	s_delay_alu instid0(VALU_DEP_2) | instskip(NEXT) | instid1(VALU_DEP_2)
	v_xor_b32_e32 v3, v4, v3
	v_and_b32_e32 v1, s33, v1
	s_delay_alu instid0(VALU_DEP_1) | instskip(SKIP_3) | instid1(VALU_DEP_1)
	v_lshlrev_b32_e32 v1, 3, v1
	ds_load_b64 v[1:2], v1
	s_waitcnt lgkmcnt(0)
	v_lshlrev_b64 v[1:2], 1, v[1:2]
	v_add_co_u32 v1, s8, s18, v1
	s_delay_alu instid0(VALU_DEP_1) | instskip(NEXT) | instid1(VALU_DEP_2)
	v_add_co_ci_u32_e64 v2, s8, s19, v2, s8
	v_add_co_u32 v1, s8, v1, v24
	s_delay_alu instid0(VALU_DEP_1)
	v_add_co_ci_u32_e64 v2, s8, 0, v2, s8
	global_store_b16 v[1:2], v3, off offset:2048
.LBB192_41:
	s_or_b32 exec_lo, exec_lo, s9
	v_or_b32_e32 v20, 0x800, v5
	s_delay_alu instid0(VALU_DEP_1) | instskip(NEXT) | instid1(VALU_DEP_1)
	v_cmp_gt_u32_e64 s8, s34, v20
	s_and_saveexec_b32 s10, s8
	s_cbranch_execz .LBB192_43
; %bb.42:
	ds_load_u16 v3, v24 offset:6144
	v_lshlrev_b32_e32 v4, 1, v20
	s_waitcnt lgkmcnt(0)
	v_cmp_ne_u16_e64 s9, 0x8000, v3
	s_delay_alu instid0(VALU_DEP_1) | instskip(SKIP_1) | instid1(VALU_DEP_2)
	v_cndmask_b32_e64 v1, 0x7fff, v3, s9
	v_cmp_gt_i16_e64 s9, 0, v3
	v_and_b32_e32 v1, 0xffff, v1
	s_delay_alu instid0(VALU_DEP_2) | instskip(NEXT) | instid1(VALU_DEP_2)
	v_cndmask_b32_e64 v6, 0x7fff, 0, s9
	v_lshrrev_b32_e32 v1, s28, v1
	s_delay_alu instid0(VALU_DEP_2) | instskip(NEXT) | instid1(VALU_DEP_2)
	v_xor_b32_e32 v3, v6, v3
	v_and_b32_e32 v1, s33, v1
	s_delay_alu instid0(VALU_DEP_1) | instskip(SKIP_3) | instid1(VALU_DEP_1)
	v_lshlrev_b32_e32 v1, 3, v1
	ds_load_b64 v[1:2], v1
	s_waitcnt lgkmcnt(0)
	v_lshlrev_b64 v[1:2], 1, v[1:2]
	v_add_co_u32 v1, s9, s18, v1
	s_delay_alu instid0(VALU_DEP_1) | instskip(NEXT) | instid1(VALU_DEP_2)
	v_add_co_ci_u32_e64 v2, s9, s19, v2, s9
	v_add_co_u32 v1, s9, v1, v4
	s_delay_alu instid0(VALU_DEP_1)
	v_add_co_ci_u32_e64 v2, s9, 0, v2, s9
	global_store_b16 v[1:2], v3, off
.LBB192_43:
	s_or_b32 exec_lo, exec_lo, s10
	v_or_b32_e32 v23, 0xc00, v5
	s_delay_alu instid0(VALU_DEP_1) | instskip(NEXT) | instid1(VALU_DEP_1)
	v_cmp_gt_u32_e64 s9, s34, v23
	s_and_saveexec_b32 s11, s9
	s_cbranch_execz .LBB192_45
; %bb.44:
	ds_load_u16 v3, v24 offset:8192
	v_lshlrev_b32_e32 v4, 1, v23
	s_waitcnt lgkmcnt(0)
	v_cmp_ne_u16_e64 s10, 0x8000, v3
	s_delay_alu instid0(VALU_DEP_1) | instskip(SKIP_1) | instid1(VALU_DEP_2)
	v_cndmask_b32_e64 v1, 0x7fff, v3, s10
	v_cmp_gt_i16_e64 s10, 0, v3
	v_and_b32_e32 v1, 0xffff, v1
	s_delay_alu instid0(VALU_DEP_2) | instskip(NEXT) | instid1(VALU_DEP_2)
	v_cndmask_b32_e64 v6, 0x7fff, 0, s10
	v_lshrrev_b32_e32 v1, s28, v1
	s_delay_alu instid0(VALU_DEP_2) | instskip(NEXT) | instid1(VALU_DEP_2)
	v_xor_b32_e32 v3, v6, v3
	v_and_b32_e32 v1, s33, v1
	s_delay_alu instid0(VALU_DEP_1) | instskip(SKIP_3) | instid1(VALU_DEP_1)
	v_lshlrev_b32_e32 v1, 3, v1
	ds_load_b64 v[1:2], v1
	s_waitcnt lgkmcnt(0)
	v_lshlrev_b64 v[1:2], 1, v[1:2]
	v_add_co_u32 v1, s10, s18, v1
	s_delay_alu instid0(VALU_DEP_1) | instskip(NEXT) | instid1(VALU_DEP_2)
	v_add_co_ci_u32_e64 v2, s10, s19, v2, s10
	v_add_co_u32 v1, s10, v1, v4
	s_delay_alu instid0(VALU_DEP_1)
	v_add_co_ci_u32_e64 v2, s10, 0, v2, s10
	global_store_b16 v[1:2], v3, off
.LBB192_45:
	s_or_b32 exec_lo, exec_lo, s11
	v_lshlrev_b32_e32 v1, 3, v14
	s_lshl_b64 s[10:11], s[30:31], 3
	v_lshlrev_b32_e32 v2, 3, v10
	s_add_u32 s10, s20, s10
	s_addc_u32 s11, s21, s11
	v_add_co_u32 v1, s10, s10, v1
	s_delay_alu instid0(VALU_DEP_1) | instskip(NEXT) | instid1(VALU_DEP_2)
	v_add_co_ci_u32_e64 v3, null, s11, 0, s10
                                        ; implicit-def: $vgpr6_vgpr7
	v_add_co_u32 v1, s10, v1, v2
	s_delay_alu instid0(VALU_DEP_1) | instskip(SKIP_1) | instid1(SALU_CYCLE_1)
	v_add_co_ci_u32_e64 v2, s10, 0, v3, s10
	s_and_saveexec_b32 s10, vcc_lo
	s_xor_b32 s10, exec_lo, s10
	s_cbranch_execnz .LBB192_99
; %bb.46:
	s_or_b32 exec_lo, exec_lo, s10
                                        ; implicit-def: $vgpr8_vgpr9
	s_and_saveexec_b32 s10, s2
	s_cbranch_execnz .LBB192_100
.LBB192_47:
	s_or_b32 exec_lo, exec_lo, s10
                                        ; implicit-def: $vgpr10_vgpr11
	s_and_saveexec_b32 s2, s3
	s_cbranch_execnz .LBB192_101
.LBB192_48:
	s_or_b32 exec_lo, exec_lo, s2
                                        ; implicit-def: $vgpr12_vgpr13
	s_and_saveexec_b32 s2, s4
	s_cbranch_execnz .LBB192_102
.LBB192_49:
	s_or_b32 exec_lo, exec_lo, s2
                                        ; implicit-def: $vgpr1_vgpr2_vgpr3_vgpr4
	s_and_saveexec_b32 s2, s6
	s_cbranch_execnz .LBB192_103
.LBB192_50:
	s_or_b32 exec_lo, exec_lo, s2
	s_and_saveexec_b32 s2, s7
	s_cbranch_execnz .LBB192_104
.LBB192_51:
	s_or_b32 exec_lo, exec_lo, s2
	s_and_saveexec_b32 s2, s8
	s_cbranch_execnz .LBB192_105
.LBB192_52:
	s_or_b32 exec_lo, exec_lo, s2
	s_and_saveexec_b32 s2, s9
	s_cbranch_execz .LBB192_54
.LBB192_53:
	ds_load_u16 v4, v24 offset:8192
	s_waitcnt lgkmcnt(0)
	v_cmp_ne_u16_e32 vcc_lo, 0x8000, v4
	v_cndmask_b32_e32 v4, 0x7fff, v4, vcc_lo
	s_delay_alu instid0(VALU_DEP_1) | instskip(NEXT) | instid1(VALU_DEP_1)
	v_and_b32_e32 v4, 0xffff, v4
	v_lshrrev_b32_e32 v4, s28, v4
	s_delay_alu instid0(VALU_DEP_1)
	v_and_b32_e32 v4, s33, v4
.LBB192_54:
	s_or_b32 exec_lo, exec_lo, s2
	v_lshlrev_b32_e32 v22, 3, v22
	v_lshlrev_b32_e32 v21, 3, v21
	;; [unrolled: 1-line block ×3, first 2 shown]
	s_waitcnt vmcnt(0)
	s_waitcnt_vscnt null, 0x0
	s_barrier
	buffer_gl0_inv
	v_lshlrev_b32_e32 v18, 3, v18
	ds_store_b64 v22, v[6:7] offset:2048
	ds_store_b64 v21, v[8:9] offset:2048
	;; [unrolled: 1-line block ×3, first 2 shown]
	v_lshlrev_b32_e32 v6, 3, v5
	ds_store_b64 v18, v[12:13] offset:2048
	s_waitcnt lgkmcnt(0)
	s_barrier
	buffer_gl0_inv
	s_and_saveexec_b32 s2, s6
	s_cbranch_execnz .LBB192_106
; %bb.55:
	s_or_b32 exec_lo, exec_lo, s2
	s_and_saveexec_b32 s2, s7
	s_cbranch_execnz .LBB192_107
.LBB192_56:
	s_or_b32 exec_lo, exec_lo, s2
	s_and_saveexec_b32 s2, s8
	s_cbranch_execnz .LBB192_108
.LBB192_57:
	s_or_b32 exec_lo, exec_lo, s2
	s_and_saveexec_b32 s2, s9
	s_cbranch_execz .LBB192_59
.LBB192_58:
	v_lshlrev_b32_e32 v1, 3, v4
	ds_load_b64 v[1:2], v1
	ds_load_b64 v[3:4], v6 offset:26624
	v_lshlrev_b32_e32 v6, 3, v23
	s_waitcnt lgkmcnt(1)
	v_lshlrev_b64 v[1:2], 3, v[1:2]
	s_delay_alu instid0(VALU_DEP_1) | instskip(NEXT) | instid1(VALU_DEP_2)
	v_add_co_u32 v1, vcc_lo, s22, v1
	v_add_co_ci_u32_e32 v2, vcc_lo, s23, v2, vcc_lo
	s_delay_alu instid0(VALU_DEP_2) | instskip(NEXT) | instid1(VALU_DEP_2)
	v_add_co_u32 v1, vcc_lo, v1, v6
	v_add_co_ci_u32_e32 v2, vcc_lo, 0, v2, vcc_lo
	s_waitcnt lgkmcnt(0)
	global_store_b64 v[1:2], v[3:4], off
.LBB192_59:
	s_or_b32 exec_lo, exec_lo, s2
	s_add_i32 s14, s14, -1
	s_mov_b32 s2, 0
	s_cmp_eq_u32 s15, s14
	s_mov_b32 s8, 0
	s_cselect_b32 s3, -1, 0
                                        ; implicit-def: $vgpr2_vgpr3
	s_delay_alu instid0(SALU_CYCLE_1) | instskip(NEXT) | instid1(SALU_CYCLE_1)
	s_and_b32 s3, s5, s3
	s_and_saveexec_b32 s4, s3
	s_delay_alu instid0(SALU_CYCLE_1)
	s_xor_b32 s3, exec_lo, s4
; %bb.60:
	v_add_co_u32 v2, s4, v15, v16
	v_mov_b32_e32 v6, 0
	v_add_co_ci_u32_e64 v3, null, 0, 0, s4
	s_mov_b32 s8, exec_lo
; %bb.61:
	s_or_b32 exec_lo, exec_lo, s3
	s_delay_alu instid0(SALU_CYCLE_1)
	s_and_b32 vcc_lo, exec_lo, s2
	s_cbranch_vccnz .LBB192_63
	s_branch .LBB192_96
.LBB192_62:
	s_mov_b32 s8, 0
                                        ; implicit-def: $vgpr2_vgpr3
	s_cbranch_execz .LBB192_96
.LBB192_63:
	v_lshlrev_b32_e32 v11, 2, v5
	s_lshl_b32 s6, s15, 12
	s_mov_b32 s7, 0
	v_lshlrev_b32_e32 v1, 1, v14
	s_lshl_b64 s[2:3], s[6:7], 1
	v_dual_mov_b32 v9, 0 :: v_dual_and_b32 v4, 0xf80, v11
	s_add_u32 s2, s16, s2
	s_addc_u32 s3, s17, s3
	v_add_co_u32 v1, s2, s2, v1
	s_delay_alu instid0(VALU_DEP_2) | instskip(SKIP_1) | instid1(VALU_DEP_2)
	v_lshlrev_b32_e32 v2, 1, v4
	v_add_co_ci_u32_e64 v3, null, s3, 0, s2
	v_add_co_u32 v6, vcc_lo, v1, v2
	s_delay_alu instid0(VALU_DEP_2)
	v_add_co_ci_u32_e32 v7, vcc_lo, 0, v3, vcc_lo
	global_load_u16 v8, v[6:7], off
	s_clause 0x1
	s_load_b32 s2, s[0:1], 0x5c
	s_load_b32 s9, s[0:1], 0x50
	s_add_u32 s0, s0, 0x50
	s_addc_u32 s1, s1, 0
	s_waitcnt lgkmcnt(0)
	s_lshr_b32 s2, s2, 16
	s_cmp_lt_u32 s15, s9
	s_cselect_b32 s3, 12, 18
	s_delay_alu instid0(SALU_CYCLE_1)
	s_add_u32 s0, s0, s3
	s_addc_u32 s1, s1, 0
	global_load_u16 v12, v9, s[0:1]
	s_clause 0x2
	global_load_u16 v3, v[6:7], off offset:64
	global_load_u16 v2, v[6:7], off offset:128
	;; [unrolled: 1-line block ×3, first 2 shown]
	s_lshl_b32 s0, -1, s29
	s_delay_alu instid0(SALU_CYCLE_1) | instskip(SKIP_3) | instid1(VALU_DEP_1)
	s_not_b32 s10, s0
	s_waitcnt vmcnt(4)
	v_cmp_gt_i16_e32 vcc_lo, 0, v8
	v_cndmask_b32_e64 v6, 0x7fff, 0, vcc_lo
	v_xor_b32_e32 v10, v6, v8
	s_delay_alu instid0(VALU_DEP_1) | instskip(SKIP_1) | instid1(VALU_DEP_1)
	v_cmp_ne_u16_e32 vcc_lo, 0x8000, v10
	v_cndmask_b32_e32 v6, 0x7fff, v10, vcc_lo
	v_and_b32_e32 v6, 0xffff, v6
	s_delay_alu instid0(VALU_DEP_1) | instskip(NEXT) | instid1(VALU_DEP_1)
	v_lshrrev_b32_e32 v6, s28, v6
	v_and_b32_e32 v13, s10, v6
	v_bfe_u32 v6, v0, 10, 10
	v_bfe_u32 v0, v0, 20, 10
	s_delay_alu instid0(VALU_DEP_3)
	v_and_b32_e32 v7, 1, v13
	v_lshlrev_b32_e32 v8, 30, v13
	v_lshlrev_b32_e32 v15, 29, v13
	;; [unrolled: 1-line block ×4, first 2 shown]
	v_add_co_u32 v7, s0, v7, -1
	s_delay_alu instid0(VALU_DEP_1)
	v_cndmask_b32_e64 v17, 0, 1, s0
	v_not_b32_e32 v21, v8
	v_cmp_gt_i32_e64 s0, 0, v8
	v_not_b32_e32 v8, v15
	v_lshlrev_b32_e32 v19, 26, v13
	v_cmp_ne_u32_e32 vcc_lo, 0, v17
	v_ashrrev_i32_e32 v21, 31, v21
	v_lshlrev_b32_e32 v20, 25, v13
	v_ashrrev_i32_e32 v8, 31, v8
	v_lshlrev_b32_e32 v17, 24, v13
	v_xor_b32_e32 v7, vcc_lo, v7
	v_cmp_gt_i32_e32 vcc_lo, 0, v15
	v_not_b32_e32 v15, v16
	v_xor_b32_e32 v21, s0, v21
	v_cmp_gt_i32_e64 s0, 0, v16
	v_and_b32_e32 v7, exec_lo, v7
	v_not_b32_e32 v16, v18
	v_ashrrev_i32_e32 v15, 31, v15
	v_xor_b32_e32 v8, vcc_lo, v8
	v_cmp_gt_i32_e32 vcc_lo, 0, v18
	v_and_b32_e32 v7, v7, v21
	v_not_b32_e32 v18, v19
	v_ashrrev_i32_e32 v16, 31, v16
	v_xor_b32_e32 v15, s0, v15
	v_cmp_gt_i32_e64 s0, 0, v19
	v_and_b32_e32 v7, v7, v8
	v_not_b32_e32 v8, v20
	v_ashrrev_i32_e32 v18, 31, v18
	v_xor_b32_e32 v16, vcc_lo, v16
	v_cmp_gt_i32_e32 vcc_lo, 0, v20
	v_and_b32_e32 v7, v7, v15
	v_not_b32_e32 v15, v17
	v_ashrrev_i32_e32 v8, 31, v8
	v_xor_b32_e32 v18, s0, v18
	v_cmp_gt_i32_e64 s0, 0, v17
	v_and_b32_e32 v7, v7, v16
	v_ashrrev_i32_e32 v15, 31, v15
	v_xor_b32_e32 v8, vcc_lo, v8
	v_mad_u32_u24 v0, v0, s2, v6
	v_mul_u32_u24_e32 v16, 9, v5
	v_and_b32_e32 v7, v7, v18
	v_xor_b32_e32 v6, s0, v15
	s_delay_alu instid0(VALU_DEP_3) | instskip(NEXT) | instid1(VALU_DEP_3)
	v_lshlrev_b32_e32 v15, 2, v16
	v_and_b32_e32 v17, v7, v8
	s_waitcnt vmcnt(3)
	s_delay_alu instid0(VALU_DEP_3)
	v_mad_u64_u32 v[7:8], null, v0, v12, v[5:6]
	ds_store_2addr_b32 v15, v9, v9 offset0:32 offset1:33
	ds_store_2addr_b32 v15, v9, v9 offset0:34 offset1:35
	;; [unrolled: 1-line block ×4, first 2 shown]
	v_and_b32_e32 v6, v17, v6
	ds_store_b32 v15, v9 offset:160
	s_waitcnt vmcnt(0) lgkmcnt(0)
	s_waitcnt_vscnt null, 0x0
	s_barrier
	v_lshrrev_b32_e32 v0, 5, v7
	v_mbcnt_lo_u32_b32 v12, v6, 0
	v_mul_u32_u24_e32 v7, 33, v13
	v_cmp_ne_u32_e64 s0, 0, v6
	buffer_gl0_inv
	v_cmp_eq_u32_e32 vcc_lo, 0, v12
	v_add_lshl_u32 v16, v0, v7, 2
	; wave barrier
	s_and_b32 s1, s0, vcc_lo
	s_delay_alu instid0(SALU_CYCLE_1)
	s_and_saveexec_b32 s0, s1
	s_cbranch_execz .LBB192_65
; %bb.64:
	v_bcnt_u32_b32 v6, v6, 0
	ds_store_b32 v16, v6 offset:128
.LBB192_65:
	s_or_b32 exec_lo, exec_lo, s0
	v_cmp_gt_i16_e32 vcc_lo, 0, v3
	; wave barrier
	v_cndmask_b32_e64 v6, 0x7fff, 0, vcc_lo
	s_delay_alu instid0(VALU_DEP_1) | instskip(NEXT) | instid1(VALU_DEP_1)
	v_xor_b32_e32 v13, v6, v3
	v_cmp_ne_u16_e32 vcc_lo, 0x8000, v13
	v_cndmask_b32_e32 v3, 0x7fff, v13, vcc_lo
	s_delay_alu instid0(VALU_DEP_1) | instskip(NEXT) | instid1(VALU_DEP_1)
	v_and_b32_e32 v3, 0xffff, v3
	v_lshrrev_b32_e32 v3, s28, v3
	s_delay_alu instid0(VALU_DEP_1) | instskip(NEXT) | instid1(VALU_DEP_1)
	v_and_b32_e32 v3, s10, v3
	v_and_b32_e32 v6, 1, v3
	v_lshlrev_b32_e32 v7, 30, v3
	v_lshlrev_b32_e32 v8, 29, v3
	;; [unrolled: 1-line block ×4, first 2 shown]
	v_add_co_u32 v6, s0, v6, -1
	s_delay_alu instid0(VALU_DEP_1)
	v_cndmask_b32_e64 v17, 0, 1, s0
	v_not_b32_e32 v21, v7
	v_cmp_gt_i32_e64 s0, 0, v7
	v_not_b32_e32 v7, v8
	v_lshlrev_b32_e32 v19, 26, v3
	v_cmp_ne_u32_e32 vcc_lo, 0, v17
	v_ashrrev_i32_e32 v21, 31, v21
	v_lshlrev_b32_e32 v20, 25, v3
	v_ashrrev_i32_e32 v7, 31, v7
	v_lshlrev_b32_e32 v17, 24, v3
	v_xor_b32_e32 v6, vcc_lo, v6
	v_cmp_gt_i32_e32 vcc_lo, 0, v8
	v_not_b32_e32 v8, v9
	v_xor_b32_e32 v21, s0, v21
	v_cmp_gt_i32_e64 s0, 0, v9
	v_and_b32_e32 v6, exec_lo, v6
	v_not_b32_e32 v9, v18
	v_ashrrev_i32_e32 v8, 31, v8
	v_xor_b32_e32 v7, vcc_lo, v7
	v_cmp_gt_i32_e32 vcc_lo, 0, v18
	v_and_b32_e32 v6, v6, v21
	v_not_b32_e32 v18, v19
	v_ashrrev_i32_e32 v9, 31, v9
	v_xor_b32_e32 v8, s0, v8
	v_cmp_gt_i32_e64 s0, 0, v19
	v_and_b32_e32 v6, v6, v7
	v_not_b32_e32 v7, v20
	v_ashrrev_i32_e32 v18, 31, v18
	v_xor_b32_e32 v9, vcc_lo, v9
	v_cmp_gt_i32_e32 vcc_lo, 0, v20
	v_and_b32_e32 v6, v6, v8
	v_not_b32_e32 v8, v17
	v_ashrrev_i32_e32 v7, 31, v7
	v_xor_b32_e32 v18, s0, v18
	v_mul_u32_u24_e32 v3, 33, v3
	v_and_b32_e32 v6, v6, v9
	v_cmp_gt_i32_e64 s0, 0, v17
	v_ashrrev_i32_e32 v8, 31, v8
	v_xor_b32_e32 v7, vcc_lo, v7
	v_add_lshl_u32 v20, v0, v3, 2
	v_and_b32_e32 v6, v6, v18
	s_delay_alu instid0(VALU_DEP_4) | instskip(SKIP_2) | instid1(VALU_DEP_1)
	v_xor_b32_e32 v3, s0, v8
	ds_load_b32 v17, v20 offset:128
	v_and_b32_e32 v6, v6, v7
	; wave barrier
	v_and_b32_e32 v3, v6, v3
	s_delay_alu instid0(VALU_DEP_1) | instskip(SKIP_1) | instid1(VALU_DEP_2)
	v_mbcnt_lo_u32_b32 v18, v3, 0
	v_cmp_ne_u32_e64 s0, 0, v3
	v_cmp_eq_u32_e32 vcc_lo, 0, v18
	s_delay_alu instid0(VALU_DEP_2) | instskip(NEXT) | instid1(SALU_CYCLE_1)
	s_and_b32 s1, s0, vcc_lo
	s_and_saveexec_b32 s0, s1
	s_cbranch_execz .LBB192_67
; %bb.66:
	s_waitcnt lgkmcnt(0)
	v_bcnt_u32_b32 v3, v3, v17
	ds_store_b32 v20, v3 offset:128
.LBB192_67:
	s_or_b32 exec_lo, exec_lo, s0
	v_cmp_gt_i16_e32 vcc_lo, 0, v2
	; wave barrier
	v_cndmask_b32_e64 v3, 0x7fff, 0, vcc_lo
	s_delay_alu instid0(VALU_DEP_1) | instskip(NEXT) | instid1(VALU_DEP_1)
	v_xor_b32_e32 v19, v3, v2
	v_cmp_ne_u16_e32 vcc_lo, 0x8000, v19
	v_cndmask_b32_e32 v2, 0x7fff, v19, vcc_lo
	s_delay_alu instid0(VALU_DEP_1) | instskip(NEXT) | instid1(VALU_DEP_1)
	v_and_b32_e32 v2, 0xffff, v2
	v_lshrrev_b32_e32 v2, s28, v2
	s_delay_alu instid0(VALU_DEP_1) | instskip(NEXT) | instid1(VALU_DEP_1)
	v_and_b32_e32 v2, s10, v2
	v_and_b32_e32 v3, 1, v2
	v_lshlrev_b32_e32 v6, 30, v2
	v_lshlrev_b32_e32 v7, 29, v2
	;; [unrolled: 1-line block ×4, first 2 shown]
	v_add_co_u32 v3, s0, v3, -1
	s_delay_alu instid0(VALU_DEP_1)
	v_cndmask_b32_e64 v9, 0, 1, s0
	v_not_b32_e32 v24, v6
	v_cmp_gt_i32_e64 s0, 0, v6
	v_not_b32_e32 v6, v7
	v_lshlrev_b32_e32 v22, 26, v2
	v_cmp_ne_u32_e32 vcc_lo, 0, v9
	v_ashrrev_i32_e32 v24, 31, v24
	v_lshlrev_b32_e32 v23, 25, v2
	v_ashrrev_i32_e32 v6, 31, v6
	v_lshlrev_b32_e32 v9, 24, v2
	v_xor_b32_e32 v3, vcc_lo, v3
	v_cmp_gt_i32_e32 vcc_lo, 0, v7
	v_not_b32_e32 v7, v8
	v_xor_b32_e32 v24, s0, v24
	v_cmp_gt_i32_e64 s0, 0, v8
	v_and_b32_e32 v3, exec_lo, v3
	v_not_b32_e32 v8, v21
	v_ashrrev_i32_e32 v7, 31, v7
	v_xor_b32_e32 v6, vcc_lo, v6
	v_cmp_gt_i32_e32 vcc_lo, 0, v21
	v_and_b32_e32 v3, v3, v24
	v_not_b32_e32 v21, v22
	v_ashrrev_i32_e32 v8, 31, v8
	v_xor_b32_e32 v7, s0, v7
	v_cmp_gt_i32_e64 s0, 0, v22
	v_and_b32_e32 v3, v3, v6
	v_not_b32_e32 v6, v23
	v_ashrrev_i32_e32 v21, 31, v21
	v_xor_b32_e32 v8, vcc_lo, v8
	v_cmp_gt_i32_e32 vcc_lo, 0, v23
	v_and_b32_e32 v3, v3, v7
	v_not_b32_e32 v7, v9
	v_ashrrev_i32_e32 v6, 31, v6
	v_xor_b32_e32 v21, s0, v21
	v_mul_u32_u24_e32 v2, 33, v2
	v_and_b32_e32 v3, v3, v8
	v_cmp_gt_i32_e64 s0, 0, v9
	v_ashrrev_i32_e32 v7, 31, v7
	v_xor_b32_e32 v6, vcc_lo, v6
	v_add_lshl_u32 v24, v2, v0, 2
	v_and_b32_e32 v3, v3, v21
	s_delay_alu instid0(VALU_DEP_4) | instskip(SKIP_2) | instid1(VALU_DEP_1)
	v_xor_b32_e32 v2, s0, v7
	ds_load_b32 v21, v24 offset:128
	v_and_b32_e32 v3, v3, v6
	; wave barrier
	v_and_b32_e32 v2, v3, v2
	s_delay_alu instid0(VALU_DEP_1) | instskip(SKIP_1) | instid1(VALU_DEP_2)
	v_mbcnt_lo_u32_b32 v22, v2, 0
	v_cmp_ne_u32_e64 s0, 0, v2
	v_cmp_eq_u32_e32 vcc_lo, 0, v22
	s_delay_alu instid0(VALU_DEP_2) | instskip(NEXT) | instid1(SALU_CYCLE_1)
	s_and_b32 s1, s0, vcc_lo
	s_and_saveexec_b32 s0, s1
	s_cbranch_execz .LBB192_69
; %bb.68:
	s_waitcnt lgkmcnt(0)
	v_bcnt_u32_b32 v2, v2, v21
	ds_store_b32 v24, v2 offset:128
.LBB192_69:
	s_or_b32 exec_lo, exec_lo, s0
	v_cmp_gt_i16_e32 vcc_lo, 0, v1
	; wave barrier
	v_add_nc_u32_e32 v28, 0x80, v15
	v_cndmask_b32_e64 v2, 0x7fff, 0, vcc_lo
	s_delay_alu instid0(VALU_DEP_1) | instskip(NEXT) | instid1(VALU_DEP_1)
	v_xor_b32_e32 v23, v2, v1
	v_cmp_ne_u16_e32 vcc_lo, 0x8000, v23
	v_cndmask_b32_e32 v1, 0x7fff, v23, vcc_lo
	s_delay_alu instid0(VALU_DEP_1) | instskip(NEXT) | instid1(VALU_DEP_1)
	v_and_b32_e32 v1, 0xffff, v1
	v_lshrrev_b32_e32 v1, s28, v1
	s_delay_alu instid0(VALU_DEP_1) | instskip(NEXT) | instid1(VALU_DEP_1)
	v_and_b32_e32 v1, s10, v1
	v_and_b32_e32 v2, 1, v1
	v_lshlrev_b32_e32 v3, 30, v1
	v_lshlrev_b32_e32 v6, 29, v1
	;; [unrolled: 1-line block ×4, first 2 shown]
	v_add_co_u32 v2, s0, v2, -1
	s_delay_alu instid0(VALU_DEP_1)
	v_cndmask_b32_e64 v8, 0, 1, s0
	v_not_b32_e32 v27, v3
	v_cmp_gt_i32_e64 s0, 0, v3
	v_not_b32_e32 v3, v6
	v_lshlrev_b32_e32 v25, 26, v1
	v_cmp_ne_u32_e32 vcc_lo, 0, v8
	v_ashrrev_i32_e32 v27, 31, v27
	v_lshlrev_b32_e32 v26, 25, v1
	v_ashrrev_i32_e32 v3, 31, v3
	v_lshlrev_b32_e32 v8, 24, v1
	v_xor_b32_e32 v2, vcc_lo, v2
	v_cmp_gt_i32_e32 vcc_lo, 0, v6
	v_not_b32_e32 v6, v7
	v_xor_b32_e32 v27, s0, v27
	v_cmp_gt_i32_e64 s0, 0, v7
	v_and_b32_e32 v2, exec_lo, v2
	v_not_b32_e32 v7, v9
	v_ashrrev_i32_e32 v6, 31, v6
	v_xor_b32_e32 v3, vcc_lo, v3
	v_cmp_gt_i32_e32 vcc_lo, 0, v9
	v_and_b32_e32 v2, v2, v27
	v_not_b32_e32 v9, v25
	v_ashrrev_i32_e32 v7, 31, v7
	v_xor_b32_e32 v6, s0, v6
	v_cmp_gt_i32_e64 s0, 0, v25
	v_and_b32_e32 v2, v2, v3
	v_not_b32_e32 v3, v26
	v_ashrrev_i32_e32 v9, 31, v9
	v_xor_b32_e32 v7, vcc_lo, v7
	v_cmp_gt_i32_e32 vcc_lo, 0, v26
	v_and_b32_e32 v2, v2, v6
	v_not_b32_e32 v6, v8
	v_ashrrev_i32_e32 v3, 31, v3
	v_xor_b32_e32 v9, s0, v9
	v_mul_u32_u24_e32 v1, 33, v1
	v_and_b32_e32 v2, v2, v7
	v_cmp_gt_i32_e64 s0, 0, v8
	v_ashrrev_i32_e32 v6, 31, v6
	v_xor_b32_e32 v3, vcc_lo, v3
	v_add_lshl_u32 v27, v1, v0, 2
	v_and_b32_e32 v2, v2, v9
	s_delay_alu instid0(VALU_DEP_4) | instskip(SKIP_2) | instid1(VALU_DEP_1)
	v_xor_b32_e32 v0, s0, v6
	ds_load_b32 v25, v27 offset:128
	v_and_b32_e32 v1, v2, v3
	; wave barrier
	v_and_b32_e32 v0, v1, v0
	s_delay_alu instid0(VALU_DEP_1) | instskip(SKIP_1) | instid1(VALU_DEP_2)
	v_mbcnt_lo_u32_b32 v26, v0, 0
	v_cmp_ne_u32_e64 s0, 0, v0
	v_cmp_eq_u32_e32 vcc_lo, 0, v26
	s_delay_alu instid0(VALU_DEP_2) | instskip(NEXT) | instid1(SALU_CYCLE_1)
	s_and_b32 s1, s0, vcc_lo
	s_and_saveexec_b32 s0, s1
	s_cbranch_execz .LBB192_71
; %bb.70:
	s_waitcnt lgkmcnt(0)
	v_bcnt_u32_b32 v0, v0, v25
	ds_store_b32 v27, v0 offset:128
.LBB192_71:
	s_or_b32 exec_lo, exec_lo, s0
	; wave barrier
	s_waitcnt lgkmcnt(0)
	s_barrier
	buffer_gl0_inv
	ds_load_2addr_b32 v[8:9], v15 offset0:32 offset1:33
	ds_load_2addr_b32 v[6:7], v28 offset0:2 offset1:3
	;; [unrolled: 1-line block ×4, first 2 shown]
	ds_load_b32 v29, v28 offset:32
	v_and_b32_e32 v32, 16, v14
	v_and_b32_e32 v33, 31, v5
	s_mov_b32 s5, exec_lo
	s_delay_alu instid0(VALU_DEP_2) | instskip(SKIP_3) | instid1(VALU_DEP_1)
	v_cmp_eq_u32_e64 s3, 0, v32
	s_waitcnt lgkmcnt(3)
	v_add3_u32 v30, v9, v8, v6
	s_waitcnt lgkmcnt(2)
	v_add3_u32 v30, v30, v7, v2
	s_waitcnt lgkmcnt(1)
	s_delay_alu instid0(VALU_DEP_1) | instskip(SKIP_1) | instid1(VALU_DEP_1)
	v_add3_u32 v30, v30, v3, v0
	s_waitcnt lgkmcnt(0)
	v_add3_u32 v29, v30, v1, v29
	v_and_b32_e32 v30, 15, v14
	s_delay_alu instid0(VALU_DEP_2) | instskip(NEXT) | instid1(VALU_DEP_2)
	v_mov_b32_dpp v31, v29 row_shr:1 row_mask:0xf bank_mask:0xf
	v_cmp_eq_u32_e32 vcc_lo, 0, v30
	v_cmp_lt_u32_e64 s0, 1, v30
	v_cmp_lt_u32_e64 s1, 3, v30
	;; [unrolled: 1-line block ×3, first 2 shown]
	v_cndmask_b32_e64 v31, v31, 0, vcc_lo
	s_delay_alu instid0(VALU_DEP_1) | instskip(NEXT) | instid1(VALU_DEP_1)
	v_add_nc_u32_e32 v29, v31, v29
	v_mov_b32_dpp v31, v29 row_shr:2 row_mask:0xf bank_mask:0xf
	s_delay_alu instid0(VALU_DEP_1) | instskip(NEXT) | instid1(VALU_DEP_1)
	v_cndmask_b32_e64 v31, 0, v31, s0
	v_add_nc_u32_e32 v29, v29, v31
	s_delay_alu instid0(VALU_DEP_1) | instskip(NEXT) | instid1(VALU_DEP_1)
	v_mov_b32_dpp v31, v29 row_shr:4 row_mask:0xf bank_mask:0xf
	v_cndmask_b32_e64 v31, 0, v31, s1
	s_delay_alu instid0(VALU_DEP_1) | instskip(NEXT) | instid1(VALU_DEP_1)
	v_add_nc_u32_e32 v29, v29, v31
	v_mov_b32_dpp v31, v29 row_shr:8 row_mask:0xf bank_mask:0xf
	s_delay_alu instid0(VALU_DEP_1) | instskip(SKIP_1) | instid1(VALU_DEP_2)
	v_cndmask_b32_e64 v30, 0, v31, s2
	v_bfe_i32 v31, v14, 4, 1
	v_add_nc_u32_e32 v29, v29, v30
	ds_swizzle_b32 v30, v29 offset:swizzle(BROADCAST,32,15)
	s_waitcnt lgkmcnt(0)
	v_and_b32_e32 v31, v31, v30
	v_lshrrev_b32_e32 v30, 5, v5
	s_delay_alu instid0(VALU_DEP_2)
	v_add_nc_u32_e32 v29, v29, v31
	v_cmpx_eq_u32_e32 31, v33
	s_cbranch_execz .LBB192_73
; %bb.72:
	s_delay_alu instid0(VALU_DEP_3)
	v_lshlrev_b32_e32 v31, 2, v30
	ds_store_b32 v31, v29
.LBB192_73:
	s_or_b32 exec_lo, exec_lo, s5
	v_cmp_lt_u32_e64 s4, 31, v5
	s_mov_b32 s11, exec_lo
	s_waitcnt lgkmcnt(0)
	s_barrier
	buffer_gl0_inv
	v_cmpx_gt_u32_e32 32, v5
	s_cbranch_execz .LBB192_75
; %bb.74:
	ds_load_b32 v31, v11
	s_waitcnt lgkmcnt(0)
	v_mov_b32_dpp v32, v31 row_shr:1 row_mask:0xf bank_mask:0xf
	s_delay_alu instid0(VALU_DEP_1) | instskip(NEXT) | instid1(VALU_DEP_1)
	v_cndmask_b32_e64 v32, v32, 0, vcc_lo
	v_add_nc_u32_e32 v31, v32, v31
	s_delay_alu instid0(VALU_DEP_1) | instskip(NEXT) | instid1(VALU_DEP_1)
	v_mov_b32_dpp v32, v31 row_shr:2 row_mask:0xf bank_mask:0xf
	v_cndmask_b32_e64 v32, 0, v32, s0
	s_delay_alu instid0(VALU_DEP_1) | instskip(NEXT) | instid1(VALU_DEP_1)
	v_add_nc_u32_e32 v31, v31, v32
	v_mov_b32_dpp v32, v31 row_shr:4 row_mask:0xf bank_mask:0xf
	s_delay_alu instid0(VALU_DEP_1) | instskip(NEXT) | instid1(VALU_DEP_1)
	v_cndmask_b32_e64 v32, 0, v32, s1
	v_add_nc_u32_e32 v31, v31, v32
	s_delay_alu instid0(VALU_DEP_1) | instskip(NEXT) | instid1(VALU_DEP_1)
	v_mov_b32_dpp v32, v31 row_shr:8 row_mask:0xf bank_mask:0xf
	v_cndmask_b32_e64 v32, 0, v32, s2
	s_delay_alu instid0(VALU_DEP_1) | instskip(SKIP_3) | instid1(VALU_DEP_1)
	v_add_nc_u32_e32 v31, v31, v32
	ds_swizzle_b32 v32, v31 offset:swizzle(BROADCAST,32,15)
	s_waitcnt lgkmcnt(0)
	v_cndmask_b32_e64 v32, v32, 0, s3
	v_add_nc_u32_e32 v31, v31, v32
	ds_store_b32 v11, v31
.LBB192_75:
	s_or_b32 exec_lo, exec_lo, s11
	v_mov_b32_e32 v11, 0
	s_waitcnt lgkmcnt(0)
	s_barrier
	buffer_gl0_inv
	s_and_saveexec_b32 s0, s4
	s_cbranch_execz .LBB192_77
; %bb.76:
	v_lshl_add_u32 v11, v30, 2, -4
	ds_load_b32 v11, v11
.LBB192_77:
	s_or_b32 exec_lo, exec_lo, s0
	v_add_nc_u32_e32 v30, -1, v14
	v_cmp_lt_u32_e64 s0, 0xff, v5
	s_waitcnt lgkmcnt(0)
	v_add_nc_u32_e32 v29, v11, v29
	s_delay_alu instid0(VALU_DEP_3) | instskip(SKIP_2) | instid1(VALU_DEP_2)
	v_cmp_gt_i32_e32 vcc_lo, 0, v30
	v_cndmask_b32_e32 v30, v30, v14, vcc_lo
	v_cmp_eq_u32_e32 vcc_lo, 0, v14
	v_lshlrev_b32_e32 v30, 2, v30
	ds_bpermute_b32 v29, v30, v29
	s_waitcnt lgkmcnt(0)
	v_cndmask_b32_e32 v11, v29, v11, vcc_lo
	v_cmp_ne_u32_e32 vcc_lo, 0, v5
	s_delay_alu instid0(VALU_DEP_2) | instskip(SKIP_1) | instid1(VALU_DEP_2)
	v_cndmask_b32_e32 v11, 0, v11, vcc_lo
	v_cmp_gt_u32_e32 vcc_lo, 0x100, v5
	v_add_nc_u32_e32 v8, v11, v8
	s_delay_alu instid0(VALU_DEP_1) | instskip(NEXT) | instid1(VALU_DEP_1)
	v_add_nc_u32_e32 v9, v8, v9
	v_add_nc_u32_e32 v6, v9, v6
	s_delay_alu instid0(VALU_DEP_1) | instskip(NEXT) | instid1(VALU_DEP_1)
	v_add_nc_u32_e32 v7, v6, v7
	;; [unrolled: 3-line block ×3, first 2 shown]
	v_add_nc_u32_e32 v0, v3, v0
	s_delay_alu instid0(VALU_DEP_1)
	v_add_nc_u32_e32 v1, v0, v1
	ds_store_2addr_b32 v15, v11, v8 offset0:32 offset1:33
	ds_store_2addr_b32 v28, v9, v6 offset0:2 offset1:3
	;; [unrolled: 1-line block ×4, first 2 shown]
	ds_store_b32 v28, v1 offset:32
	v_mov_b32_e32 v0, 0
	s_waitcnt lgkmcnt(0)
	s_barrier
	buffer_gl0_inv
	ds_load_b32 v2, v16 offset:128
	ds_load_b32 v3, v20 offset:128
	;; [unrolled: 1-line block ×4, first 2 shown]
	v_mov_b32_e32 v1, 0
                                        ; implicit-def: $vgpr11
	s_and_saveexec_b32 s2, vcc_lo
	s_cbranch_execz .LBB192_81
; %bb.78:
	v_mul_u32_u24_e32 v0, 33, v5
	s_mov_b32 s3, exec_lo
	s_delay_alu instid0(VALU_DEP_1)
	v_dual_mov_b32 v1, 0x1000 :: v_dual_lshlrev_b32 v8, 2, v0
	ds_load_b32 v0, v8 offset:128
	v_cmpx_ne_u32_e32 0xff, v5
	s_cbranch_execz .LBB192_80
; %bb.79:
	ds_load_b32 v1, v8 offset:260
.LBB192_80:
	s_or_b32 exec_lo, exec_lo, s3
	s_waitcnt lgkmcnt(0)
	v_sub_nc_u32_e32 v11, v1, v0
	v_mov_b32_e32 v1, 0
.LBB192_81:
	s_or_b32 exec_lo, exec_lo, s2
	s_waitcnt lgkmcnt(3)
	v_add_nc_u32_e32 v20, v2, v12
	s_waitcnt lgkmcnt(1)
	v_add3_u32 v15, v22, v21, v6
	v_add3_u32 v16, v18, v17, v3
	s_waitcnt lgkmcnt(0)
	v_add3_u32 v12, v26, v25, v7
	v_lshlrev_b32_e32 v2, 1, v20
	v_lshlrev_b32_e32 v6, 1, v15
	;; [unrolled: 1-line block ×3, first 2 shown]
	s_delay_alu instid0(VALU_DEP_4)
	v_lshlrev_b32_e32 v7, 1, v12
	s_barrier
	buffer_gl0_inv
	ds_store_b16 v2, v10 offset:2048
	ds_store_b16 v3, v13 offset:2048
	;; [unrolled: 1-line block ×4, first 2 shown]
	s_waitcnt lgkmcnt(0)
	s_barrier
	buffer_gl0_inv
	s_and_saveexec_b32 s1, s0
	s_delay_alu instid0(SALU_CYCLE_1)
	s_xor_b32 s0, exec_lo, s1
; %bb.82:
	v_mov_b32_e32 v6, 0
; %bb.83:
	s_and_not1_saveexec_b32 s1, s0
	s_cbranch_execz .LBB192_93
; %bb.84:
	v_lshl_or_b32 v6, s15, 8, v5
	v_dual_mov_b32 v7, 0 :: v_dual_mov_b32 v10, 0
	s_mov_b32 s2, 0
	s_mov_b32 s3, s15
	s_delay_alu instid0(VALU_DEP_1) | instskip(SKIP_1) | instid1(VALU_DEP_2)
	v_lshlrev_b64 v[2:3], 2, v[6:7]
	v_or_b32_e32 v6, 2.0, v11
	v_add_co_u32 v2, s0, s12, v2
	s_delay_alu instid0(VALU_DEP_1)
	v_add_co_ci_u32_e64 v3, s0, s13, v3, s0
                                        ; implicit-def: $sgpr0
	global_store_b32 v[2:3], v6, off
	s_branch .LBB192_87
	.p2align	6
.LBB192_85:                             ;   in Loop: Header=BB192_87 Depth=1
	s_or_b32 exec_lo, exec_lo, s5
.LBB192_86:                             ;   in Loop: Header=BB192_87 Depth=1
	s_delay_alu instid0(SALU_CYCLE_1) | instskip(SKIP_2) | instid1(VALU_DEP_2)
	s_or_b32 exec_lo, exec_lo, s4
	v_and_b32_e32 v8, 0x3fffffff, v13
	v_cmp_eq_u32_e64 s0, 0x80000000, v6
	v_add_nc_u32_e32 v10, v8, v10
	s_delay_alu instid0(VALU_DEP_2) | instskip(NEXT) | instid1(SALU_CYCLE_1)
	s_and_b32 s4, exec_lo, s0
	s_or_b32 s2, s4, s2
	s_delay_alu instid0(SALU_CYCLE_1)
	s_and_not1_b32 exec_lo, exec_lo, s2
	s_cbranch_execz .LBB192_92
.LBB192_87:                             ; =>This Loop Header: Depth=1
                                        ;     Child Loop BB192_90 Depth 2
	s_or_b32 s0, s0, exec_lo
	s_cmp_eq_u32 s3, 0
	s_cbranch_scc1 .LBB192_91
; %bb.88:                               ;   in Loop: Header=BB192_87 Depth=1
	s_add_i32 s3, s3, -1
	s_mov_b32 s4, exec_lo
	v_lshl_or_b32 v6, s3, 8, v5
	s_delay_alu instid0(VALU_DEP_1) | instskip(NEXT) | instid1(VALU_DEP_1)
	v_lshlrev_b64 v[8:9], 2, v[6:7]
	v_add_co_u32 v8, s0, s12, v8
	s_delay_alu instid0(VALU_DEP_1) | instskip(SKIP_3) | instid1(VALU_DEP_1)
	v_add_co_ci_u32_e64 v9, s0, s13, v9, s0
	global_load_b32 v13, v[8:9], off glc
	s_waitcnt vmcnt(0)
	v_and_b32_e32 v6, -2.0, v13
	v_cmpx_eq_u32_e32 0, v6
	s_cbranch_execz .LBB192_86
; %bb.89:                               ;   in Loop: Header=BB192_87 Depth=1
	s_mov_b32 s5, 0
.LBB192_90:                             ;   Parent Loop BB192_87 Depth=1
                                        ; =>  This Inner Loop Header: Depth=2
	global_load_b32 v13, v[8:9], off glc
	s_waitcnt vmcnt(0)
	v_and_b32_e32 v6, -2.0, v13
	s_delay_alu instid0(VALU_DEP_1) | instskip(NEXT) | instid1(VALU_DEP_1)
	v_cmp_ne_u32_e64 s0, 0, v6
	s_or_b32 s5, s0, s5
	s_delay_alu instid0(SALU_CYCLE_1)
	s_and_not1_b32 exec_lo, exec_lo, s5
	s_cbranch_execnz .LBB192_90
	s_branch .LBB192_85
.LBB192_91:                             ;   in Loop: Header=BB192_87 Depth=1
                                        ; implicit-def: $sgpr3
	s_and_b32 s4, exec_lo, s0
	s_delay_alu instid0(SALU_CYCLE_1) | instskip(NEXT) | instid1(SALU_CYCLE_1)
	s_or_b32 s2, s4, s2
	s_and_not1_b32 exec_lo, exec_lo, s2
	s_cbranch_execnz .LBB192_87
.LBB192_92:
	s_or_b32 exec_lo, exec_lo, s2
	v_add_nc_u32_e32 v6, v10, v11
	v_lshlrev_b32_e32 v7, 3, v5
	s_delay_alu instid0(VALU_DEP_2) | instskip(SKIP_3) | instid1(VALU_DEP_1)
	v_or_b32_e32 v6, 0x80000000, v6
	global_store_b32 v[2:3], v6, off
	global_load_b64 v[2:3], v7, s[24:25]
	v_sub_co_u32 v6, s0, v10, v0
	v_sub_co_ci_u32_e64 v8, s0, 0, v1, s0
	s_waitcnt vmcnt(0)
	s_delay_alu instid0(VALU_DEP_2) | instskip(SKIP_1) | instid1(VALU_DEP_3)
	v_add_co_u32 v2, s0, v6, v2
	v_mov_b32_e32 v6, 0
	v_add_co_ci_u32_e64 v3, s0, v8, v3, s0
	ds_store_b64 v7, v[2:3]
.LBB192_93:
	s_or_b32 exec_lo, exec_lo, s1
	v_lshlrev_b32_e32 v19, 1, v5
	s_waitcnt lgkmcnt(0)
	s_waitcnt_vscnt null, 0x0
	s_barrier
	buffer_gl0_inv
	v_lshlrev_b32_e32 v21, 1, v5
	ds_load_u16 v13, v19 offset:8192
	ds_load_u16 v22, v21 offset:2048
	;; [unrolled: 1-line block ×3, first 2 shown]
	v_lshlrev_b32_e32 v14, 3, v14
	s_lshl_b64 s[2:3], s[6:7], 3
	v_lshlrev_b64 v[17:18], 1, v[5:6]
	s_add_u32 s1, s20, s2
	s_addc_u32 s2, s21, s3
	v_or_b32_e32 v29, 0xc00, v5
	v_or_b32_e32 v28, 0x800, v5
	v_lshlrev_b32_e32 v4, 3, v4
	v_lshlrev_b32_e32 v16, 3, v16
	;; [unrolled: 1-line block ×6, first 2 shown]
	s_add_i32 s9, s9, -1
	s_delay_alu instid0(SALU_CYCLE_1) | instskip(SKIP_2) | instid1(VALU_DEP_1)
	s_cmp_eq_u32 s15, s9
	s_waitcnt lgkmcnt(2)
	v_cmp_ne_u16_e64 s0, 0x8000, v13
	v_cndmask_b32_e64 v2, 0x7fff, v13, s0
	s_waitcnt lgkmcnt(1)
	v_cmp_ne_u16_e64 s0, 0x8000, v22
	s_delay_alu instid0(VALU_DEP_2) | instskip(NEXT) | instid1(VALU_DEP_2)
	v_and_b32_e32 v2, 0xffff, v2
	v_cndmask_b32_e64 v3, 0x7fff, v22, s0
	s_waitcnt lgkmcnt(0)
	v_cmp_ne_u16_e64 s0, 0x8000, v23
	s_delay_alu instid0(VALU_DEP_3) | instskip(NEXT) | instid1(VALU_DEP_3)
	v_lshrrev_b32_e32 v2, s28, v2
	v_and_b32_e32 v3, 0xffff, v3
	s_delay_alu instid0(VALU_DEP_3) | instskip(NEXT) | instid1(VALU_DEP_3)
	v_cndmask_b32_e64 v7, 0x7fff, v23, s0
	v_and_b32_e32 v2, s10, v2
	s_delay_alu instid0(VALU_DEP_3) | instskip(NEXT) | instid1(VALU_DEP_3)
	v_lshrrev_b32_e32 v8, s28, v3
	v_and_b32_e32 v7, 0xffff, v7
	s_delay_alu instid0(VALU_DEP_3) | instskip(NEXT) | instid1(VALU_DEP_3)
	v_lshlrev_b32_e32 v24, 3, v2
	v_and_b32_e32 v8, s10, v8
	s_delay_alu instid0(VALU_DEP_3) | instskip(SKIP_4) | instid1(VALU_DEP_1)
	v_lshrrev_b32_e32 v7, s28, v7
	ds_load_b64 v[2:3], v24
	ds_load_u16 v25, v19 offset:6144
	v_lshlrev_b32_e32 v27, 3, v8
	v_and_b32_e32 v7, s10, v7
	v_lshlrev_b32_e32 v26, 3, v7
	ds_load_b64 v[7:8], v26
	ds_load_b64 v[9:10], v27
	s_waitcnt lgkmcnt(3)
	v_lshlrev_b64 v[2:3], 1, v[2:3]
	s_waitcnt lgkmcnt(2)
	v_cmp_ne_u16_e64 s0, 0x8000, v25
	s_delay_alu instid0(VALU_DEP_1) | instskip(SKIP_1) | instid1(VALU_DEP_2)
	v_cndmask_b32_e64 v30, 0x7fff, v25, s0
	v_cmp_gt_i16_e64 s0, 0, v22
	v_and_b32_e32 v30, 0xffff, v30
	s_delay_alu instid0(VALU_DEP_2)
	v_cndmask_b32_e64 v33, 0x7fff, 0, s0
	v_cmp_gt_i16_e64 s0, 0, v23
	s_waitcnt lgkmcnt(0)
	v_lshlrev_b64 v[9:10], 1, v[9:10]
	v_lshlrev_b64 v[7:8], 1, v[7:8]
	v_lshrrev_b32_e32 v30, s28, v30
	v_xor_b32_e32 v22, v33, v22
	v_cndmask_b32_e64 v34, 0x7fff, 0, s0
	v_cmp_gt_i16_e64 s0, 0, v13
	s_delay_alu instid0(VALU_DEP_4) | instskip(NEXT) | instid1(VALU_DEP_3)
	v_and_b32_e32 v30, s10, v30
	v_xor_b32_e32 v23, v34, v23
	s_delay_alu instid0(VALU_DEP_3) | instskip(SKIP_1) | instid1(VALU_DEP_4)
	v_cndmask_b32_e64 v35, 0x7fff, 0, s0
	v_add_co_u32 v36, s0, s1, v14
	v_lshlrev_b32_e32 v30, 3, v30
	v_add_co_ci_u32_e64 v37, null, s2, 0, s0
	s_delay_alu instid0(VALU_DEP_4) | instskip(SKIP_3) | instid1(SALU_CYCLE_1)
	v_xor_b32_e32 v33, v35, v13
	v_cmp_gt_i16_e64 s0, 0, v25
	ds_load_b64 v[13:14], v30
	s_cselect_b32 s1, -1, 0
	s_and_b32 s1, vcc_lo, s1
	v_cndmask_b32_e64 v34, 0x7fff, 0, s0
	v_add_co_u32 v9, s0, s18, v9
	s_delay_alu instid0(VALU_DEP_1) | instskip(NEXT) | instid1(VALU_DEP_3)
	v_add_co_ci_u32_e64 v10, s0, s19, v10, s0
	v_xor_b32_e32 v25, v34, v25
	v_add_co_u32 v34, s0, s18, v7
	s_delay_alu instid0(VALU_DEP_1) | instskip(SKIP_1) | instid1(VALU_DEP_1)
	v_add_co_ci_u32_e64 v35, s0, s19, v8, s0
	v_add_co_u32 v38, s0, s18, v2
	v_add_co_ci_u32_e64 v39, s0, s19, v3, s0
	v_add_co_u32 v2, s0, v9, v17
	s_waitcnt lgkmcnt(0)
	v_lshlrev_b64 v[7:8], 1, v[13:14]
	v_add_co_ci_u32_e64 v3, s0, v10, v18, s0
	v_add_co_u32 v9, s0, v34, v17
	s_delay_alu instid0(VALU_DEP_1) | instskip(NEXT) | instid1(VALU_DEP_4)
	v_add_co_ci_u32_e64 v10, s0, v35, v18, s0
	v_add_co_u32 v13, s0, s18, v7
	s_delay_alu instid0(VALU_DEP_1) | instskip(SKIP_1) | instid1(VALU_DEP_1)
	v_add_co_ci_u32_e64 v14, s0, s19, v8, s0
	v_add_co_u32 v7, s0, v38, v32
	v_add_co_ci_u32_e64 v8, s0, 0, v39, s0
	s_delay_alu instid0(VALU_DEP_4) | instskip(NEXT) | instid1(VALU_DEP_1)
	v_add_co_u32 v13, s0, v13, v31
	v_add_co_ci_u32_e64 v14, s0, 0, v14, s0
	v_add_co_u32 v17, s0, v36, v4
	s_delay_alu instid0(VALU_DEP_1)
	v_add_co_ci_u32_e64 v18, s0, 0, v37, s0
	s_clause 0x3
	global_store_b16 v[2:3], v22, off
	global_store_b16 v[9:10], v23, off offset:2048
	global_store_b16 v[13:14], v25, off
	global_store_b16 v[7:8], v33, off
	s_clause 0x3
	global_load_b64 v[2:3], v[17:18], off
	global_load_b64 v[7:8], v[17:18], off offset:256
	global_load_b64 v[9:10], v[17:18], off offset:512
	;; [unrolled: 1-line block ×3, first 2 shown]
	v_lshlrev_b32_e32 v4, 3, v20
	s_waitcnt vmcnt(0)
	s_waitcnt_vscnt null, 0x0
	s_barrier
	buffer_gl0_inv
	v_mad_i32_i24 v20, v5, 6, v21
	v_lshlrev_b32_e32 v25, 3, v28
	ds_store_b64 v4, v[2:3] offset:2048
	ds_store_b64 v16, v[7:8] offset:2048
	ds_store_b64 v15, v[9:10] offset:2048
	ds_store_b64 v12, v[13:14] offset:2048
	s_waitcnt lgkmcnt(0)
	s_barrier
	buffer_gl0_inv
	ds_load_b64 v[2:3], v27
	ds_load_b64 v[12:13], v26
	;; [unrolled: 1-line block ×4, first 2 shown]
	v_or_b32_e32 v4, 0x800, v19
	v_lshlrev_b64 v[18:19], 3, v[5:6]
	v_lshl_or_b32 v24, v5, 3, 0x2000
	v_lshlrev_b32_e32 v26, 3, v29
	s_delay_alu instid0(VALU_DEP_4)
	v_mad_u32_u24 v4, v5, 6, v4
	ds_load_2addr_stride64_b64 v[7:10], v4 offset0:16 offset1:32
	ds_load_b64 v[20:21], v20 offset:2048
	ds_load_b64 v[22:23], v4 offset:24576
	s_waitcnt lgkmcnt(6)
	v_lshlrev_b64 v[2:3], 3, v[2:3]
	s_waitcnt lgkmcnt(5)
	v_lshlrev_b64 v[12:13], 3, v[12:13]
	;; [unrolled: 2-line block ×4, first 2 shown]
	v_add_co_u32 v2, s0, s22, v2
	s_delay_alu instid0(VALU_DEP_1) | instskip(SKIP_1) | instid1(VALU_DEP_1)
	v_add_co_ci_u32_e64 v3, s0, s23, v3, s0
	v_add_co_u32 v4, s0, s22, v12
	v_add_co_ci_u32_e64 v13, s0, s23, v13, s0
	v_add_co_u32 v14, s0, s22, v14
	s_delay_alu instid0(VALU_DEP_1) | instskip(SKIP_1) | instid1(VALU_DEP_1)
	v_add_co_ci_u32_e64 v15, s0, s23, v15, s0
	v_add_co_u32 v16, s0, s22, v16
	v_add_co_ci_u32_e64 v17, s0, s23, v17, s0
	;; [unrolled: 5-line block ×4, first 2 shown]
	s_waitcnt lgkmcnt(1)
	s_clause 0x2
	global_store_b64 v[2:3], v[20:21], off
	global_store_b64 v[12:13], v[7:8], off
	;; [unrolled: 1-line block ×3, first 2 shown]
	s_waitcnt lgkmcnt(0)
	global_store_b64 v[16:17], v[22:23], off
                                        ; implicit-def: $vgpr2_vgpr3
	s_and_saveexec_b32 s0, s1
; %bb.94:
	v_add_co_u32 v2, vcc_lo, v0, v11
	v_add_co_ci_u32_e32 v3, vcc_lo, 0, v1, vcc_lo
	s_or_b32 s8, s8, exec_lo
; %bb.95:
	s_or_b32 exec_lo, exec_lo, s0
.LBB192_96:
	s_and_saveexec_b32 s0, s8
	s_cbranch_execnz .LBB192_98
; %bb.97:
	s_nop 0
	s_sendmsg sendmsg(MSG_DEALLOC_VGPRS)
	s_endpgm
.LBB192_98:
	v_lshlrev_b32_e32 v0, 3, v5
	v_lshlrev_b64 v[4:5], 3, v[5:6]
	ds_load_b64 v[0:1], v0
	v_add_co_u32 v4, vcc_lo, s26, v4
	v_add_co_ci_u32_e32 v5, vcc_lo, s27, v5, vcc_lo
	s_waitcnt lgkmcnt(0)
	v_add_co_u32 v0, vcc_lo, v0, v2
	v_add_co_ci_u32_e32 v1, vcc_lo, v1, v3, vcc_lo
	global_store_b64 v[4:5], v[0:1], off
	s_nop 0
	s_sendmsg sendmsg(MSG_DEALLOC_VGPRS)
	s_endpgm
.LBB192_99:
	global_load_b64 v[6:7], v[1:2], off
	s_or_b32 exec_lo, exec_lo, s10
                                        ; implicit-def: $vgpr8_vgpr9
	s_and_saveexec_b32 s10, s2
	s_cbranch_execz .LBB192_47
.LBB192_100:
	global_load_b64 v[8:9], v[1:2], off offset:256
	s_or_b32 exec_lo, exec_lo, s10
                                        ; implicit-def: $vgpr10_vgpr11
	s_and_saveexec_b32 s2, s3
	s_cbranch_execz .LBB192_48
.LBB192_101:
	global_load_b64 v[10:11], v[1:2], off offset:512
	s_or_b32 exec_lo, exec_lo, s2
                                        ; implicit-def: $vgpr12_vgpr13
	s_and_saveexec_b32 s2, s4
	s_cbranch_execz .LBB192_49
.LBB192_102:
	global_load_b64 v[12:13], v[1:2], off offset:768
	s_or_b32 exec_lo, exec_lo, s2
                                        ; implicit-def: $vgpr1_vgpr2_vgpr3_vgpr4
	s_and_saveexec_b32 s2, s6
	s_cbranch_execz .LBB192_50
.LBB192_103:
	ds_load_u16 v1, v24 offset:2048
	s_waitcnt lgkmcnt(0)
	v_cmp_ne_u16_e32 vcc_lo, 0x8000, v1
	v_cndmask_b32_e32 v1, 0x7fff, v1, vcc_lo
	s_delay_alu instid0(VALU_DEP_1) | instskip(NEXT) | instid1(VALU_DEP_1)
	v_and_b32_e32 v1, 0xffff, v1
	v_lshrrev_b32_e32 v1, s28, v1
	s_delay_alu instid0(VALU_DEP_1)
	v_and_b32_e32 v1, s33, v1
	s_or_b32 exec_lo, exec_lo, s2
	s_and_saveexec_b32 s2, s7
	s_cbranch_execz .LBB192_51
.LBB192_104:
	ds_load_u16 v2, v24 offset:4096
	s_waitcnt lgkmcnt(0)
	v_cmp_ne_u16_e32 vcc_lo, 0x8000, v2
	v_cndmask_b32_e32 v2, 0x7fff, v2, vcc_lo
	s_delay_alu instid0(VALU_DEP_1) | instskip(NEXT) | instid1(VALU_DEP_1)
	v_and_b32_e32 v2, 0xffff, v2
	v_lshrrev_b32_e32 v2, s28, v2
	s_delay_alu instid0(VALU_DEP_1)
	v_and_b32_e32 v2, s33, v2
	s_or_b32 exec_lo, exec_lo, s2
	s_and_saveexec_b32 s2, s8
	s_cbranch_execz .LBB192_52
.LBB192_105:
	ds_load_u16 v3, v24 offset:6144
	s_waitcnt lgkmcnt(0)
	v_cmp_ne_u16_e32 vcc_lo, 0x8000, v3
	v_cndmask_b32_e32 v3, 0x7fff, v3, vcc_lo
	s_delay_alu instid0(VALU_DEP_1) | instskip(NEXT) | instid1(VALU_DEP_1)
	v_and_b32_e32 v3, 0xffff, v3
	v_lshrrev_b32_e32 v3, s28, v3
	s_delay_alu instid0(VALU_DEP_1)
	v_and_b32_e32 v3, s33, v3
	s_or_b32 exec_lo, exec_lo, s2
	s_and_saveexec_b32 s2, s9
	s_cbranch_execnz .LBB192_53
	s_branch .LBB192_54
.LBB192_106:
	v_lshlrev_b32_e32 v1, 3, v1
	ds_load_b64 v[7:8], v1
	ds_load_b64 v[9:10], v6 offset:2048
	s_waitcnt lgkmcnt(1)
	v_lshlrev_b64 v[7:8], 3, v[7:8]
	s_delay_alu instid0(VALU_DEP_1) | instskip(NEXT) | instid1(VALU_DEP_2)
	v_add_co_u32 v1, vcc_lo, s22, v7
	v_add_co_ci_u32_e32 v8, vcc_lo, s23, v8, vcc_lo
	s_delay_alu instid0(VALU_DEP_2) | instskip(NEXT) | instid1(VALU_DEP_2)
	v_add_co_u32 v7, vcc_lo, v1, v6
	v_add_co_ci_u32_e32 v8, vcc_lo, 0, v8, vcc_lo
	s_waitcnt lgkmcnt(0)
	global_store_b64 v[7:8], v[9:10], off
	s_or_b32 exec_lo, exec_lo, s2
	s_and_saveexec_b32 s2, s7
	s_cbranch_execz .LBB192_56
.LBB192_107:
	v_lshlrev_b32_e32 v1, 3, v2
	v_lshlrev_b32_e32 v9, 3, v17
	ds_load_b64 v[1:2], v1
	ds_load_b64 v[7:8], v6 offset:10240
	s_waitcnt lgkmcnt(1)
	v_lshlrev_b64 v[1:2], 3, v[1:2]
	s_delay_alu instid0(VALU_DEP_1) | instskip(NEXT) | instid1(VALU_DEP_2)
	v_add_co_u32 v1, vcc_lo, s22, v1
	v_add_co_ci_u32_e32 v2, vcc_lo, s23, v2, vcc_lo
	s_delay_alu instid0(VALU_DEP_2) | instskip(NEXT) | instid1(VALU_DEP_2)
	v_add_co_u32 v1, vcc_lo, v1, v9
	v_add_co_ci_u32_e32 v2, vcc_lo, 0, v2, vcc_lo
	s_waitcnt lgkmcnt(0)
	global_store_b64 v[1:2], v[7:8], off
	s_or_b32 exec_lo, exec_lo, s2
	s_and_saveexec_b32 s2, s8
	s_cbranch_execz .LBB192_57
.LBB192_108:
	v_lshlrev_b32_e32 v1, 3, v3
	v_lshlrev_b32_e32 v3, 3, v20
	ds_load_b64 v[1:2], v1
	ds_load_b64 v[7:8], v6 offset:18432
	s_waitcnt lgkmcnt(1)
	v_lshlrev_b64 v[1:2], 3, v[1:2]
	s_delay_alu instid0(VALU_DEP_1) | instskip(NEXT) | instid1(VALU_DEP_2)
	v_add_co_u32 v1, vcc_lo, s22, v1
	v_add_co_ci_u32_e32 v2, vcc_lo, s23, v2, vcc_lo
	s_delay_alu instid0(VALU_DEP_2) | instskip(NEXT) | instid1(VALU_DEP_2)
	v_add_co_u32 v1, vcc_lo, v1, v3
	v_add_co_ci_u32_e32 v2, vcc_lo, 0, v2, vcc_lo
	s_waitcnt lgkmcnt(0)
	global_store_b64 v[1:2], v[7:8], off
	s_or_b32 exec_lo, exec_lo, s2
	s_and_saveexec_b32 s2, s9
	s_cbranch_execnz .LBB192_58
	s_branch .LBB192_59
	.section	.rodata,"a",@progbits
	.p2align	6, 0x0
	.amdhsa_kernel _ZN7rocprim17ROCPRIM_304000_NS6detail25onesweep_iteration_kernelINS1_34wrapped_radix_sort_onesweep_configINS0_14default_configE6__halfN2at4cuda3cub6detail10OpaqueTypeILi8EEEEELb1EPS5_SD_PSB_SE_mNS0_19identity_decomposerEEEvT1_T2_T3_T4_jPT5_SL_PNS1_23onesweep_lookback_stateET6_jjj
		.amdhsa_group_segment_fixed_size 36992
		.amdhsa_private_segment_fixed_size 0
		.amdhsa_kernarg_size 336
		.amdhsa_user_sgpr_count 15
		.amdhsa_user_sgpr_dispatch_ptr 0
		.amdhsa_user_sgpr_queue_ptr 0
		.amdhsa_user_sgpr_kernarg_segment_ptr 1
		.amdhsa_user_sgpr_dispatch_id 0
		.amdhsa_user_sgpr_private_segment_size 0
		.amdhsa_wavefront_size32 1
		.amdhsa_uses_dynamic_stack 0
		.amdhsa_enable_private_segment 0
		.amdhsa_system_sgpr_workgroup_id_x 1
		.amdhsa_system_sgpr_workgroup_id_y 0
		.amdhsa_system_sgpr_workgroup_id_z 0
		.amdhsa_system_sgpr_workgroup_info 0
		.amdhsa_system_vgpr_workitem_id 2
		.amdhsa_next_free_vgpr 40
		.amdhsa_next_free_sgpr 36
		.amdhsa_reserve_vcc 1
		.amdhsa_float_round_mode_32 0
		.amdhsa_float_round_mode_16_64 0
		.amdhsa_float_denorm_mode_32 3
		.amdhsa_float_denorm_mode_16_64 3
		.amdhsa_dx10_clamp 1
		.amdhsa_ieee_mode 1
		.amdhsa_fp16_overflow 0
		.amdhsa_workgroup_processor_mode 1
		.amdhsa_memory_ordered 1
		.amdhsa_forward_progress 0
		.amdhsa_shared_vgpr_count 0
		.amdhsa_exception_fp_ieee_invalid_op 0
		.amdhsa_exception_fp_denorm_src 0
		.amdhsa_exception_fp_ieee_div_zero 0
		.amdhsa_exception_fp_ieee_overflow 0
		.amdhsa_exception_fp_ieee_underflow 0
		.amdhsa_exception_fp_ieee_inexact 0
		.amdhsa_exception_int_div_zero 0
	.end_amdhsa_kernel
	.section	.text._ZN7rocprim17ROCPRIM_304000_NS6detail25onesweep_iteration_kernelINS1_34wrapped_radix_sort_onesweep_configINS0_14default_configE6__halfN2at4cuda3cub6detail10OpaqueTypeILi8EEEEELb1EPS5_SD_PSB_SE_mNS0_19identity_decomposerEEEvT1_T2_T3_T4_jPT5_SL_PNS1_23onesweep_lookback_stateET6_jjj,"axG",@progbits,_ZN7rocprim17ROCPRIM_304000_NS6detail25onesweep_iteration_kernelINS1_34wrapped_radix_sort_onesweep_configINS0_14default_configE6__halfN2at4cuda3cub6detail10OpaqueTypeILi8EEEEELb1EPS5_SD_PSB_SE_mNS0_19identity_decomposerEEEvT1_T2_T3_T4_jPT5_SL_PNS1_23onesweep_lookback_stateET6_jjj,comdat
.Lfunc_end192:
	.size	_ZN7rocprim17ROCPRIM_304000_NS6detail25onesweep_iteration_kernelINS1_34wrapped_radix_sort_onesweep_configINS0_14default_configE6__halfN2at4cuda3cub6detail10OpaqueTypeILi8EEEEELb1EPS5_SD_PSB_SE_mNS0_19identity_decomposerEEEvT1_T2_T3_T4_jPT5_SL_PNS1_23onesweep_lookback_stateET6_jjj, .Lfunc_end192-_ZN7rocprim17ROCPRIM_304000_NS6detail25onesweep_iteration_kernelINS1_34wrapped_radix_sort_onesweep_configINS0_14default_configE6__halfN2at4cuda3cub6detail10OpaqueTypeILi8EEEEELb1EPS5_SD_PSB_SE_mNS0_19identity_decomposerEEEvT1_T2_T3_T4_jPT5_SL_PNS1_23onesweep_lookback_stateET6_jjj
                                        ; -- End function
	.section	.AMDGPU.csdata,"",@progbits
; Kernel info:
; codeLenInByte = 9936
; NumSgprs: 38
; NumVgprs: 40
; ScratchSize: 0
; MemoryBound: 0
; FloatMode: 240
; IeeeMode: 1
; LDSByteSize: 36992 bytes/workgroup (compile time only)
; SGPRBlocks: 4
; VGPRBlocks: 4
; NumSGPRsForWavesPerEU: 38
; NumVGPRsForWavesPerEU: 40
; Occupancy: 16
; WaveLimiterHint : 1
; COMPUTE_PGM_RSRC2:SCRATCH_EN: 0
; COMPUTE_PGM_RSRC2:USER_SGPR: 15
; COMPUTE_PGM_RSRC2:TRAP_HANDLER: 0
; COMPUTE_PGM_RSRC2:TGID_X_EN: 1
; COMPUTE_PGM_RSRC2:TGID_Y_EN: 0
; COMPUTE_PGM_RSRC2:TGID_Z_EN: 0
; COMPUTE_PGM_RSRC2:TIDIG_COMP_CNT: 2
	.section	.text._ZN7rocprim17ROCPRIM_304000_NS6detail28radix_sort_block_sort_kernelINS1_36wrapped_radix_sort_block_sort_configINS0_13kernel_configILj256ELj4ELj4294967295EEE6__halfN2at4cuda3cub6detail10OpaqueTypeILi8EEEEELb0EPKS6_PS6_PKSC_PSC_NS0_19identity_decomposerEEEvT1_T2_T3_T4_jT5_jj,"axG",@progbits,_ZN7rocprim17ROCPRIM_304000_NS6detail28radix_sort_block_sort_kernelINS1_36wrapped_radix_sort_block_sort_configINS0_13kernel_configILj256ELj4ELj4294967295EEE6__halfN2at4cuda3cub6detail10OpaqueTypeILi8EEEEELb0EPKS6_PS6_PKSC_PSC_NS0_19identity_decomposerEEEvT1_T2_T3_T4_jT5_jj,comdat
	.protected	_ZN7rocprim17ROCPRIM_304000_NS6detail28radix_sort_block_sort_kernelINS1_36wrapped_radix_sort_block_sort_configINS0_13kernel_configILj256ELj4ELj4294967295EEE6__halfN2at4cuda3cub6detail10OpaqueTypeILi8EEEEELb0EPKS6_PS6_PKSC_PSC_NS0_19identity_decomposerEEEvT1_T2_T3_T4_jT5_jj ; -- Begin function _ZN7rocprim17ROCPRIM_304000_NS6detail28radix_sort_block_sort_kernelINS1_36wrapped_radix_sort_block_sort_configINS0_13kernel_configILj256ELj4ELj4294967295EEE6__halfN2at4cuda3cub6detail10OpaqueTypeILi8EEEEELb0EPKS6_PS6_PKSC_PSC_NS0_19identity_decomposerEEEvT1_T2_T3_T4_jT5_jj
	.globl	_ZN7rocprim17ROCPRIM_304000_NS6detail28radix_sort_block_sort_kernelINS1_36wrapped_radix_sort_block_sort_configINS0_13kernel_configILj256ELj4ELj4294967295EEE6__halfN2at4cuda3cub6detail10OpaqueTypeILi8EEEEELb0EPKS6_PS6_PKSC_PSC_NS0_19identity_decomposerEEEvT1_T2_T3_T4_jT5_jj
	.p2align	8
	.type	_ZN7rocprim17ROCPRIM_304000_NS6detail28radix_sort_block_sort_kernelINS1_36wrapped_radix_sort_block_sort_configINS0_13kernel_configILj256ELj4ELj4294967295EEE6__halfN2at4cuda3cub6detail10OpaqueTypeILi8EEEEELb0EPKS6_PS6_PKSC_PSC_NS0_19identity_decomposerEEEvT1_T2_T3_T4_jT5_jj,@function
_ZN7rocprim17ROCPRIM_304000_NS6detail28radix_sort_block_sort_kernelINS1_36wrapped_radix_sort_block_sort_configINS0_13kernel_configILj256ELj4ELj4294967295EEE6__halfN2at4cuda3cub6detail10OpaqueTypeILi8EEEEELb0EPKS6_PS6_PKSC_PSC_NS0_19identity_decomposerEEEvT1_T2_T3_T4_jT5_jj: ; @_ZN7rocprim17ROCPRIM_304000_NS6detail28radix_sort_block_sort_kernelINS1_36wrapped_radix_sort_block_sort_configINS0_13kernel_configILj256ELj4ELj4294967295EEE6__halfN2at4cuda3cub6detail10OpaqueTypeILi8EEEEELb0EPKS6_PS6_PKSC_PSC_NS0_19identity_decomposerEEEvT1_T2_T3_T4_jT5_jj
; %bb.0:
	s_clause 0x1
	s_load_b32 s2, s[0:1], 0x20
	s_load_b256 s[16:23], s[0:1], 0x0
	v_and_b32_e32 v8, 0x3ff, v0
	v_mbcnt_lo_u32_b32 v7, -1, 0
	s_lshl_b32 s24, s15, 10
	s_mov_b32 s25, 0
	s_delay_alu instid0(VALU_DEP_2) | instskip(NEXT) | instid1(VALU_DEP_2)
	v_lshlrev_b32_e32 v1, 2, v8
	v_lshlrev_b32_e32 v2, 1, v7
	;; [unrolled: 1-line block ×3, first 2 shown]
	s_delay_alu instid0(VALU_DEP_3) | instskip(NEXT) | instid1(VALU_DEP_1)
	v_and_b32_e32 v11, 0x380, v1
	v_lshlrev_b32_e32 v1, 1, v11
	v_lshlrev_b32_e32 v23, 3, v11
	v_add_nc_u32_e32 v18, v7, v11
	s_waitcnt lgkmcnt(0)
	s_lshr_b32 s3, s2, 10
	s_delay_alu instid0(SALU_CYCLE_1) | instskip(SKIP_2) | instid1(SALU_CYCLE_1)
	s_cmp_lg_u32 s15, s3
	s_cselect_b32 s28, -1, 0
	s_lshl_b64 s[26:27], s[24:25], 1
	s_add_u32 s4, s16, s26
	s_addc_u32 s5, s17, s27
	v_add_co_u32 v2, s4, s4, v2
	s_delay_alu instid0(VALU_DEP_1) | instskip(SKIP_1) | instid1(VALU_DEP_2)
	v_add_co_ci_u32_e64 v3, null, s5, 0, s4
	s_cmp_eq_u32 s15, s3
	v_add_co_u32 v9, vcc_lo, v2, v1
	s_delay_alu instid0(VALU_DEP_2)
	v_add_co_ci_u32_e32 v10, vcc_lo, 0, v3, vcc_lo
	s_mov_b32 s3, -1
	s_cbranch_scc1 .LBB193_2
; %bb.1:
	s_lshl_b64 s[4:5], s[24:25], 3
	v_add_nc_u32_e32 v19, v7, v11
	s_add_u32 s3, s20, s4
	s_addc_u32 s4, s21, s5
	v_add_co_u32 v1, s3, s3, v20
	s_delay_alu instid0(VALU_DEP_1) | instskip(SKIP_1) | instid1(VALU_DEP_3)
	v_add_co_ci_u32_e64 v2, null, s4, 0, s3
	v_add_nc_u32_e32 v11, 32, v19
	v_add_co_u32 v21, vcc_lo, v1, v23
	s_delay_alu instid0(VALU_DEP_3)
	v_add_co_ci_u32_e32 v22, vcc_lo, 0, v2, vcc_lo
	s_clause 0x3
	global_load_u16 v13, v[9:10], off
	global_load_u16 v14, v[9:10], off offset:64
	global_load_u16 v17, v[9:10], off offset:128
	;; [unrolled: 1-line block ×3, first 2 shown]
	s_clause 0x3
	global_load_b64 v[1:2], v[21:22], off
	global_load_b64 v[3:4], v[21:22], off offset:256
	global_load_b64 v[5:6], v[21:22], off offset:512
	;; [unrolled: 1-line block ×3, first 2 shown]
	v_add_nc_u32_e32 v12, 64, v19
	v_add_nc_u32_e32 v15, 0x60, v19
	s_mov_b32 s3, s25
	s_delay_alu instid0(SALU_CYCLE_1)
	s_and_not1_b32 vcc_lo, exec_lo, s3
	s_sub_i32 s16, s2, s24
	s_cbranch_vccz .LBB193_3
	s_branch .LBB193_17
.LBB193_2:
                                        ; implicit-def: $vgpr1_vgpr2
                                        ; implicit-def: $vgpr3_vgpr4
                                        ; implicit-def: $vgpr5_vgpr6
                                        ; implicit-def: $vgpr21_vgpr22
                                        ; implicit-def: $vgpr13
                                        ; implicit-def: $vgpr14
                                        ; implicit-def: $vgpr17
                                        ; implicit-def: $vgpr16
                                        ; implicit-def: $vgpr19
                                        ; implicit-def: $vgpr11
                                        ; implicit-def: $vgpr12
                                        ; implicit-def: $vgpr15
	s_and_not1_b32 vcc_lo, exec_lo, s3
	s_sub_i32 s16, s2, s24
	s_cbranch_vccnz .LBB193_17
.LBB193_3:
	v_cmp_gt_u32_e32 vcc_lo, s16, v18
	s_waitcnt vmcnt(6)
	v_dual_mov_b32 v14, 0x7fff :: v_dual_mov_b32 v13, 0x7fff
	s_and_saveexec_b32 s2, vcc_lo
	s_cbranch_execz .LBB193_5
; %bb.4:
	global_load_u16 v13, v[9:10], off
.LBB193_5:
	s_or_b32 exec_lo, exec_lo, s2
	v_add_nc_u32_e32 v11, 32, v18
	s_delay_alu instid0(VALU_DEP_1) | instskip(NEXT) | instid1(VALU_DEP_1)
	v_cmp_gt_u32_e64 s2, s16, v11
	s_and_saveexec_b32 s3, s2
	s_cbranch_execz .LBB193_7
; %bb.6:
	global_load_u16 v14, v[9:10], off offset:64
.LBB193_7:
	s_or_b32 exec_lo, exec_lo, s3
	s_waitcnt vmcnt(5)
	v_dual_mov_b32 v17, 0x7fff :: v_dual_add_nc_u32 v12, 64, v18
	s_waitcnt vmcnt(4)
	v_mov_b32_e32 v16, 0x7fff
	s_delay_alu instid0(VALU_DEP_2) | instskip(NEXT) | instid1(VALU_DEP_1)
	v_cmp_gt_u32_e64 s3, s16, v12
	s_and_saveexec_b32 s4, s3
	s_cbranch_execz .LBB193_9
; %bb.8:
	global_load_u16 v17, v[9:10], off offset:128
.LBB193_9:
	s_or_b32 exec_lo, exec_lo, s4
	v_add_nc_u32_e32 v15, 0x60, v18
	s_delay_alu instid0(VALU_DEP_1) | instskip(NEXT) | instid1(VALU_DEP_1)
	v_cmp_gt_u32_e64 s4, s16, v15
	s_and_saveexec_b32 s5, s4
	s_cbranch_execz .LBB193_11
; %bb.10:
	global_load_u16 v16, v[9:10], off offset:192
.LBB193_11:
	s_or_b32 exec_lo, exec_lo, s5
	s_lshl_b64 s[6:7], s[24:25], 3
	s_delay_alu instid0(SALU_CYCLE_1) | instskip(SKIP_3) | instid1(VALU_DEP_1)
	s_add_u32 s5, s20, s6
	s_addc_u32 s6, s21, s7
	s_waitcnt vmcnt(3)
	v_add_co_u32 v1, s5, s5, v20
	v_add_co_ci_u32_e64 v2, null, s6, 0, s5
	s_delay_alu instid0(VALU_DEP_2) | instskip(NEXT) | instid1(VALU_DEP_1)
	v_add_co_u32 v9, s5, v1, v23
	v_add_co_ci_u32_e64 v10, s5, 0, v2, s5
                                        ; implicit-def: $vgpr1_vgpr2
	s_and_saveexec_b32 s5, vcc_lo
	s_cbranch_execnz .LBB193_54
; %bb.12:
	s_or_b32 exec_lo, exec_lo, s5
                                        ; implicit-def: $vgpr3_vgpr4
	s_and_saveexec_b32 s5, s2
	s_cbranch_execnz .LBB193_55
.LBB193_13:
	s_or_b32 exec_lo, exec_lo, s5
                                        ; implicit-def: $vgpr5_vgpr6
	s_and_saveexec_b32 s2, s3
	s_cbranch_execnz .LBB193_56
.LBB193_14:
	s_or_b32 exec_lo, exec_lo, s2
                                        ; implicit-def: $vgpr21_vgpr22
	s_and_saveexec_b32 s2, s4
	s_cbranch_execz .LBB193_16
.LBB193_15:
	global_load_b64 v[21:22], v[9:10], off offset:768
.LBB193_16:
	s_or_b32 exec_lo, exec_lo, s2
	v_mov_b32_e32 v19, v18
.LBB193_17:
	s_clause 0x1
	s_load_b32 s2, s[0:1], 0x3c
	s_load_b64 s[14:15], s[0:1], 0x28
	s_waitcnt vmcnt(0)
	v_cmp_lt_i16_e32 vcc_lo, -1, v13
	v_bfe_u32 v23, v0, 10, 10
	v_bfe_u32 v0, v0, 20, 10
	v_add_nc_u32_e32 v29, -1, v7
	s_mov_b32 s20, 0
	v_cndmask_b32_e64 v9, -1, 0xffff8000, vcc_lo
	v_cmp_lt_i16_e32 vcc_lo, -1, v14
	s_mov_b32 s30, s20
	s_mov_b32 s31, s20
	v_and_b32_e32 v27, 16, v7
	v_xor_b32_e32 v50, v9, v13
	v_cndmask_b32_e64 v10, -1, 0xffff8000, vcc_lo
	v_cmp_lt_i16_e32 vcc_lo, -1, v17
	v_lshlrev_b32_e32 v32, 1, v11
	v_lshlrev_b32_e32 v33, 1, v12
	v_mul_lo_u32 v13, v11, 6
	v_xor_b32_e32 v44, v10, v14
	v_cndmask_b32_e64 v18, -1, 0xffff8000, vcc_lo
	s_waitcnt lgkmcnt(0)
	s_lshr_b32 s0, s2, 16
	v_cmp_lt_i16_e32 vcc_lo, -1, v16
	v_mad_u32_u24 v0, v0, s0, v23
	s_and_b32 s0, s2, 0xffff
	v_mul_lo_u32 v14, v12, 6
	v_mov_b32_e32 v11, s30
	v_cndmask_b32_e64 v20, -1, 0xffff8000, vcc_lo
	v_mad_u64_u32 v[9:10], null, v0, s0, v[8:9]
	v_cmp_gt_i32_e32 vcc_lo, 0, v29
	v_and_b32_e32 v28, 0x3e0, v8
	v_mov_b32_e32 v12, s31
	v_cmp_eq_u32_e64 s4, 0, v27
	v_cmp_eq_u32_e64 s8, 0, v7
	v_lshlrev_b32_e32 v34, 1, v15
	v_lshrrev_b32_e32 v27, 5, v9
	v_cndmask_b32_e32 v9, v29, v7, vcc_lo
	v_min_u32_e32 v0, 0xe0, v28
	v_mul_lo_u32 v15, v15, 6
	s_mov_b32 s21, s20
	v_and_b32_e32 v24, 15, v7
	v_lshlrev_b32_e32 v28, 2, v9
	v_or_b32_e32 v0, 31, v0
	v_and_b32_e32 v9, 7, v7
	v_mul_lo_u32 v7, v19, 6
	v_lshlrev_b32_e32 v25, 5, v8
	v_lshlrev_b32_e32 v31, 1, v19
	v_cmp_eq_u32_e64 s5, v0, v8
	v_lshrrev_b32_e32 v0, 3, v8
	v_cmp_eq_u32_e64 s10, 0, v9
	v_cmp_lt_u32_e64 s11, 1, v9
	v_cmp_lt_u32_e64 s12, 3, v9
	v_dual_mov_b32 v9, s20 :: v_dual_mov_b32 v10, s21
	v_and_b32_e32 v29, 0x7c, v0
	v_mul_i32_i24_e32 v0, 0xffffffe4, v8
	v_xor_b32_e32 v45, v18, v17
	v_xor_b32_e32 v46, v20, v16
	v_add_nc_u32_e32 v26, 32, v25
	v_cmp_eq_u32_e64 s0, 0, v24
	v_cmp_lt_u32_e64 s1, 1, v24
	v_cmp_lt_u32_e64 s2, 3, v24
	;; [unrolled: 1-line block ×3, first 2 shown]
	v_cmp_gt_u32_e64 s6, 8, v8
	v_cmp_lt_u32_e64 s7, 31, v8
	v_cmp_eq_u32_e64 s9, 0, v8
	v_add_nc_u32_e32 v30, -4, v29
	v_add_nc_u32_e32 v35, v25, v0
	v_add_nc_u32_e32 v36, v31, v7
	;; [unrolled: 1-line block ×5, first 2 shown]
	s_add_i32 s17, s15, s14
	s_branch .LBB193_19
.LBB193_18:                             ;   in Loop: Header=BB193_19 Depth=1
	v_mad_u64_u32 v[1:2], null, v51, 6, v[24:25]
	v_mad_u64_u32 v[2:3], null, v49, 6, v[23:24]
	;; [unrolled: 1-line block ×3, first 2 shown]
	s_barrier
	buffer_gl0_inv
	v_mad_u64_u32 v[4:5], null, v47, 6, v[0:1]
	ds_store_b16 v24, v40
	ds_store_b16 v23, v43
	;; [unrolled: 1-line block ×4, first 2 shown]
	s_waitcnt lgkmcnt(0)
	s_barrier
	buffer_gl0_inv
	ds_load_u16 v50, v31
	ds_load_u16 v44, v32
	;; [unrolled: 1-line block ×4, first 2 shown]
	s_waitcnt lgkmcnt(0)
	s_barrier
	buffer_gl0_inv
	ds_store_b64 v1, v[19:20]
	ds_store_b64 v2, v[17:18]
	;; [unrolled: 1-line block ×4, first 2 shown]
	s_waitcnt lgkmcnt(0)
	s_barrier
	buffer_gl0_inv
	ds_load_b64 v[1:2], v36
	ds_load_b64 v[3:4], v37
	ds_load_b64 v[5:6], v38
	ds_load_b64 v[21:22], v39
	s_add_i32 s15, s15, -8
	s_waitcnt lgkmcnt(0)
	s_barrier
	buffer_gl0_inv
	s_cbranch_execz .LBB193_35
.LBB193_19:                             ; =>This Inner Loop Header: Depth=1
	s_min_u32 s13, s15, 8
	v_mov_b32_e32 v42, v45
	s_lshl_b32 s13, -1, s13
	ds_store_2addr_b64 v25, v[9:10], v[11:12] offset0:4 offset1:5
	ds_store_2addr_b64 v26, v[9:10], v[11:12] offset0:2 offset1:3
	s_not_b32 s20, s13
	v_mov_b32_e32 v40, v50
	s_waitcnt lgkmcnt(0)
	s_barrier
	buffer_gl0_inv
	v_cmp_ne_u16_e32 vcc_lo, 0x7fff, v40
	; wave barrier
	v_mov_b32_e32 v43, v44
	v_dual_mov_b32 v41, v46 :: v_dual_cndmask_b32 v0, 0xffff8000, v40
	s_delay_alu instid0(VALU_DEP_1) | instskip(NEXT) | instid1(VALU_DEP_1)
	v_and_b32_e32 v0, 0xffff, v0
	v_lshrrev_b32_e32 v0, s14, v0
	s_delay_alu instid0(VALU_DEP_1) | instskip(NEXT) | instid1(VALU_DEP_1)
	v_and_b32_e32 v7, s20, v0
	v_and_b32_e32 v0, 1, v7
	v_lshlrev_b32_e32 v13, 30, v7
	v_lshlrev_b32_e32 v14, 29, v7
	;; [unrolled: 1-line block ×4, first 2 shown]
	v_add_co_u32 v0, s13, v0, -1
	s_delay_alu instid0(VALU_DEP_1)
	v_cndmask_b32_e64 v16, 0, 1, s13
	v_not_b32_e32 v20, v13
	v_cmp_gt_i32_e64 s13, 0, v13
	v_not_b32_e32 v13, v14
	v_lshlrev_b32_e32 v18, 26, v7
	v_cmp_ne_u32_e32 vcc_lo, 0, v16
	v_ashrrev_i32_e32 v20, 31, v20
	v_lshlrev_b32_e32 v19, 25, v7
	v_ashrrev_i32_e32 v13, 31, v13
	v_lshlrev_b32_e32 v16, 24, v7
	v_xor_b32_e32 v0, vcc_lo, v0
	v_cmp_gt_i32_e32 vcc_lo, 0, v14
	v_not_b32_e32 v14, v15
	v_xor_b32_e32 v20, s13, v20
	v_cmp_gt_i32_e64 s13, 0, v15
	v_and_b32_e32 v0, exec_lo, v0
	v_not_b32_e32 v15, v17
	v_ashrrev_i32_e32 v14, 31, v14
	v_xor_b32_e32 v13, vcc_lo, v13
	v_cmp_gt_i32_e32 vcc_lo, 0, v17
	v_and_b32_e32 v0, v0, v20
	v_not_b32_e32 v17, v18
	v_ashrrev_i32_e32 v15, 31, v15
	v_xor_b32_e32 v14, s13, v14
	v_cmp_gt_i32_e64 s13, 0, v18
	v_and_b32_e32 v0, v0, v13
	v_ashrrev_i32_e32 v17, 31, v17
	v_xor_b32_e32 v15, vcc_lo, v15
	s_delay_alu instid0(VALU_DEP_3) | instskip(NEXT) | instid1(VALU_DEP_3)
	v_and_b32_e32 v0, v0, v14
	v_xor_b32_e32 v17, s13, v17
	v_not_b32_e32 v14, v16
	v_cmp_gt_i32_e64 s13, 0, v16
	s_delay_alu instid0(VALU_DEP_4) | instskip(SKIP_1) | instid1(VALU_DEP_4)
	v_and_b32_e32 v0, v0, v15
	v_mov_b32_e32 v16, v6
	v_ashrrev_i32_e32 v14, 31, v14
	s_delay_alu instid0(VALU_DEP_3)
	v_dual_mov_b32 v15, v5 :: v_dual_and_b32 v0, v0, v17
	v_mov_b32_e32 v18, v4
	v_not_b32_e32 v13, v19
	v_cmp_gt_i32_e32 vcc_lo, 0, v19
	v_xor_b32_e32 v14, s13, v14
	v_dual_mov_b32 v20, v2 :: v_dual_mov_b32 v19, v1
	s_delay_alu instid0(VALU_DEP_4) | instskip(SKIP_2) | instid1(VALU_DEP_3)
	v_ashrrev_i32_e32 v13, 31, v13
	v_lshl_add_u32 v1, v7, 3, v27
	v_mov_b32_e32 v17, v3
	v_xor_b32_e32 v13, vcc_lo, v13
	s_delay_alu instid0(VALU_DEP_1) | instskip(NEXT) | instid1(VALU_DEP_1)
	v_and_b32_e32 v0, v0, v13
	v_dual_mov_b32 v13, v21 :: v_dual_and_b32 v0, v0, v14
	v_mov_b32_e32 v14, v22
	v_lshl_add_u32 v22, v1, 2, 32
	s_delay_alu instid0(VALU_DEP_3) | instskip(SKIP_1) | instid1(VALU_DEP_2)
	v_mbcnt_lo_u32_b32 v21, v0, 0
	v_cmp_ne_u32_e64 s13, 0, v0
	v_cmp_eq_u32_e32 vcc_lo, 0, v21
	s_delay_alu instid0(VALU_DEP_2) | instskip(NEXT) | instid1(SALU_CYCLE_1)
	s_and_b32 s21, s13, vcc_lo
	s_and_saveexec_b32 s13, s21
	s_cbranch_execz .LBB193_21
; %bb.20:                               ;   in Loop: Header=BB193_19 Depth=1
	v_bcnt_u32_b32 v0, v0, 0
	ds_store_b32 v22, v0
.LBB193_21:                             ;   in Loop: Header=BB193_19 Depth=1
	s_or_b32 exec_lo, exec_lo, s13
	v_cmp_ne_u16_e32 vcc_lo, 0x7fff, v43
	; wave barrier
	v_cndmask_b32_e32 v0, 0xffff8000, v43, vcc_lo
	s_delay_alu instid0(VALU_DEP_1) | instskip(NEXT) | instid1(VALU_DEP_1)
	v_and_b32_e32 v0, 0xffff, v0
	v_lshrrev_b32_e32 v0, s14, v0
	s_delay_alu instid0(VALU_DEP_1) | instskip(NEXT) | instid1(VALU_DEP_1)
	v_and_b32_e32 v0, s20, v0
	v_and_b32_e32 v1, 1, v0
	v_lshlrev_b32_e32 v2, 30, v0
	v_lshlrev_b32_e32 v3, 29, v0
	;; [unrolled: 1-line block ×4, first 2 shown]
	v_add_co_u32 v1, s13, v1, -1
	s_delay_alu instid0(VALU_DEP_1)
	v_cndmask_b32_e64 v5, 0, 1, s13
	v_not_b32_e32 v24, v2
	v_cmp_gt_i32_e64 s13, 0, v2
	v_not_b32_e32 v2, v3
	v_lshlrev_b32_e32 v7, 26, v0
	v_cmp_ne_u32_e32 vcc_lo, 0, v5
	v_ashrrev_i32_e32 v24, 31, v24
	v_lshlrev_b32_e32 v23, 25, v0
	v_ashrrev_i32_e32 v2, 31, v2
	v_lshlrev_b32_e32 v5, 24, v0
	v_xor_b32_e32 v1, vcc_lo, v1
	v_cmp_gt_i32_e32 vcc_lo, 0, v3
	v_not_b32_e32 v3, v4
	v_xor_b32_e32 v24, s13, v24
	v_cmp_gt_i32_e64 s13, 0, v4
	v_and_b32_e32 v1, exec_lo, v1
	v_not_b32_e32 v4, v6
	v_ashrrev_i32_e32 v3, 31, v3
	v_xor_b32_e32 v2, vcc_lo, v2
	v_cmp_gt_i32_e32 vcc_lo, 0, v6
	v_and_b32_e32 v1, v1, v24
	v_not_b32_e32 v6, v7
	v_ashrrev_i32_e32 v4, 31, v4
	v_xor_b32_e32 v3, s13, v3
	v_cmp_gt_i32_e64 s13, 0, v7
	v_and_b32_e32 v1, v1, v2
	v_not_b32_e32 v2, v23
	v_ashrrev_i32_e32 v6, 31, v6
	v_xor_b32_e32 v4, vcc_lo, v4
	v_cmp_gt_i32_e32 vcc_lo, 0, v23
	v_and_b32_e32 v1, v1, v3
	v_not_b32_e32 v3, v5
	v_ashrrev_i32_e32 v2, 31, v2
	v_xor_b32_e32 v6, s13, v6
	v_lshlrev_b32_e32 v0, 3, v0
	v_and_b32_e32 v1, v1, v4
	v_cmp_gt_i32_e64 s13, 0, v5
	v_ashrrev_i32_e32 v3, 31, v3
	v_xor_b32_e32 v2, vcc_lo, v2
	v_add_lshl_u32 v4, v0, v27, 2
	v_and_b32_e32 v1, v1, v6
	s_delay_alu instid0(VALU_DEP_4) | instskip(SKIP_3) | instid1(VALU_DEP_2)
	v_xor_b32_e32 v0, s13, v3
	ds_load_b32 v23, v4 offset:32
	v_and_b32_e32 v1, v1, v2
	v_add_nc_u32_e32 v44, 32, v4
	; wave barrier
	v_and_b32_e32 v0, v1, v0
	s_delay_alu instid0(VALU_DEP_1) | instskip(SKIP_1) | instid1(VALU_DEP_2)
	v_mbcnt_lo_u32_b32 v24, v0, 0
	v_cmp_ne_u32_e64 s13, 0, v0
	v_cmp_eq_u32_e32 vcc_lo, 0, v24
	s_delay_alu instid0(VALU_DEP_2) | instskip(NEXT) | instid1(SALU_CYCLE_1)
	s_and_b32 s21, s13, vcc_lo
	s_and_saveexec_b32 s13, s21
	s_cbranch_execz .LBB193_23
; %bb.22:                               ;   in Loop: Header=BB193_19 Depth=1
	s_waitcnt lgkmcnt(0)
	v_bcnt_u32_b32 v0, v0, v23
	ds_store_b32 v44, v0
.LBB193_23:                             ;   in Loop: Header=BB193_19 Depth=1
	s_or_b32 exec_lo, exec_lo, s13
	v_cmp_ne_u16_e32 vcc_lo, 0x7fff, v42
	; wave barrier
	v_cndmask_b32_e32 v0, 0xffff8000, v42, vcc_lo
	s_delay_alu instid0(VALU_DEP_1) | instskip(NEXT) | instid1(VALU_DEP_1)
	v_and_b32_e32 v0, 0xffff, v0
	v_lshrrev_b32_e32 v0, s14, v0
	s_delay_alu instid0(VALU_DEP_1) | instskip(NEXT) | instid1(VALU_DEP_1)
	v_and_b32_e32 v0, s20, v0
	v_and_b32_e32 v1, 1, v0
	v_lshlrev_b32_e32 v2, 30, v0
	v_lshlrev_b32_e32 v3, 29, v0
	v_lshlrev_b32_e32 v4, 28, v0
	v_lshlrev_b32_e32 v6, 27, v0
	v_add_co_u32 v1, s13, v1, -1
	s_delay_alu instid0(VALU_DEP_1)
	v_cndmask_b32_e64 v5, 0, 1, s13
	v_not_b32_e32 v46, v2
	v_cmp_gt_i32_e64 s13, 0, v2
	v_not_b32_e32 v2, v3
	v_lshlrev_b32_e32 v7, 26, v0
	v_cmp_ne_u32_e32 vcc_lo, 0, v5
	v_ashrrev_i32_e32 v46, 31, v46
	v_lshlrev_b32_e32 v45, 25, v0
	v_ashrrev_i32_e32 v2, 31, v2
	v_lshlrev_b32_e32 v5, 24, v0
	v_xor_b32_e32 v1, vcc_lo, v1
	v_cmp_gt_i32_e32 vcc_lo, 0, v3
	v_not_b32_e32 v3, v4
	v_xor_b32_e32 v46, s13, v46
	v_cmp_gt_i32_e64 s13, 0, v4
	v_and_b32_e32 v1, exec_lo, v1
	v_not_b32_e32 v4, v6
	v_ashrrev_i32_e32 v3, 31, v3
	v_xor_b32_e32 v2, vcc_lo, v2
	v_cmp_gt_i32_e32 vcc_lo, 0, v6
	v_and_b32_e32 v1, v1, v46
	v_not_b32_e32 v6, v7
	v_ashrrev_i32_e32 v4, 31, v4
	v_xor_b32_e32 v3, s13, v3
	v_cmp_gt_i32_e64 s13, 0, v7
	v_and_b32_e32 v1, v1, v2
	v_not_b32_e32 v2, v45
	v_ashrrev_i32_e32 v6, 31, v6
	v_xor_b32_e32 v4, vcc_lo, v4
	v_cmp_gt_i32_e32 vcc_lo, 0, v45
	v_and_b32_e32 v1, v1, v3
	v_not_b32_e32 v3, v5
	v_ashrrev_i32_e32 v2, 31, v2
	v_xor_b32_e32 v6, s13, v6
	v_lshlrev_b32_e32 v0, 3, v0
	v_and_b32_e32 v1, v1, v4
	v_cmp_gt_i32_e64 s13, 0, v5
	v_ashrrev_i32_e32 v3, 31, v3
	v_xor_b32_e32 v2, vcc_lo, v2
	v_add_lshl_u32 v4, v0, v27, 2
	v_and_b32_e32 v1, v1, v6
	s_delay_alu instid0(VALU_DEP_4) | instskip(SKIP_3) | instid1(VALU_DEP_2)
	v_xor_b32_e32 v0, s13, v3
	ds_load_b32 v45, v4 offset:32
	v_and_b32_e32 v1, v1, v2
	v_add_nc_u32_e32 v47, 32, v4
	; wave barrier
	v_and_b32_e32 v0, v1, v0
	s_delay_alu instid0(VALU_DEP_1) | instskip(SKIP_1) | instid1(VALU_DEP_2)
	v_mbcnt_lo_u32_b32 v46, v0, 0
	v_cmp_ne_u32_e64 s13, 0, v0
	v_cmp_eq_u32_e32 vcc_lo, 0, v46
	s_delay_alu instid0(VALU_DEP_2) | instskip(NEXT) | instid1(SALU_CYCLE_1)
	s_and_b32 s21, s13, vcc_lo
	s_and_saveexec_b32 s13, s21
	s_cbranch_execz .LBB193_25
; %bb.24:                               ;   in Loop: Header=BB193_19 Depth=1
	s_waitcnt lgkmcnt(0)
	v_bcnt_u32_b32 v0, v0, v45
	ds_store_b32 v47, v0
.LBB193_25:                             ;   in Loop: Header=BB193_19 Depth=1
	s_or_b32 exec_lo, exec_lo, s13
	v_cmp_ne_u16_e32 vcc_lo, 0x7fff, v41
	; wave barrier
	v_cndmask_b32_e32 v0, 0xffff8000, v41, vcc_lo
	s_delay_alu instid0(VALU_DEP_1) | instskip(NEXT) | instid1(VALU_DEP_1)
	v_and_b32_e32 v0, 0xffff, v0
	v_lshrrev_b32_e32 v0, s14, v0
	s_delay_alu instid0(VALU_DEP_1) | instskip(NEXT) | instid1(VALU_DEP_1)
	v_and_b32_e32 v0, s20, v0
	v_and_b32_e32 v1, 1, v0
	v_lshlrev_b32_e32 v2, 30, v0
	v_lshlrev_b32_e32 v3, 29, v0
	;; [unrolled: 1-line block ×4, first 2 shown]
	v_add_co_u32 v1, s13, v1, -1
	s_delay_alu instid0(VALU_DEP_1)
	v_cndmask_b32_e64 v5, 0, 1, s13
	v_not_b32_e32 v49, v2
	v_cmp_gt_i32_e64 s13, 0, v2
	v_not_b32_e32 v2, v3
	v_lshlrev_b32_e32 v7, 26, v0
	v_cmp_ne_u32_e32 vcc_lo, 0, v5
	v_ashrrev_i32_e32 v49, 31, v49
	v_lshlrev_b32_e32 v48, 25, v0
	v_ashrrev_i32_e32 v2, 31, v2
	v_lshlrev_b32_e32 v5, 24, v0
	v_xor_b32_e32 v1, vcc_lo, v1
	v_cmp_gt_i32_e32 vcc_lo, 0, v3
	v_not_b32_e32 v3, v4
	v_xor_b32_e32 v49, s13, v49
	v_cmp_gt_i32_e64 s13, 0, v4
	v_and_b32_e32 v1, exec_lo, v1
	v_not_b32_e32 v4, v6
	v_ashrrev_i32_e32 v3, 31, v3
	v_xor_b32_e32 v2, vcc_lo, v2
	v_cmp_gt_i32_e32 vcc_lo, 0, v6
	v_and_b32_e32 v1, v1, v49
	v_not_b32_e32 v6, v7
	v_ashrrev_i32_e32 v4, 31, v4
	v_xor_b32_e32 v3, s13, v3
	v_cmp_gt_i32_e64 s13, 0, v7
	v_and_b32_e32 v1, v1, v2
	v_not_b32_e32 v2, v48
	v_ashrrev_i32_e32 v6, 31, v6
	v_xor_b32_e32 v4, vcc_lo, v4
	v_cmp_gt_i32_e32 vcc_lo, 0, v48
	v_and_b32_e32 v1, v1, v3
	v_not_b32_e32 v3, v5
	v_ashrrev_i32_e32 v2, 31, v2
	v_xor_b32_e32 v6, s13, v6
	v_lshlrev_b32_e32 v0, 3, v0
	v_and_b32_e32 v1, v1, v4
	v_cmp_gt_i32_e64 s13, 0, v5
	v_ashrrev_i32_e32 v3, 31, v3
	v_xor_b32_e32 v2, vcc_lo, v2
	v_add_lshl_u32 v4, v0, v27, 2
	v_and_b32_e32 v1, v1, v6
	s_delay_alu instid0(VALU_DEP_4) | instskip(SKIP_3) | instid1(VALU_DEP_2)
	v_xor_b32_e32 v0, s13, v3
	ds_load_b32 v50, v4 offset:32
	v_and_b32_e32 v1, v1, v2
	v_add_nc_u32_e32 v48, 32, v4
	; wave barrier
	v_and_b32_e32 v0, v1, v0
	s_delay_alu instid0(VALU_DEP_1) | instskip(SKIP_1) | instid1(VALU_DEP_2)
	v_mbcnt_lo_u32_b32 v52, v0, 0
	v_cmp_ne_u32_e64 s13, 0, v0
	v_cmp_eq_u32_e32 vcc_lo, 0, v52
	s_delay_alu instid0(VALU_DEP_2) | instskip(NEXT) | instid1(SALU_CYCLE_1)
	s_and_b32 s20, s13, vcc_lo
	s_and_saveexec_b32 s13, s20
	s_cbranch_execz .LBB193_27
; %bb.26:                               ;   in Loop: Header=BB193_19 Depth=1
	s_waitcnt lgkmcnt(0)
	v_bcnt_u32_b32 v0, v0, v50
	ds_store_b32 v48, v0
.LBB193_27:                             ;   in Loop: Header=BB193_19 Depth=1
	s_or_b32 exec_lo, exec_lo, s13
	; wave barrier
	s_waitcnt lgkmcnt(0)
	s_barrier
	buffer_gl0_inv
	ds_load_2addr_b64 v[4:7], v25 offset0:4 offset1:5
	ds_load_2addr_b64 v[0:3], v26 offset0:2 offset1:3
	s_waitcnt lgkmcnt(1)
	v_add_nc_u32_e32 v49, v5, v4
	s_delay_alu instid0(VALU_DEP_1) | instskip(SKIP_1) | instid1(VALU_DEP_1)
	v_add3_u32 v49, v49, v6, v7
	s_waitcnt lgkmcnt(0)
	v_add3_u32 v49, v49, v0, v1
	s_delay_alu instid0(VALU_DEP_1) | instskip(NEXT) | instid1(VALU_DEP_1)
	v_add3_u32 v3, v49, v2, v3
	v_mov_b32_dpp v49, v3 row_shr:1 row_mask:0xf bank_mask:0xf
	s_delay_alu instid0(VALU_DEP_1) | instskip(NEXT) | instid1(VALU_DEP_1)
	v_cndmask_b32_e64 v49, v49, 0, s0
	v_add_nc_u32_e32 v3, v49, v3
	s_delay_alu instid0(VALU_DEP_1) | instskip(NEXT) | instid1(VALU_DEP_1)
	v_mov_b32_dpp v49, v3 row_shr:2 row_mask:0xf bank_mask:0xf
	v_cndmask_b32_e64 v49, 0, v49, s1
	s_delay_alu instid0(VALU_DEP_1) | instskip(NEXT) | instid1(VALU_DEP_1)
	v_add_nc_u32_e32 v3, v3, v49
	v_mov_b32_dpp v49, v3 row_shr:4 row_mask:0xf bank_mask:0xf
	s_delay_alu instid0(VALU_DEP_1) | instskip(NEXT) | instid1(VALU_DEP_1)
	v_cndmask_b32_e64 v49, 0, v49, s2
	v_add_nc_u32_e32 v3, v3, v49
	s_delay_alu instid0(VALU_DEP_1) | instskip(NEXT) | instid1(VALU_DEP_1)
	v_mov_b32_dpp v49, v3 row_shr:8 row_mask:0xf bank_mask:0xf
	v_cndmask_b32_e64 v49, 0, v49, s3
	s_delay_alu instid0(VALU_DEP_1) | instskip(SKIP_3) | instid1(VALU_DEP_1)
	v_add_nc_u32_e32 v3, v3, v49
	ds_swizzle_b32 v49, v3 offset:swizzle(BROADCAST,32,15)
	s_waitcnt lgkmcnt(0)
	v_cndmask_b32_e64 v49, v49, 0, s4
	v_add_nc_u32_e32 v3, v3, v49
	s_and_saveexec_b32 s13, s5
	s_cbranch_execz .LBB193_29
; %bb.28:                               ;   in Loop: Header=BB193_19 Depth=1
	ds_store_b32 v29, v3
.LBB193_29:                             ;   in Loop: Header=BB193_19 Depth=1
	s_or_b32 exec_lo, exec_lo, s13
	s_waitcnt lgkmcnt(0)
	s_barrier
	buffer_gl0_inv
	s_and_saveexec_b32 s13, s6
	s_cbranch_execz .LBB193_31
; %bb.30:                               ;   in Loop: Header=BB193_19 Depth=1
	ds_load_b32 v49, v35
	s_waitcnt lgkmcnt(0)
	v_mov_b32_dpp v51, v49 row_shr:1 row_mask:0xf bank_mask:0xf
	s_delay_alu instid0(VALU_DEP_1) | instskip(NEXT) | instid1(VALU_DEP_1)
	v_cndmask_b32_e64 v51, v51, 0, s10
	v_add_nc_u32_e32 v49, v51, v49
	s_delay_alu instid0(VALU_DEP_1) | instskip(NEXT) | instid1(VALU_DEP_1)
	v_mov_b32_dpp v51, v49 row_shr:2 row_mask:0xf bank_mask:0xf
	v_cndmask_b32_e64 v51, 0, v51, s11
	s_delay_alu instid0(VALU_DEP_1) | instskip(NEXT) | instid1(VALU_DEP_1)
	v_add_nc_u32_e32 v49, v49, v51
	v_mov_b32_dpp v51, v49 row_shr:4 row_mask:0xf bank_mask:0xf
	s_delay_alu instid0(VALU_DEP_1) | instskip(NEXT) | instid1(VALU_DEP_1)
	v_cndmask_b32_e64 v51, 0, v51, s12
	v_add_nc_u32_e32 v49, v49, v51
	ds_store_b32 v35, v49
.LBB193_31:                             ;   in Loop: Header=BB193_19 Depth=1
	s_or_b32 exec_lo, exec_lo, s13
	v_mov_b32_e32 v49, 0
	s_waitcnt lgkmcnt(0)
	s_barrier
	buffer_gl0_inv
	s_and_saveexec_b32 s13, s7
	s_cbranch_execz .LBB193_33
; %bb.32:                               ;   in Loop: Header=BB193_19 Depth=1
	ds_load_b32 v49, v30
.LBB193_33:                             ;   in Loop: Header=BB193_19 Depth=1
	s_or_b32 exec_lo, exec_lo, s13
	s_waitcnt lgkmcnt(0)
	v_add_nc_u32_e32 v3, v49, v3
	s_add_i32 s14, s14, 8
	s_delay_alu instid0(SALU_CYCLE_1) | instskip(SKIP_3) | instid1(VALU_DEP_1)
	s_cmp_ge_u32 s14, s17
	ds_bpermute_b32 v3, v28, v3
	s_waitcnt lgkmcnt(0)
	v_cndmask_b32_e64 v3, v3, v49, s8
	v_cndmask_b32_e64 v3, v3, 0, s9
	s_delay_alu instid0(VALU_DEP_1) | instskip(NEXT) | instid1(VALU_DEP_1)
	v_add_nc_u32_e32 v4, v3, v4
	v_add_nc_u32_e32 v5, v4, v5
	s_delay_alu instid0(VALU_DEP_1) | instskip(NEXT) | instid1(VALU_DEP_1)
	v_add_nc_u32_e32 v6, v5, v6
	v_add_nc_u32_e32 v53, v6, v7
	;; [unrolled: 3-line block ×3, first 2 shown]
	s_delay_alu instid0(VALU_DEP_1)
	v_add_nc_u32_e32 v1, v0, v2
	ds_store_2addr_b64 v25, v[3:4], v[5:6] offset0:4 offset1:5
	ds_store_2addr_b64 v26, v[53:54], v[0:1] offset0:2 offset1:3
	s_waitcnt lgkmcnt(0)
	s_barrier
	buffer_gl0_inv
	ds_load_b32 v0, v22
	ds_load_b32 v1, v44
	;; [unrolled: 1-line block ×4, first 2 shown]
	s_waitcnt lgkmcnt(0)
	v_add_nc_u32_e32 v51, v0, v21
	v_add3_u32 v49, v24, v23, v1
	v_add3_u32 v48, v46, v45, v2
	;; [unrolled: 1-line block ×3, first 2 shown]
	s_delay_alu instid0(VALU_DEP_4) | instskip(NEXT) | instid1(VALU_DEP_4)
	v_lshlrev_b32_e32 v24, 1, v51
	v_lshlrev_b32_e32 v23, 1, v49
	s_delay_alu instid0(VALU_DEP_4) | instskip(NEXT) | instid1(VALU_DEP_4)
	v_lshlrev_b32_e32 v7, 1, v48
	v_lshlrev_b32_e32 v0, 1, v47
	s_cbranch_scc0 .LBB193_18
; %bb.34:
                                        ; implicit-def: $sgpr14
                                        ; implicit-def: $vgpr1_vgpr2
                                        ; implicit-def: $vgpr3_vgpr4
                                        ; implicit-def: $vgpr5_vgpr6
                                        ; implicit-def: $vgpr21_vgpr22
                                        ; implicit-def: $vgpr50
                                        ; implicit-def: $vgpr44
                                        ; implicit-def: $vgpr45
                                        ; implicit-def: $vgpr46
.LBB193_35:
	v_lshlrev_b32_e32 v9, 1, v8
	s_barrier
	buffer_gl0_inv
	ds_store_b16 v24, v40
	ds_store_b16 v23, v43
	;; [unrolled: 1-line block ×4, first 2 shown]
	s_waitcnt lgkmcnt(0)
	s_barrier
	buffer_gl0_inv
	ds_load_u16 v10, v9
	ds_load_u16 v11, v9 offset:512
	ds_load_u16 v12, v9 offset:1024
	;; [unrolled: 1-line block ×3, first 2 shown]
	v_mad_u64_u32 v[1:2], null, v51, 6, v[24:25]
	v_mad_u64_u32 v[2:3], null, v49, 6, v[23:24]
	;; [unrolled: 1-line block ×3, first 2 shown]
	s_waitcnt lgkmcnt(0)
	s_barrier
	s_delay_alu instid0(VALU_DEP_3)
	v_mad_u64_u32 v[4:5], null, v47, 6, v[0:1]
	buffer_gl0_inv
	ds_store_b64 v1, v[19:20]
	ds_store_b64 v2, v[17:18]
	;; [unrolled: 1-line block ×3, first 2 shown]
	v_mad_u32_u24 v0, v8, 6, v9
	s_add_u32 s0, s18, s26
	s_addc_u32 s1, s19, s27
	v_add_co_u32 v9, s0, s0, v9
	v_cmp_lt_i16_e32 vcc_lo, -1, v10
	ds_store_b64 v4, v[13:14]
	s_waitcnt lgkmcnt(0)
	s_barrier
	buffer_gl0_inv
	v_cndmask_b32_e64 v13, 0xffff8000, -1, vcc_lo
	v_cmp_lt_i16_e32 vcc_lo, -1, v11
	ds_load_2addr_stride64_b64 v[4:7], v0 offset1:4
	ds_load_2addr_stride64_b64 v[0:3], v0 offset0:8 offset1:12
	s_mov_b32 s2, 0
	v_xor_b32_e32 v15, v13, v10
	v_cndmask_b32_e64 v14, 0xffff8000, -1, vcc_lo
	v_cmp_lt_i16_e32 vcc_lo, -1, v12
	v_add_co_ci_u32_e64 v10, null, s1, 0, s0
	s_mov_b32 s0, -1
	s_delay_alu instid0(VALU_DEP_3) | instskip(SKIP_3) | instid1(VALU_DEP_3)
	v_xor_b32_e32 v14, v14, v11
	v_cndmask_b32_e64 v16, 0xffff8000, -1, vcc_lo
	v_cmp_lt_i16_e32 vcc_lo, -1, v21
	v_lshlrev_b32_e32 v11, 3, v8
	v_xor_b32_e32 v13, v16, v12
	v_cndmask_b32_e64 v17, 0xffff8000, -1, vcc_lo
	s_and_not1_b32 vcc_lo, exec_lo, s28
	s_delay_alu instid0(VALU_DEP_1)
	v_xor_b32_e32 v12, v17, v21
	s_cbranch_vccz .LBB193_39
; %bb.36:
	s_and_not1_b32 vcc_lo, exec_lo, s0
	s_cbranch_vccz .LBB193_40
.LBB193_37:
	s_and_saveexec_b32 s0, s2
	s_cbranch_execnz .LBB193_53
.LBB193_38:
	s_nop 0
	s_sendmsg sendmsg(MSG_DEALLOC_VGPRS)
	s_endpgm
.LBB193_39:
	s_lshl_b64 s[0:1], s[24:25], 3
	s_mov_b32 s2, -1
	s_add_u32 s4, s22, s0
	s_addc_u32 s5, s23, s1
	v_add_co_u32 v16, s0, s4, v11
	s_delay_alu instid0(VALU_DEP_1) | instskip(NEXT) | instid1(VALU_DEP_2)
	v_add_co_ci_u32_e64 v17, null, s5, 0, s0
	v_add_co_u32 v16, vcc_lo, 0x1000, v16
	s_delay_alu instid0(VALU_DEP_2)
	v_add_co_ci_u32_e32 v17, vcc_lo, 0, v17, vcc_lo
	s_clause 0x3
	global_store_b16 v[9:10], v15, off
	global_store_b16 v[9:10], v14, off offset:512
	global_store_b16 v[9:10], v13, off offset:1024
	;; [unrolled: 1-line block ×3, first 2 shown]
	s_waitcnt lgkmcnt(1)
	s_clause 0x1
	global_store_b64 v11, v[6:7], s[4:5] offset:2048
	global_store_b64 v11, v[4:5], s[4:5]
	s_waitcnt lgkmcnt(0)
	global_store_b64 v[16:17], v[0:1], off
	s_cbranch_execnz .LBB193_37
.LBB193_40:
	v_cmp_gt_u32_e32 vcc_lo, s16, v8
	s_and_saveexec_b32 s0, vcc_lo
	s_cbranch_execz .LBB193_42
; %bb.41:
	global_store_b16 v[9:10], v15, off
.LBB193_42:
	s_or_b32 exec_lo, exec_lo, s0
	v_add_nc_u32_e32 v15, 0x100, v8
	s_delay_alu instid0(VALU_DEP_1) | instskip(NEXT) | instid1(VALU_DEP_1)
	v_cmp_gt_u32_e64 s0, s16, v15
	s_and_saveexec_b32 s1, s0
	s_cbranch_execz .LBB193_44
; %bb.43:
	global_store_b16 v[9:10], v14, off offset:512
.LBB193_44:
	s_or_b32 exec_lo, exec_lo, s1
	v_add_nc_u32_e32 v14, 0x200, v8
	s_delay_alu instid0(VALU_DEP_1) | instskip(NEXT) | instid1(VALU_DEP_1)
	v_cmp_gt_u32_e64 s1, s16, v14
	s_and_saveexec_b32 s2, s1
	s_cbranch_execz .LBB193_46
; %bb.45:
	global_store_b16 v[9:10], v13, off offset:1024
.LBB193_46:
	;; [unrolled: 9-line block ×3, first 2 shown]
	s_or_b32 exec_lo, exec_lo, s3
	s_lshl_b64 s[4:5], s[24:25], 3
	s_delay_alu instid0(SALU_CYCLE_1) | instskip(SKIP_2) | instid1(VALU_DEP_1)
	s_add_u32 s3, s22, s4
	s_addc_u32 s4, s23, s5
	v_add_co_u32 v8, s3, s3, v11
	v_add_co_ci_u32_e64 v9, null, s4, 0, s3
	s_and_saveexec_b32 s3, vcc_lo
	s_cbranch_execnz .LBB193_57
; %bb.49:
	s_or_b32 exec_lo, exec_lo, s3
	s_and_saveexec_b32 s3, s0
	s_cbranch_execnz .LBB193_58
.LBB193_50:
	s_or_b32 exec_lo, exec_lo, s3
	s_and_saveexec_b32 s0, s1
	s_cbranch_execz .LBB193_52
.LBB193_51:
	s_waitcnt lgkmcnt(1)
	v_add_co_u32 v4, vcc_lo, 0x1000, v8
	v_add_co_ci_u32_e32 v5, vcc_lo, 0, v9, vcc_lo
	s_waitcnt lgkmcnt(0)
	global_store_b64 v[4:5], v[0:1], off
.LBB193_52:
	s_or_b32 exec_lo, exec_lo, s0
	s_and_saveexec_b32 s0, s2
	s_cbranch_execz .LBB193_38
.LBB193_53:
	s_lshl_b64 s[0:1], s[24:25], 3
	s_delay_alu instid0(SALU_CYCLE_1) | instskip(SKIP_3) | instid1(VALU_DEP_1)
	s_add_u32 s0, s22, s0
	s_addc_u32 s1, s23, s1
	s_waitcnt lgkmcnt(0)
	v_add_co_u32 v0, s0, s0, v11
	v_add_co_ci_u32_e64 v1, null, s1, 0, s0
	s_delay_alu instid0(VALU_DEP_2) | instskip(NEXT) | instid1(VALU_DEP_2)
	v_add_co_u32 v0, vcc_lo, 0x1000, v0
	v_add_co_ci_u32_e32 v1, vcc_lo, 0, v1, vcc_lo
	global_store_b64 v[0:1], v[2:3], off offset:2048
	s_nop 0
	s_sendmsg sendmsg(MSG_DEALLOC_VGPRS)
	s_endpgm
.LBB193_54:
	global_load_b64 v[1:2], v[9:10], off
	s_or_b32 exec_lo, exec_lo, s5
                                        ; implicit-def: $vgpr3_vgpr4
	s_and_saveexec_b32 s5, s2
	s_cbranch_execz .LBB193_13
.LBB193_55:
	global_load_b64 v[3:4], v[9:10], off offset:256
	s_or_b32 exec_lo, exec_lo, s5
                                        ; implicit-def: $vgpr5_vgpr6
	s_and_saveexec_b32 s2, s3
	s_cbranch_execz .LBB193_14
.LBB193_56:
	global_load_b64 v[5:6], v[9:10], off offset:512
	s_or_b32 exec_lo, exec_lo, s2
                                        ; implicit-def: $vgpr21_vgpr22
	s_and_saveexec_b32 s2, s4
	s_cbranch_execnz .LBB193_15
	s_branch .LBB193_16
.LBB193_57:
	s_waitcnt lgkmcnt(1)
	global_store_b64 v[8:9], v[4:5], off
	s_or_b32 exec_lo, exec_lo, s3
	s_and_saveexec_b32 s3, s0
	s_cbranch_execz .LBB193_50
.LBB193_58:
	s_waitcnt lgkmcnt(1)
	global_store_b64 v[8:9], v[6:7], off offset:2048
	s_or_b32 exec_lo, exec_lo, s3
	s_and_saveexec_b32 s0, s1
	s_cbranch_execnz .LBB193_51
	s_branch .LBB193_52
	.section	.rodata,"a",@progbits
	.p2align	6, 0x0
	.amdhsa_kernel _ZN7rocprim17ROCPRIM_304000_NS6detail28radix_sort_block_sort_kernelINS1_36wrapped_radix_sort_block_sort_configINS0_13kernel_configILj256ELj4ELj4294967295EEE6__halfN2at4cuda3cub6detail10OpaqueTypeILi8EEEEELb0EPKS6_PS6_PKSC_PSC_NS0_19identity_decomposerEEEvT1_T2_T3_T4_jT5_jj
		.amdhsa_group_segment_fixed_size 8224
		.amdhsa_private_segment_fixed_size 0
		.amdhsa_kernarg_size 304
		.amdhsa_user_sgpr_count 15
		.amdhsa_user_sgpr_dispatch_ptr 0
		.amdhsa_user_sgpr_queue_ptr 0
		.amdhsa_user_sgpr_kernarg_segment_ptr 1
		.amdhsa_user_sgpr_dispatch_id 0
		.amdhsa_user_sgpr_private_segment_size 0
		.amdhsa_wavefront_size32 1
		.amdhsa_uses_dynamic_stack 0
		.amdhsa_enable_private_segment 0
		.amdhsa_system_sgpr_workgroup_id_x 1
		.amdhsa_system_sgpr_workgroup_id_y 0
		.amdhsa_system_sgpr_workgroup_id_z 0
		.amdhsa_system_sgpr_workgroup_info 0
		.amdhsa_system_vgpr_workitem_id 2
		.amdhsa_next_free_vgpr 55
		.amdhsa_next_free_sgpr 32
		.amdhsa_reserve_vcc 1
		.amdhsa_float_round_mode_32 0
		.amdhsa_float_round_mode_16_64 0
		.amdhsa_float_denorm_mode_32 3
		.amdhsa_float_denorm_mode_16_64 3
		.amdhsa_dx10_clamp 1
		.amdhsa_ieee_mode 1
		.amdhsa_fp16_overflow 0
		.amdhsa_workgroup_processor_mode 1
		.amdhsa_memory_ordered 1
		.amdhsa_forward_progress 0
		.amdhsa_shared_vgpr_count 0
		.amdhsa_exception_fp_ieee_invalid_op 0
		.amdhsa_exception_fp_denorm_src 0
		.amdhsa_exception_fp_ieee_div_zero 0
		.amdhsa_exception_fp_ieee_overflow 0
		.amdhsa_exception_fp_ieee_underflow 0
		.amdhsa_exception_fp_ieee_inexact 0
		.amdhsa_exception_int_div_zero 0
	.end_amdhsa_kernel
	.section	.text._ZN7rocprim17ROCPRIM_304000_NS6detail28radix_sort_block_sort_kernelINS1_36wrapped_radix_sort_block_sort_configINS0_13kernel_configILj256ELj4ELj4294967295EEE6__halfN2at4cuda3cub6detail10OpaqueTypeILi8EEEEELb0EPKS6_PS6_PKSC_PSC_NS0_19identity_decomposerEEEvT1_T2_T3_T4_jT5_jj,"axG",@progbits,_ZN7rocprim17ROCPRIM_304000_NS6detail28radix_sort_block_sort_kernelINS1_36wrapped_radix_sort_block_sort_configINS0_13kernel_configILj256ELj4ELj4294967295EEE6__halfN2at4cuda3cub6detail10OpaqueTypeILi8EEEEELb0EPKS6_PS6_PKSC_PSC_NS0_19identity_decomposerEEEvT1_T2_T3_T4_jT5_jj,comdat
.Lfunc_end193:
	.size	_ZN7rocprim17ROCPRIM_304000_NS6detail28radix_sort_block_sort_kernelINS1_36wrapped_radix_sort_block_sort_configINS0_13kernel_configILj256ELj4ELj4294967295EEE6__halfN2at4cuda3cub6detail10OpaqueTypeILi8EEEEELb0EPKS6_PS6_PKSC_PSC_NS0_19identity_decomposerEEEvT1_T2_T3_T4_jT5_jj, .Lfunc_end193-_ZN7rocprim17ROCPRIM_304000_NS6detail28radix_sort_block_sort_kernelINS1_36wrapped_radix_sort_block_sort_configINS0_13kernel_configILj256ELj4ELj4294967295EEE6__halfN2at4cuda3cub6detail10OpaqueTypeILi8EEEEELb0EPKS6_PS6_PKSC_PSC_NS0_19identity_decomposerEEEvT1_T2_T3_T4_jT5_jj
                                        ; -- End function
	.section	.AMDGPU.csdata,"",@progbits
; Kernel info:
; codeLenInByte = 4388
; NumSgprs: 34
; NumVgprs: 55
; ScratchSize: 0
; MemoryBound: 0
; FloatMode: 240
; IeeeMode: 1
; LDSByteSize: 8224 bytes/workgroup (compile time only)
; SGPRBlocks: 4
; VGPRBlocks: 6
; NumSGPRsForWavesPerEU: 34
; NumVGPRsForWavesPerEU: 55
; Occupancy: 16
; WaveLimiterHint : 1
; COMPUTE_PGM_RSRC2:SCRATCH_EN: 0
; COMPUTE_PGM_RSRC2:USER_SGPR: 15
; COMPUTE_PGM_RSRC2:TRAP_HANDLER: 0
; COMPUTE_PGM_RSRC2:TGID_X_EN: 1
; COMPUTE_PGM_RSRC2:TGID_Y_EN: 0
; COMPUTE_PGM_RSRC2:TGID_Z_EN: 0
; COMPUTE_PGM_RSRC2:TIDIG_COMP_CNT: 2
	.section	.text._ZN7rocprim17ROCPRIM_304000_NS6detail45device_block_merge_mergepath_partition_kernelINS1_37wrapped_merge_sort_block_merge_configINS0_14default_configE6__halfN2at4cuda3cub6detail10OpaqueTypeILi8EEEEEPS5_jNS1_19radix_merge_compareILb0ELb0ES5_NS0_19identity_decomposerEEEEEvT0_T1_jPSI_T2_SI_,"axG",@progbits,_ZN7rocprim17ROCPRIM_304000_NS6detail45device_block_merge_mergepath_partition_kernelINS1_37wrapped_merge_sort_block_merge_configINS0_14default_configE6__halfN2at4cuda3cub6detail10OpaqueTypeILi8EEEEEPS5_jNS1_19radix_merge_compareILb0ELb0ES5_NS0_19identity_decomposerEEEEEvT0_T1_jPSI_T2_SI_,comdat
	.protected	_ZN7rocprim17ROCPRIM_304000_NS6detail45device_block_merge_mergepath_partition_kernelINS1_37wrapped_merge_sort_block_merge_configINS0_14default_configE6__halfN2at4cuda3cub6detail10OpaqueTypeILi8EEEEEPS5_jNS1_19radix_merge_compareILb0ELb0ES5_NS0_19identity_decomposerEEEEEvT0_T1_jPSI_T2_SI_ ; -- Begin function _ZN7rocprim17ROCPRIM_304000_NS6detail45device_block_merge_mergepath_partition_kernelINS1_37wrapped_merge_sort_block_merge_configINS0_14default_configE6__halfN2at4cuda3cub6detail10OpaqueTypeILi8EEEEEPS5_jNS1_19radix_merge_compareILb0ELb0ES5_NS0_19identity_decomposerEEEEEvT0_T1_jPSI_T2_SI_
	.globl	_ZN7rocprim17ROCPRIM_304000_NS6detail45device_block_merge_mergepath_partition_kernelINS1_37wrapped_merge_sort_block_merge_configINS0_14default_configE6__halfN2at4cuda3cub6detail10OpaqueTypeILi8EEEEEPS5_jNS1_19radix_merge_compareILb0ELb0ES5_NS0_19identity_decomposerEEEEEvT0_T1_jPSI_T2_SI_
	.p2align	8
	.type	_ZN7rocprim17ROCPRIM_304000_NS6detail45device_block_merge_mergepath_partition_kernelINS1_37wrapped_merge_sort_block_merge_configINS0_14default_configE6__halfN2at4cuda3cub6detail10OpaqueTypeILi8EEEEEPS5_jNS1_19radix_merge_compareILb0ELb0ES5_NS0_19identity_decomposerEEEEEvT0_T1_jPSI_T2_SI_,@function
_ZN7rocprim17ROCPRIM_304000_NS6detail45device_block_merge_mergepath_partition_kernelINS1_37wrapped_merge_sort_block_merge_configINS0_14default_configE6__halfN2at4cuda3cub6detail10OpaqueTypeILi8EEEEEPS5_jNS1_19radix_merge_compareILb0ELb0ES5_NS0_19identity_decomposerEEEEEvT0_T1_jPSI_T2_SI_: ; @_ZN7rocprim17ROCPRIM_304000_NS6detail45device_block_merge_mergepath_partition_kernelINS1_37wrapped_merge_sort_block_merge_configINS0_14default_configE6__halfN2at4cuda3cub6detail10OpaqueTypeILi8EEEEEPS5_jNS1_19radix_merge_compareILb0ELb0ES5_NS0_19identity_decomposerEEEEEvT0_T1_jPSI_T2_SI_
; %bb.0:
	s_load_b64 s[2:3], s[0:1], 0x8
	v_lshl_or_b32 v0, s15, 7, v0
	s_waitcnt lgkmcnt(0)
	s_delay_alu instid0(VALU_DEP_1)
	v_cmp_gt_u32_e32 vcc_lo, s3, v0
	s_and_saveexec_b32 s3, vcc_lo
	s_cbranch_execz .LBB194_6
; %bb.1:
	s_load_b32 s3, s[0:1], 0x1c
	s_waitcnt lgkmcnt(0)
	s_lshr_b32 s4, s3, 9
	s_delay_alu instid0(SALU_CYCLE_1) | instskip(NEXT) | instid1(SALU_CYCLE_1)
	s_and_b32 s4, s4, 0x7ffffe
	s_sub_i32 s5, 0, s4
	s_add_i32 s4, s4, -1
	v_and_b32_e32 v1, s5, v0
	v_and_b32_e32 v5, s4, v0
	s_delay_alu instid0(VALU_DEP_2) | instskip(NEXT) | instid1(VALU_DEP_1)
	v_lshlrev_b32_e32 v1, 10, v1
	v_add_nc_u32_e32 v2, s3, v1
	s_delay_alu instid0(VALU_DEP_1) | instskip(SKIP_1) | instid1(VALU_DEP_2)
	v_min_u32_e32 v4, s2, v2
	v_min_u32_e32 v2, s2, v1
	v_add_nc_u32_e32 v3, s3, v4
	s_mov_b32 s3, 0
	s_delay_alu instid0(VALU_DEP_1) | instskip(SKIP_2) | instid1(VALU_DEP_2)
	v_min_u32_e32 v1, s2, v3
	v_lshlrev_b32_e32 v3, 10, v5
	s_mov_b32 s2, exec_lo
	v_sub_nc_u32_e32 v5, v1, v2
	v_sub_nc_u32_e32 v6, v1, v4
	s_delay_alu instid0(VALU_DEP_2) | instskip(SKIP_1) | instid1(VALU_DEP_2)
	v_min_u32_e32 v1, v5, v3
	v_sub_nc_u32_e32 v3, v4, v2
	v_sub_nc_u32_e64 v6, v1, v6 clamp
	s_delay_alu instid0(VALU_DEP_2) | instskip(NEXT) | instid1(VALU_DEP_1)
	v_min_u32_e32 v7, v1, v3
	v_cmpx_lt_u32_e64 v6, v7
	s_cbranch_execz .LBB194_5
; %bb.2:
	s_load_b64 s[4:5], s[0:1], 0x0
	v_mov_b32_e32 v5, 0
	s_delay_alu instid0(VALU_DEP_1) | instskip(SKIP_1) | instid1(VALU_DEP_2)
	v_mov_b32_e32 v3, v5
	v_lshlrev_b64 v[10:11], 1, v[4:5]
	v_lshlrev_b64 v[8:9], 1, v[2:3]
	s_waitcnt lgkmcnt(0)
	s_delay_alu instid0(VALU_DEP_1) | instskip(NEXT) | instid1(VALU_DEP_2)
	v_add_co_u32 v3, vcc_lo, s4, v8
	v_add_co_ci_u32_e32 v8, vcc_lo, s5, v9, vcc_lo
	s_delay_alu instid0(VALU_DEP_4)
	v_add_co_u32 v9, vcc_lo, s4, v10
	v_add_co_ci_u32_e32 v10, vcc_lo, s5, v11, vcc_lo
	s_set_inst_prefetch_distance 0x1
	.p2align	6
.LBB194_3:                              ; =>This Inner Loop Header: Depth=1
	v_add_nc_u32_e32 v4, v7, v6
	s_delay_alu instid0(VALU_DEP_1) | instskip(SKIP_1) | instid1(VALU_DEP_2)
	v_lshrrev_b32_e32 v15, 1, v4
	v_and_b32_e32 v11, -2, v4
	v_xad_u32 v4, v15, -1, v1
	s_delay_alu instid0(VALU_DEP_2) | instskip(SKIP_1) | instid1(VALU_DEP_3)
	v_add_co_u32 v11, vcc_lo, v3, v11
	v_add_co_ci_u32_e32 v12, vcc_lo, 0, v8, vcc_lo
	v_lshlrev_b64 v[13:14], 1, v[4:5]
	s_delay_alu instid0(VALU_DEP_1) | instskip(NEXT) | instid1(VALU_DEP_2)
	v_add_co_u32 v13, vcc_lo, v9, v13
	v_add_co_ci_u32_e32 v14, vcc_lo, v10, v14, vcc_lo
	s_clause 0x1
	global_load_u16 v4, v[11:12], off
	global_load_u16 v11, v[13:14], off
	s_waitcnt vmcnt(1)
	v_cmp_ne_u16_e32 vcc_lo, 0x8000, v4
	v_cndmask_b32_e32 v4, 0, v4, vcc_lo
	s_waitcnt vmcnt(0)
	v_cmp_ne_u16_e32 vcc_lo, 0x8000, v11
	v_cndmask_b32_e32 v11, 0, v11, vcc_lo
	s_delay_alu instid0(VALU_DEP_3) | instskip(SKIP_1) | instid1(VALU_DEP_3)
	v_cmp_lt_i16_e32 vcc_lo, -1, v4
	v_cndmask_b32_e64 v12, -1, 0xffff8000, vcc_lo
	v_cmp_lt_i16_e32 vcc_lo, -1, v11
	s_delay_alu instid0(VALU_DEP_2) | instskip(SKIP_2) | instid1(VALU_DEP_2)
	v_xor_b32_e32 v4, v12, v4
	v_cndmask_b32_e64 v13, -1, 0xffff8000, vcc_lo
	v_add_nc_u32_e32 v12, 1, v15
	v_xor_b32_e32 v11, v13, v11
	s_delay_alu instid0(VALU_DEP_1) | instskip(NEXT) | instid1(VALU_DEP_3)
	v_cmp_gt_u16_e32 vcc_lo, v4, v11
	v_dual_cndmask_b32 v7, v7, v15 :: v_dual_cndmask_b32 v6, v12, v6
	s_delay_alu instid0(VALU_DEP_1) | instskip(SKIP_1) | instid1(SALU_CYCLE_1)
	v_cmp_ge_u32_e32 vcc_lo, v6, v7
	s_or_b32 s3, vcc_lo, s3
	s_and_not1_b32 exec_lo, exec_lo, s3
	s_cbranch_execnz .LBB194_3
; %bb.4:
	s_set_inst_prefetch_distance 0x2
	s_or_b32 exec_lo, exec_lo, s3
.LBB194_5:
	s_delay_alu instid0(SALU_CYCLE_1) | instskip(SKIP_2) | instid1(VALU_DEP_1)
	s_or_b32 exec_lo, exec_lo, s2
	s_load_b64 s[0:1], s[0:1], 0x10
	v_dual_mov_b32 v1, 0 :: v_dual_add_nc_u32 v2, v6, v2
	v_lshlrev_b64 v[0:1], 2, v[0:1]
	s_waitcnt lgkmcnt(0)
	s_delay_alu instid0(VALU_DEP_1) | instskip(NEXT) | instid1(VALU_DEP_2)
	v_add_co_u32 v0, vcc_lo, s0, v0
	v_add_co_ci_u32_e32 v1, vcc_lo, s1, v1, vcc_lo
	global_store_b32 v[0:1], v2, off
.LBB194_6:
	s_nop 0
	s_sendmsg sendmsg(MSG_DEALLOC_VGPRS)
	s_endpgm
	.section	.rodata,"a",@progbits
	.p2align	6, 0x0
	.amdhsa_kernel _ZN7rocprim17ROCPRIM_304000_NS6detail45device_block_merge_mergepath_partition_kernelINS1_37wrapped_merge_sort_block_merge_configINS0_14default_configE6__halfN2at4cuda3cub6detail10OpaqueTypeILi8EEEEEPS5_jNS1_19radix_merge_compareILb0ELb0ES5_NS0_19identity_decomposerEEEEEvT0_T1_jPSI_T2_SI_
		.amdhsa_group_segment_fixed_size 0
		.amdhsa_private_segment_fixed_size 0
		.amdhsa_kernarg_size 32
		.amdhsa_user_sgpr_count 15
		.amdhsa_user_sgpr_dispatch_ptr 0
		.amdhsa_user_sgpr_queue_ptr 0
		.amdhsa_user_sgpr_kernarg_segment_ptr 1
		.amdhsa_user_sgpr_dispatch_id 0
		.amdhsa_user_sgpr_private_segment_size 0
		.amdhsa_wavefront_size32 1
		.amdhsa_uses_dynamic_stack 0
		.amdhsa_enable_private_segment 0
		.amdhsa_system_sgpr_workgroup_id_x 1
		.amdhsa_system_sgpr_workgroup_id_y 0
		.amdhsa_system_sgpr_workgroup_id_z 0
		.amdhsa_system_sgpr_workgroup_info 0
		.amdhsa_system_vgpr_workitem_id 0
		.amdhsa_next_free_vgpr 16
		.amdhsa_next_free_sgpr 16
		.amdhsa_reserve_vcc 1
		.amdhsa_float_round_mode_32 0
		.amdhsa_float_round_mode_16_64 0
		.amdhsa_float_denorm_mode_32 3
		.amdhsa_float_denorm_mode_16_64 3
		.amdhsa_dx10_clamp 1
		.amdhsa_ieee_mode 1
		.amdhsa_fp16_overflow 0
		.amdhsa_workgroup_processor_mode 1
		.amdhsa_memory_ordered 1
		.amdhsa_forward_progress 0
		.amdhsa_shared_vgpr_count 0
		.amdhsa_exception_fp_ieee_invalid_op 0
		.amdhsa_exception_fp_denorm_src 0
		.amdhsa_exception_fp_ieee_div_zero 0
		.amdhsa_exception_fp_ieee_overflow 0
		.amdhsa_exception_fp_ieee_underflow 0
		.amdhsa_exception_fp_ieee_inexact 0
		.amdhsa_exception_int_div_zero 0
	.end_amdhsa_kernel
	.section	.text._ZN7rocprim17ROCPRIM_304000_NS6detail45device_block_merge_mergepath_partition_kernelINS1_37wrapped_merge_sort_block_merge_configINS0_14default_configE6__halfN2at4cuda3cub6detail10OpaqueTypeILi8EEEEEPS5_jNS1_19radix_merge_compareILb0ELb0ES5_NS0_19identity_decomposerEEEEEvT0_T1_jPSI_T2_SI_,"axG",@progbits,_ZN7rocprim17ROCPRIM_304000_NS6detail45device_block_merge_mergepath_partition_kernelINS1_37wrapped_merge_sort_block_merge_configINS0_14default_configE6__halfN2at4cuda3cub6detail10OpaqueTypeILi8EEEEEPS5_jNS1_19radix_merge_compareILb0ELb0ES5_NS0_19identity_decomposerEEEEEvT0_T1_jPSI_T2_SI_,comdat
.Lfunc_end194:
	.size	_ZN7rocprim17ROCPRIM_304000_NS6detail45device_block_merge_mergepath_partition_kernelINS1_37wrapped_merge_sort_block_merge_configINS0_14default_configE6__halfN2at4cuda3cub6detail10OpaqueTypeILi8EEEEEPS5_jNS1_19radix_merge_compareILb0ELb0ES5_NS0_19identity_decomposerEEEEEvT0_T1_jPSI_T2_SI_, .Lfunc_end194-_ZN7rocprim17ROCPRIM_304000_NS6detail45device_block_merge_mergepath_partition_kernelINS1_37wrapped_merge_sort_block_merge_configINS0_14default_configE6__halfN2at4cuda3cub6detail10OpaqueTypeILi8EEEEEPS5_jNS1_19radix_merge_compareILb0ELb0ES5_NS0_19identity_decomposerEEEEEvT0_T1_jPSI_T2_SI_
                                        ; -- End function
	.section	.AMDGPU.csdata,"",@progbits
; Kernel info:
; codeLenInByte = 536
; NumSgprs: 18
; NumVgprs: 16
; ScratchSize: 0
; MemoryBound: 0
; FloatMode: 240
; IeeeMode: 1
; LDSByteSize: 0 bytes/workgroup (compile time only)
; SGPRBlocks: 2
; VGPRBlocks: 1
; NumSGPRsForWavesPerEU: 18
; NumVGPRsForWavesPerEU: 16
; Occupancy: 16
; WaveLimiterHint : 0
; COMPUTE_PGM_RSRC2:SCRATCH_EN: 0
; COMPUTE_PGM_RSRC2:USER_SGPR: 15
; COMPUTE_PGM_RSRC2:TRAP_HANDLER: 0
; COMPUTE_PGM_RSRC2:TGID_X_EN: 1
; COMPUTE_PGM_RSRC2:TGID_Y_EN: 0
; COMPUTE_PGM_RSRC2:TGID_Z_EN: 0
; COMPUTE_PGM_RSRC2:TIDIG_COMP_CNT: 0
	.section	.text._ZN7rocprim17ROCPRIM_304000_NS6detail35device_block_merge_mergepath_kernelINS1_37wrapped_merge_sort_block_merge_configINS0_14default_configE6__halfN2at4cuda3cub6detail10OpaqueTypeILi8EEEEEPS5_SD_PSB_SE_jNS1_19radix_merge_compareILb0ELb0ES5_NS0_19identity_decomposerEEEEEvT0_T1_T2_T3_T4_SM_jT5_PKSM_NS1_7vsmem_tE,"axG",@progbits,_ZN7rocprim17ROCPRIM_304000_NS6detail35device_block_merge_mergepath_kernelINS1_37wrapped_merge_sort_block_merge_configINS0_14default_configE6__halfN2at4cuda3cub6detail10OpaqueTypeILi8EEEEEPS5_SD_PSB_SE_jNS1_19radix_merge_compareILb0ELb0ES5_NS0_19identity_decomposerEEEEEvT0_T1_T2_T3_T4_SM_jT5_PKSM_NS1_7vsmem_tE,comdat
	.protected	_ZN7rocprim17ROCPRIM_304000_NS6detail35device_block_merge_mergepath_kernelINS1_37wrapped_merge_sort_block_merge_configINS0_14default_configE6__halfN2at4cuda3cub6detail10OpaqueTypeILi8EEEEEPS5_SD_PSB_SE_jNS1_19radix_merge_compareILb0ELb0ES5_NS0_19identity_decomposerEEEEEvT0_T1_T2_T3_T4_SM_jT5_PKSM_NS1_7vsmem_tE ; -- Begin function _ZN7rocprim17ROCPRIM_304000_NS6detail35device_block_merge_mergepath_kernelINS1_37wrapped_merge_sort_block_merge_configINS0_14default_configE6__halfN2at4cuda3cub6detail10OpaqueTypeILi8EEEEEPS5_SD_PSB_SE_jNS1_19radix_merge_compareILb0ELb0ES5_NS0_19identity_decomposerEEEEEvT0_T1_T2_T3_T4_SM_jT5_PKSM_NS1_7vsmem_tE
	.globl	_ZN7rocprim17ROCPRIM_304000_NS6detail35device_block_merge_mergepath_kernelINS1_37wrapped_merge_sort_block_merge_configINS0_14default_configE6__halfN2at4cuda3cub6detail10OpaqueTypeILi8EEEEEPS5_SD_PSB_SE_jNS1_19radix_merge_compareILb0ELb0ES5_NS0_19identity_decomposerEEEEEvT0_T1_T2_T3_T4_SM_jT5_PKSM_NS1_7vsmem_tE
	.p2align	8
	.type	_ZN7rocprim17ROCPRIM_304000_NS6detail35device_block_merge_mergepath_kernelINS1_37wrapped_merge_sort_block_merge_configINS0_14default_configE6__halfN2at4cuda3cub6detail10OpaqueTypeILi8EEEEEPS5_SD_PSB_SE_jNS1_19radix_merge_compareILb0ELb0ES5_NS0_19identity_decomposerEEEEEvT0_T1_T2_T3_T4_SM_jT5_PKSM_NS1_7vsmem_tE,@function
_ZN7rocprim17ROCPRIM_304000_NS6detail35device_block_merge_mergepath_kernelINS1_37wrapped_merge_sort_block_merge_configINS0_14default_configE6__halfN2at4cuda3cub6detail10OpaqueTypeILi8EEEEEPS5_SD_PSB_SE_jNS1_19radix_merge_compareILb0ELb0ES5_NS0_19identity_decomposerEEEEEvT0_T1_T2_T3_T4_SM_jT5_PKSM_NS1_7vsmem_tE: ; @_ZN7rocprim17ROCPRIM_304000_NS6detail35device_block_merge_mergepath_kernelINS1_37wrapped_merge_sort_block_merge_configINS0_14default_configE6__halfN2at4cuda3cub6detail10OpaqueTypeILi8EEEEEPS5_SD_PSB_SE_jNS1_19radix_merge_compareILb0ELb0ES5_NS0_19identity_decomposerEEEEEvT0_T1_T2_T3_T4_SM_jT5_PKSM_NS1_7vsmem_tE
; %bb.0:
	s_clause 0x1
	s_load_b64 s[22:23], s[0:1], 0x40
	s_load_b128 s[8:11], s[0:1], 0x20
	s_add_u32 s20, s0, 64
	s_addc_u32 s21, s1, 0
	s_waitcnt lgkmcnt(0)
	s_mul_i32 s2, s23, s15
	s_delay_alu instid0(SALU_CYCLE_1) | instskip(NEXT) | instid1(SALU_CYCLE_1)
	s_add_i32 s2, s2, s14
	s_mul_i32 s2, s2, s22
	s_delay_alu instid0(SALU_CYCLE_1) | instskip(NEXT) | instid1(SALU_CYCLE_1)
	s_add_i32 s18, s2, s13
	s_cmp_ge_u32 s18, s10
	s_cbranch_scc1 .LBB195_61
; %bb.1:
	s_load_b64 s[2:3], s[0:1], 0x30
	s_lshr_b32 s28, s8, 10
	s_mov_b32 s15, 0
	s_cmp_lg_u32 s18, s28
	s_mov_b32 s19, s15
	s_cselect_b32 s12, -1, 0
	s_lshl_b64 s[4:5], s[18:19], 2
	v_mov_b32_e32 v4, 0
	s_mov_b32 s17, s15
	v_lshlrev_b32_e32 v5, 1, v0
	s_waitcnt lgkmcnt(0)
	s_add_u32 s2, s2, s4
	s_addc_u32 s3, s3, s5
	s_lshr_b32 s10, s9, 9
	s_load_b64 s[24:25], s[2:3], 0x0
	s_load_b256 s[0:7], s[0:1], 0x0
	global_load_b32 v1, v4, s[20:21] offset:14
	s_and_b32 s10, s10, 0x7ffffe
	s_delay_alu instid0(SALU_CYCLE_1)
	s_sub_i32 s11, 0, s10
	s_lshl_b32 s10, s18, 10
	s_and_b32 s14, s18, s11
	s_or_b32 s11, s18, s11
	s_lshl_b32 s16, s14, 11
	s_lshl_b32 s14, s14, 10
	s_add_i32 s16, s16, s9
	s_sub_i32 s19, s10, s14
	s_sub_i32 s14, s16, s14
	s_add_i32 s16, s16, s19
	s_min_u32 s19, s8, s14
	s_add_i32 s9, s14, s9
	s_waitcnt lgkmcnt(0)
	s_sub_i32 s14, s16, s24
	s_sub_i32 s23, s16, s25
	s_min_u32 s16, s8, s14
	s_addk_i32 s23, 0x400
	s_cmp_eq_u32 s11, -1
	s_mov_b32 s14, s24
	s_cselect_b32 s9, s9, s23
	s_cselect_b32 s11, s19, s25
	s_min_u32 s19, s9, s8
	s_lshl_b64 s[26:27], s[14:15], 1
	s_sub_i32 s9, s11, s24
	s_sub_i32 s11, s19, s16
	s_add_u32 s23, s0, s26
	s_addc_u32 s24, s1, s27
	s_lshl_b64 s[26:27], s[16:17], 1
	v_cmp_gt_u32_e32 vcc_lo, s9, v0
	s_add_u32 s19, s0, s26
	s_addc_u32 s1, s1, s27
	s_cmp_lt_u32 s13, s22
	s_cselect_b32 s0, 12, 18
	s_delay_alu instid0(SALU_CYCLE_1)
	s_add_u32 s20, s20, s0
	s_addc_u32 s21, s21, 0
	s_cmp_eq_u32 s18, s28
	s_mov_b32 s0, -1
	s_waitcnt vmcnt(0)
	v_lshrrev_b32_e32 v3, 16, v1
	v_and_b32_e32 v1, 0xffff, v1
	global_load_u16 v2, v4, s[20:21]
	v_mul_lo_u32 v1, v1, v3
	s_waitcnt vmcnt(0)
	s_delay_alu instid0(VALU_DEP_1) | instskip(NEXT) | instid1(VALU_DEP_1)
	v_mul_lo_u32 v1, v1, v2
	v_add_nc_u32_e32 v1, v1, v0
	s_cbranch_scc1 .LBB195_3
; %bb.2:
	v_subrev_nc_u32_e32 v3, s9, v0
	v_add_co_u32 v6, s0, s23, v5
	s_delay_alu instid0(VALU_DEP_1) | instskip(NEXT) | instid1(VALU_DEP_3)
	v_add_co_ci_u32_e64 v7, null, s24, 0, s0
	v_lshlrev_b64 v[2:3], 1, v[3:4]
	s_add_i32 s13, s11, s9
	s_mov_b32 s18, -1
	s_delay_alu instid0(VALU_DEP_1) | instskip(NEXT) | instid1(VALU_DEP_1)
	v_add_co_u32 v2, s0, s19, v2
	v_add_co_ci_u32_e64 v3, s0, s1, v3, s0
	s_delay_alu instid0(VALU_DEP_1) | instskip(SKIP_3) | instid1(VALU_DEP_2)
	v_dual_cndmask_b32 v2, v2, v6 :: v_dual_cndmask_b32 v3, v3, v7
	global_load_u16 v6, v[2:3], off
	v_mov_b32_e32 v2, v4
	v_subrev_nc_u32_e32 v3, s9, v1
	v_lshlrev_b64 v[7:8], 1, v[1:2]
	s_delay_alu instid0(VALU_DEP_2) | instskip(NEXT) | instid1(VALU_DEP_2)
	v_lshlrev_b64 v[2:3], 1, v[3:4]
	v_add_co_u32 v4, vcc_lo, s23, v7
	s_delay_alu instid0(VALU_DEP_3) | instskip(NEXT) | instid1(VALU_DEP_3)
	v_add_co_ci_u32_e32 v7, vcc_lo, s24, v8, vcc_lo
	v_add_co_u32 v2, vcc_lo, s19, v2
	s_delay_alu instid0(VALU_DEP_4) | instskip(SKIP_1) | instid1(VALU_DEP_2)
	v_add_co_ci_u32_e32 v3, vcc_lo, s1, v3, vcc_lo
	v_cmp_gt_u32_e32 vcc_lo, s9, v1
	v_dual_cndmask_b32 v3, v3, v7 :: v_dual_cndmask_b32 v2, v2, v4
	s_cbranch_execz .LBB195_4
	s_branch .LBB195_9
.LBB195_3:
	s_mov_b32 s18, s15
                                        ; implicit-def: $vgpr2_vgpr3
                                        ; implicit-def: $vgpr6
                                        ; implicit-def: $sgpr13
	s_and_not1_b32 vcc_lo, exec_lo, s0
	s_cbranch_vccnz .LBB195_9
.LBB195_4:
	s_add_i32 s13, s11, s9
	s_mov_b32 s0, exec_lo
                                        ; implicit-def: $vgpr6
	v_cmpx_gt_u32_e64 s13, v0
	s_cbranch_execz .LBB195_6
; %bb.5:
	v_subrev_nc_u32_e32 v2, s9, v0
	v_add_co_u32 v4, s20, s23, v5
	v_mov_b32_e32 v3, 0
	s_waitcnt vmcnt(0)
	v_add_co_ci_u32_e64 v6, null, s24, 0, s20
	s_delay_alu instid0(VALU_DEP_2) | instskip(NEXT) | instid1(VALU_DEP_1)
	v_lshlrev_b64 v[2:3], 1, v[2:3]
	v_add_co_u32 v2, vcc_lo, s19, v2
	s_delay_alu instid0(VALU_DEP_2) | instskip(SKIP_1) | instid1(VALU_DEP_2)
	v_add_co_ci_u32_e32 v3, vcc_lo, s1, v3, vcc_lo
	v_cmp_gt_u32_e32 vcc_lo, s9, v0
	v_dual_cndmask_b32 v2, v2, v4 :: v_dual_cndmask_b32 v3, v3, v6
	global_load_u16 v6, v[2:3], off
.LBB195_6:
	s_or_b32 exec_lo, exec_lo, s0
	s_delay_alu instid0(SALU_CYCLE_1)
	s_mov_b32 s20, exec_lo
                                        ; implicit-def: $vgpr2_vgpr3
	v_cmpx_gt_u32_e64 s13, v1
	s_cbranch_execz .LBB195_8
; %bb.7:
	v_mov_b32_e32 v2, 0
	s_or_b32 s18, s18, exec_lo
	s_delay_alu instid0(VALU_DEP_1) | instskip(NEXT) | instid1(VALU_DEP_1)
	v_lshlrev_b64 v[3:4], 1, v[1:2]
	v_add_co_u32 v7, vcc_lo, s23, v3
	s_delay_alu instid0(VALU_DEP_2) | instskip(SKIP_2) | instid1(VALU_DEP_1)
	v_add_co_ci_u32_e32 v3, vcc_lo, s24, v4, vcc_lo
	v_cmp_gt_u32_e32 vcc_lo, s9, v1
	v_subrev_nc_u32_e32 v1, s9, v1
	v_lshlrev_b64 v[1:2], 1, v[1:2]
	s_delay_alu instid0(VALU_DEP_1) | instskip(NEXT) | instid1(VALU_DEP_1)
	v_add_co_u32 v1, s0, s19, v1
	v_add_co_ci_u32_e64 v2, s0, s1, v2, s0
	s_delay_alu instid0(VALU_DEP_1) | instskip(NEXT) | instid1(VALU_DEP_3)
	v_cndmask_b32_e32 v3, v2, v3, vcc_lo
	v_cndmask_b32_e32 v2, v1, v7, vcc_lo
.LBB195_8:
	s_or_b32 exec_lo, exec_lo, s20
.LBB195_9:
	v_mov_b32_e32 v7, s13
                                        ; implicit-def: $vgpr8
	s_and_saveexec_b32 s0, s18
	s_cbranch_execz .LBB195_11
; %bb.10:
	global_load_u16 v8, v[2:3], off
	v_mov_b32_e32 v7, s13
.LBB195_11:
	s_or_b32 exec_lo, exec_lo, s0
	s_delay_alu instid0(VALU_DEP_1)
	v_min_u32_e32 v2, v7, v5
	s_mov_b32 s0, exec_lo
	s_waitcnt vmcnt(0)
	ds_store_b16 v5, v6
	ds_store_b16 v5, v8 offset:1024
	s_waitcnt lgkmcnt(0)
	s_barrier
	v_sub_nc_u32_e64 v1, v2, s11 clamp
	v_min_u32_e32 v3, s9, v2
	buffer_gl0_inv
	v_cmpx_lt_u32_e64 v1, v3
	s_cbranch_execz .LBB195_15
; %bb.12:
	v_lshlrev_b32_e32 v4, 1, v2
	s_mov_b32 s1, 0
	s_delay_alu instid0(VALU_DEP_1)
	v_lshl_add_u32 v4, s9, 1, v4
	s_set_inst_prefetch_distance 0x1
	.p2align	6
.LBB195_13:                             ; =>This Inner Loop Header: Depth=1
	v_add_nc_u32_e32 v9, v3, v1
	s_delay_alu instid0(VALU_DEP_1) | instskip(SKIP_1) | instid1(VALU_DEP_2)
	v_lshrrev_b32_e32 v10, 1, v9
	v_and_b32_e32 v9, -2, v9
	v_not_b32_e32 v11, v10
	s_delay_alu instid0(VALU_DEP_1)
	v_lshl_add_u32 v11, v11, 1, v4
	ds_load_u16 v9, v9
	ds_load_u16 v11, v11
	s_waitcnt lgkmcnt(1)
	v_cmp_ne_u16_e32 vcc_lo, 0x8000, v9
	v_cndmask_b32_e32 v9, 0, v9, vcc_lo
	s_waitcnt lgkmcnt(0)
	v_cmp_ne_u16_e32 vcc_lo, 0x8000, v11
	v_cndmask_b32_e32 v11, 0, v11, vcc_lo
	s_delay_alu instid0(VALU_DEP_3) | instskip(SKIP_1) | instid1(VALU_DEP_3)
	v_cmp_lt_i16_e32 vcc_lo, -1, v9
	v_cndmask_b32_e64 v12, -1, 0xffff8000, vcc_lo
	v_cmp_lt_i16_e32 vcc_lo, -1, v11
	s_delay_alu instid0(VALU_DEP_2) | instskip(SKIP_2) | instid1(VALU_DEP_1)
	v_xor_b32_e32 v9, v12, v9
	v_add_nc_u32_e32 v12, 1, v10
	v_cndmask_b32_e64 v13, -1, 0xffff8000, vcc_lo
	v_xor_b32_e32 v11, v13, v11
	s_delay_alu instid0(VALU_DEP_1) | instskip(SKIP_2) | instid1(VALU_DEP_1)
	v_cmp_gt_u16_e32 vcc_lo, v9, v11
	v_cndmask_b32_e32 v3, v3, v10, vcc_lo
	v_cndmask_b32_e32 v1, v12, v1, vcc_lo
	v_cmp_ge_u32_e32 vcc_lo, v1, v3
	s_or_b32 s1, vcc_lo, s1
	s_delay_alu instid0(SALU_CYCLE_1)
	s_and_not1_b32 exec_lo, exec_lo, s1
	s_cbranch_execnz .LBB195_13
; %bb.14:
	s_set_inst_prefetch_distance 0x2
	s_or_b32 exec_lo, exec_lo, s1
.LBB195_15:
	s_delay_alu instid0(SALU_CYCLE_1) | instskip(SKIP_2) | instid1(VALU_DEP_2)
	s_or_b32 exec_lo, exec_lo, s0
	v_sub_nc_u32_e32 v2, v2, v1
	v_cmp_ge_u32_e32 vcc_lo, s9, v1
                                        ; implicit-def: $vgpr10
                                        ; implicit-def: $vgpr11
	v_add_nc_u32_e32 v4, s9, v2
	s_delay_alu instid0(VALU_DEP_1) | instskip(NEXT) | instid1(VALU_DEP_1)
	v_cmp_le_u32_e64 s0, v4, v7
	s_or_b32 s0, vcc_lo, s0
	s_delay_alu instid0(SALU_CYCLE_1)
	s_and_saveexec_b32 s1, s0
	s_cbranch_execz .LBB195_27
; %bb.16:
	v_cmp_le_u32_e32 vcc_lo, s9, v1
	s_mov_b32 s13, exec_lo
                                        ; implicit-def: $vgpr2
	v_cmpx_gt_u32_e64 s9, v1
	s_cbranch_execz .LBB195_18
; %bb.17:
	v_lshlrev_b32_e32 v2, 1, v1
	ds_load_u16 v2, v2
.LBB195_18:
	s_or_b32 exec_lo, exec_lo, s13
	v_cmp_ge_u32_e64 s13, v4, v7
	s_mov_b32 s18, exec_lo
                                        ; implicit-def: $vgpr3
	v_cmpx_lt_u32_e64 v4, v7
	s_cbranch_execz .LBB195_20
; %bb.19:
	v_lshlrev_b32_e32 v3, 1, v4
	ds_load_u16 v3, v3
.LBB195_20:
	s_or_b32 exec_lo, exec_lo, s18
	s_or_b32 s18, vcc_lo, s13
	s_mov_b32 s0, -1
	s_xor_b32 s19, s18, -1
	s_delay_alu instid0(SALU_CYCLE_1)
	s_and_saveexec_b32 s18, s19
	s_cbranch_execz .LBB195_22
; %bb.21:
	s_waitcnt lgkmcnt(0)
	v_cmp_ne_u16_e32 vcc_lo, 0x8000, v2
	s_and_not1_b32 s13, s13, exec_lo
	v_cndmask_b32_e32 v6, 0, v2, vcc_lo
	v_cmp_ne_u16_e32 vcc_lo, 0x8000, v3
	v_cndmask_b32_e32 v8, 0, v3, vcc_lo
	s_delay_alu instid0(VALU_DEP_3) | instskip(SKIP_1) | instid1(VALU_DEP_3)
	v_cmp_lt_i16_e32 vcc_lo, -1, v6
	v_cndmask_b32_e64 v9, -1, 0xffff8000, vcc_lo
	v_cmp_lt_i16_e32 vcc_lo, -1, v8
	s_delay_alu instid0(VALU_DEP_2) | instskip(SKIP_1) | instid1(VALU_DEP_1)
	v_xor_b32_e32 v6, v9, v6
	v_cndmask_b32_e64 v10, -1, 0xffff8000, vcc_lo
	v_xor_b32_e32 v8, v10, v8
	s_delay_alu instid0(VALU_DEP_1) | instskip(SKIP_1) | instid1(SALU_CYCLE_1)
	v_cmp_le_u16_e32 vcc_lo, v6, v8
	s_and_b32 s19, vcc_lo, exec_lo
	s_or_b32 s13, s13, s19
.LBB195_22:
	s_or_b32 exec_lo, exec_lo, s18
	v_cndmask_b32_e64 v11, v4, v1, s13
	v_cndmask_b32_e64 v6, v7, s9, s13
	s_mov_b32 s18, exec_lo
	s_delay_alu instid0(VALU_DEP_2) | instskip(NEXT) | instid1(VALU_DEP_2)
	v_add_nc_u32_e32 v8, 1, v11
	v_add_nc_u32_e32 v6, -1, v6
	s_delay_alu instid0(VALU_DEP_2) | instskip(NEXT) | instid1(VALU_DEP_2)
	v_cndmask_b32_e64 v4, v8, v4, s13
	v_min_u32_e32 v6, v8, v6
	v_cndmask_b32_e64 v8, v1, v8, s13
	s_delay_alu instid0(VALU_DEP_2)
	v_lshlrev_b32_e32 v6, 1, v6
	ds_load_u16 v6, v6
	s_waitcnt lgkmcnt(0)
	v_cndmask_b32_e64 v1, v6, v3, s13
	v_cndmask_b32_e64 v9, v2, v6, s13
	v_cmpx_lt_u32_e64 v4, v7
	s_cbranch_execz .LBB195_26
; %bb.23:
	s_mov_b32 s19, 0
	s_mov_b32 s0, exec_lo
	v_cmpx_gt_u32_e64 s9, v8
	s_cbranch_execz .LBB195_25
; %bb.24:
	v_cmp_ne_u16_e32 vcc_lo, 0x8000, v9
	v_cndmask_b32_e32 v6, 0, v9, vcc_lo
	v_cmp_ne_u16_e32 vcc_lo, 0x8000, v1
	v_cndmask_b32_e32 v10, 0, v1, vcc_lo
	s_delay_alu instid0(VALU_DEP_3) | instskip(SKIP_1) | instid1(VALU_DEP_3)
	v_cmp_lt_i16_e32 vcc_lo, -1, v6
	v_cndmask_b32_e64 v12, -1, 0xffff8000, vcc_lo
	v_cmp_lt_i16_e32 vcc_lo, -1, v10
	s_delay_alu instid0(VALU_DEP_2) | instskip(SKIP_1) | instid1(VALU_DEP_1)
	v_xor_b32_e32 v6, v12, v6
	v_cndmask_b32_e64 v13, -1, 0xffff8000, vcc_lo
	v_xor_b32_e32 v10, v13, v10
	s_delay_alu instid0(VALU_DEP_1)
	v_cmp_le_u16_e32 vcc_lo, v6, v10
	s_and_b32 s19, vcc_lo, exec_lo
.LBB195_25:
	s_or_b32 exec_lo, exec_lo, s0
	s_delay_alu instid0(SALU_CYCLE_1)
	s_or_not1_b32 s0, s19, exec_lo
.LBB195_26:
	s_or_b32 exec_lo, exec_lo, s18
	v_cndmask_b32_e64 v6, v3, v2, s13
	v_cndmask_b32_e64 v10, v4, v8, s0
	;; [unrolled: 1-line block ×3, first 2 shown]
.LBB195_27:
	s_or_b32 exec_lo, exec_lo, s1
	s_lshl_b64 s[0:1], s[14:15], 3
	v_or_b32_e32 v9, 0x200, v0
	s_add_u32 s13, s4, s0
	s_addc_u32 s14, s5, s1
	s_lshl_b64 s[16:17], s[16:17], 3
	v_cmp_gt_u32_e64 s1, s9, v0
	v_cmp_le_u32_e64 s0, s9, v0
	s_add_u32 s4, s4, s16
	s_mov_b32 s15, 0
	s_addc_u32 s5, s5, s17
	s_and_not1_b32 vcc_lo, exec_lo, s12
	s_barrier
	buffer_gl0_inv
	s_cbranch_vccnz .LBB195_29
; %bb.28:
	v_subrev_nc_u32_e32 v1, s9, v0
	v_mov_b32_e32 v2, 0
	v_lshlrev_b32_e32 v14, 3, v0
	s_delay_alu instid0(VALU_DEP_2) | instskip(NEXT) | instid1(VALU_DEP_2)
	v_lshlrev_b64 v[3:4], 3, v[1:2]
	v_add_co_u32 v15, s15, s13, v14
	s_delay_alu instid0(VALU_DEP_1) | instskip(SKIP_1) | instid1(VALU_DEP_3)
	v_add_co_ci_u32_e64 v16, null, s14, 0, s15
	s_mov_b32 s15, -1
	v_add_co_u32 v1, vcc_lo, s4, v3
	s_delay_alu instid0(VALU_DEP_4) | instskip(NEXT) | instid1(VALU_DEP_1)
	v_add_co_ci_u32_e32 v3, vcc_lo, s5, v4, vcc_lo
	v_cndmask_b32_e64 v4, v3, v16, s1
	s_delay_alu instid0(VALU_DEP_3)
	v_cndmask_b32_e64 v3, v1, v15, s1
	v_subrev_nc_u32_e32 v1, s9, v9
	global_load_b64 v[12:13], v[3:4], off
	v_lshlrev_b64 v[1:2], 3, v[1:2]
	v_add_co_u32 v3, vcc_lo, 0x1000, v15
	v_add_co_ci_u32_e32 v4, vcc_lo, 0, v16, vcc_lo
	s_delay_alu instid0(VALU_DEP_3) | instskip(NEXT) | instid1(VALU_DEP_4)
	v_add_co_u32 v1, vcc_lo, s4, v1
	v_add_co_ci_u32_e32 v2, vcc_lo, s5, v2, vcc_lo
	v_cmp_gt_u32_e32 vcc_lo, s9, v9
	s_delay_alu instid0(VALU_DEP_2)
	v_dual_cndmask_b32 v1, v1, v3 :: v_dual_cndmask_b32 v2, v2, v4
	v_or_b32_e32 v4, 0x1000, v14
	s_waitcnt vmcnt(0)
	ds_store_b64 v14, v[12:13]
	s_cbranch_execz .LBB195_30
	s_branch .LBB195_41
.LBB195_29:
                                        ; implicit-def: $vgpr4
                                        ; implicit-def: $vgpr1_vgpr2
.LBB195_30:
	s_mov_b32 s1, 0
                                        ; implicit-def: $vgpr1_vgpr2
	s_and_saveexec_b32 s16, s0
	s_delay_alu instid0(SALU_CYCLE_1)
	s_xor_b32 s0, exec_lo, s16
	s_cbranch_execnz .LBB195_62
; %bb.31:
	s_and_not1_saveexec_b32 s0, s0
	s_cbranch_execnz .LBB195_65
.LBB195_32:
	s_or_b32 exec_lo, exec_lo, s0
	s_and_saveexec_b32 s0, s1
	s_cbranch_execz .LBB195_34
.LBB195_33:
	global_load_b64 v[1:2], v[1:2], off
	v_mad_u32_u24 v3, v0, 6, v5
	s_waitcnt vmcnt(0)
	ds_store_b64 v3, v[1:2]
.LBB195_34:
	s_or_b32 exec_lo, exec_lo, s0
	s_delay_alu instid0(SALU_CYCLE_1)
	s_mov_b32 s0, exec_lo
                                        ; implicit-def: $vgpr4
                                        ; implicit-def: $vgpr1_vgpr2
	v_cmpx_le_u32_e64 s9, v9
	s_xor_b32 s0, exec_lo, s0
	s_cbranch_execz .LBB195_38
; %bb.35:
	v_subrev_nc_u32_e32 v3, s9, v9
	s_mov_b32 s9, s15
	s_mov_b32 s1, exec_lo
                                        ; implicit-def: $vgpr4
                                        ; implicit-def: $vgpr1_vgpr2
	s_delay_alu instid0(VALU_DEP_1)
	v_cmpx_gt_u32_e64 s11, v3
; %bb.36:
	v_mov_b32_e32 v4, 0
	v_mul_u32_u24_e32 v12, 6, v0
	s_or_b32 s9, s15, exec_lo
	s_delay_alu instid0(VALU_DEP_2) | instskip(NEXT) | instid1(VALU_DEP_2)
	v_lshlrev_b64 v[1:2], 3, v[3:4]
	v_add3_u32 v4, v5, v12, 0x1000
	s_delay_alu instid0(VALU_DEP_2) | instskip(NEXT) | instid1(VALU_DEP_3)
	v_add_co_u32 v1, vcc_lo, s4, v1
	v_add_co_ci_u32_e32 v2, vcc_lo, s5, v2, vcc_lo
; %bb.37:
	s_or_b32 exec_lo, exec_lo, s1
	s_delay_alu instid0(SALU_CYCLE_1) | instskip(SKIP_1) | instid1(SALU_CYCLE_1)
	s_and_not1_b32 s1, s15, exec_lo
	s_and_b32 s4, s9, exec_lo
	s_or_b32 s15, s1, s4
.LBB195_38:
	s_and_not1_saveexec_b32 s0, s0
; %bb.39:
	v_lshlrev_b32_e32 v1, 3, v9
	v_mul_u32_u24_e32 v3, 6, v0
	s_or_b32 s15, s15, exec_lo
	s_delay_alu instid0(VALU_DEP_2) | instskip(NEXT) | instid1(VALU_DEP_1)
	v_add_co_u32 v1, s1, s13, v1
	v_add_co_ci_u32_e64 v2, null, s14, 0, s1
	s_delay_alu instid0(VALU_DEP_3)
	v_add3_u32 v4, v5, v3, 0x1000
; %bb.40:
	s_or_b32 exec_lo, exec_lo, s0
.LBB195_41:
	s_and_saveexec_b32 s0, s15
	s_cbranch_execz .LBB195_43
; %bb.42:
	global_load_b64 v[1:2], v[1:2], off
	s_waitcnt vmcnt(0)
	ds_store_b64 v4, v[1:2]
.LBB195_43:
	s_or_b32 exec_lo, exec_lo, s0
	v_add_nc_u32_e32 v1, s10, v5
	s_and_not1_b32 vcc_lo, exec_lo, s12
	s_waitcnt lgkmcnt(0)
	s_barrier
	buffer_gl0_inv
	s_cbranch_vccnz .LBB195_45
; %bb.44:
	v_lshlrev_b32_e32 v2, 3, v11
	s_mov_b32 s0, -1
	ds_load_b64 v[3:4], v2
	v_mov_b32_e32 v2, 0
	s_delay_alu instid0(VALU_DEP_1) | instskip(NEXT) | instid1(VALU_DEP_1)
	v_lshlrev_b64 v[12:13], 3, v[1:2]
	v_add_co_u32 v12, vcc_lo, s6, v12
	s_delay_alu instid0(VALU_DEP_2)
	v_add_co_ci_u32_e32 v13, vcc_lo, s7, v13, vcc_lo
	s_waitcnt lgkmcnt(0)
	global_store_b64 v[12:13], v[3:4], off
	s_cbranch_execz .LBB195_46
	s_branch .LBB195_51
.LBB195_45:
	s_mov_b32 s0, 0
.LBB195_46:
	s_mov_b32 s1, exec_lo
	v_cmpx_lt_u32_e64 v5, v7
	s_cbranch_execz .LBB195_48
; %bb.47:
	v_lshlrev_b32_e32 v2, 3, v11
	ds_load_b64 v[3:4], v2
	v_mov_b32_e32 v2, 0
	s_delay_alu instid0(VALU_DEP_1) | instskip(NEXT) | instid1(VALU_DEP_1)
	v_lshlrev_b64 v[11:12], 3, v[1:2]
	v_add_co_u32 v11, vcc_lo, s6, v11
	s_delay_alu instid0(VALU_DEP_2)
	v_add_co_ci_u32_e32 v12, vcc_lo, s7, v12, vcc_lo
	s_waitcnt lgkmcnt(0)
	global_store_b64 v[11:12], v[3:4], off
.LBB195_48:
	s_or_b32 exec_lo, exec_lo, s1
	v_or_b32_e32 v2, 1, v5
	s_mov_b32 s1, exec_lo
	s_delay_alu instid0(VALU_DEP_1)
	v_cmpx_lt_u32_e64 v2, v7
; %bb.49:
	v_mov_b32_e32 v2, 0
	s_or_b32 s0, s0, exec_lo
; %bb.50:
	s_or_b32 exec_lo, exec_lo, s1
.LBB195_51:
	s_and_saveexec_b32 s1, s0
	s_cbranch_execz .LBB195_53
; %bb.52:
	v_lshlrev_b32_e32 v3, 3, v10
	v_lshlrev_b64 v[1:2], 3, v[1:2]
	ds_load_b64 v[3:4], v3
	v_add_co_u32 v1, vcc_lo, s6, v1
	v_add_co_ci_u32_e32 v2, vcc_lo, s7, v2, vcc_lo
	s_waitcnt lgkmcnt(0)
	global_store_b64 v[1:2], v[3:4], off offset:8
.LBB195_53:
	s_or_b32 exec_lo, exec_lo, s1
	v_lshrrev_b32_e32 v1, 4, v0
	v_lshrrev_b32_e32 v3, 4, v9
	s_mov_b32 s11, 0
	v_perm_b32 v4, v8, v6, 0x5040100
	s_lshl_b64 s[0:1], s[10:11], 1
	v_and_b32_e32 v2, 30, v1
	v_and_b32_e32 v1, 28, v1
	;; [unrolled: 1-line block ×3, first 2 shown]
	s_add_u32 s0, s2, s0
	s_addc_u32 s1, s3, s1
	v_add_lshl_u32 v2, v2, v5, 1
	v_add_nc_u32_e32 v3, v5, v1
	v_add_co_u32 v1, s0, s0, v5
	s_waitcnt_vscnt null, 0x0
	s_barrier
	buffer_gl0_inv
	s_barrier
	buffer_gl0_inv
	ds_store_b32 v2, v4
	v_add_nc_u32_e32 v6, v5, v6
	v_add_co_ci_u32_e64 v2, null, s1, 0, s0
	s_and_b32 vcc_lo, exec_lo, s12
	s_waitcnt lgkmcnt(0)
	s_cbranch_vccz .LBB195_55
; %bb.54:
	s_barrier
	buffer_gl0_inv
	ds_load_u16 v5, v3
	ds_load_u16 v4, v6 offset:1024
	s_mov_b32 s11, -1
	s_waitcnt lgkmcnt(1)
	global_store_b16 v[1:2], v5, off
	s_cbranch_execz .LBB195_56
	s_branch .LBB195_59
.LBB195_55:
                                        ; implicit-def: $vgpr4
.LBB195_56:
	s_waitcnt lgkmcnt(0)
	s_waitcnt_vscnt null, 0x0
	s_barrier
	buffer_gl0_inv
	ds_load_u16 v4, v6 offset:1024
	s_sub_i32 s0, s8, s10
	s_mov_b32 s1, exec_lo
	v_cmpx_gt_u32_e64 s0, v0
	s_cbranch_execz .LBB195_58
; %bb.57:
	ds_load_u16 v0, v3
	s_waitcnt lgkmcnt(0)
	global_store_b16 v[1:2], v0, off
.LBB195_58:
	s_or_b32 exec_lo, exec_lo, s1
	v_cmp_gt_u32_e64 s11, s0, v9
.LBB195_59:
	s_delay_alu instid0(VALU_DEP_1)
	s_and_saveexec_b32 s0, s11
	s_cbranch_execz .LBB195_61
; %bb.60:
	s_waitcnt lgkmcnt(0)
	global_store_b16 v[1:2], v4, off offset:1024
.LBB195_61:
	s_nop 0
	s_sendmsg sendmsg(MSG_DEALLOC_VGPRS)
	s_endpgm
.LBB195_62:
	v_subrev_nc_u32_e32 v3, s9, v0
	s_mov_b32 s16, exec_lo
                                        ; implicit-def: $vgpr1_vgpr2
	s_delay_alu instid0(VALU_DEP_1)
	v_cmpx_gt_u32_e64 s11, v3
	s_xor_b32 s16, exec_lo, s16
; %bb.63:
	v_mov_b32_e32 v4, 0
	s_mov_b32 s1, exec_lo
	s_delay_alu instid0(VALU_DEP_1) | instskip(NEXT) | instid1(VALU_DEP_1)
	v_lshlrev_b64 v[1:2], 3, v[3:4]
	v_add_co_u32 v1, vcc_lo, s4, v1
	s_delay_alu instid0(VALU_DEP_2)
	v_add_co_ci_u32_e32 v2, vcc_lo, s5, v2, vcc_lo
; %bb.64:
	s_or_b32 exec_lo, exec_lo, s16
	s_delay_alu instid0(SALU_CYCLE_1)
	s_and_b32 s1, s1, exec_lo
	s_and_not1_saveexec_b32 s0, s0
	s_cbranch_execz .LBB195_32
.LBB195_65:
	v_lshlrev_b32_e32 v1, 3, v0
	s_or_b32 s1, s1, exec_lo
	s_delay_alu instid0(VALU_DEP_1) | instskip(NEXT) | instid1(VALU_DEP_1)
	v_add_co_u32 v1, s16, s13, v1
	v_add_co_ci_u32_e64 v2, null, s14, 0, s16
	s_or_b32 exec_lo, exec_lo, s0
	s_and_saveexec_b32 s0, s1
	s_cbranch_execnz .LBB195_33
	s_branch .LBB195_34
	.section	.rodata,"a",@progbits
	.p2align	6, 0x0
	.amdhsa_kernel _ZN7rocprim17ROCPRIM_304000_NS6detail35device_block_merge_mergepath_kernelINS1_37wrapped_merge_sort_block_merge_configINS0_14default_configE6__halfN2at4cuda3cub6detail10OpaqueTypeILi8EEEEEPS5_SD_PSB_SE_jNS1_19radix_merge_compareILb0ELb0ES5_NS0_19identity_decomposerEEEEEvT0_T1_T2_T3_T4_SM_jT5_PKSM_NS1_7vsmem_tE
		.amdhsa_group_segment_fixed_size 8208
		.amdhsa_private_segment_fixed_size 0
		.amdhsa_kernarg_size 320
		.amdhsa_user_sgpr_count 13
		.amdhsa_user_sgpr_dispatch_ptr 0
		.amdhsa_user_sgpr_queue_ptr 0
		.amdhsa_user_sgpr_kernarg_segment_ptr 1
		.amdhsa_user_sgpr_dispatch_id 0
		.amdhsa_user_sgpr_private_segment_size 0
		.amdhsa_wavefront_size32 1
		.amdhsa_uses_dynamic_stack 0
		.amdhsa_enable_private_segment 0
		.amdhsa_system_sgpr_workgroup_id_x 1
		.amdhsa_system_sgpr_workgroup_id_y 1
		.amdhsa_system_sgpr_workgroup_id_z 1
		.amdhsa_system_sgpr_workgroup_info 0
		.amdhsa_system_vgpr_workitem_id 0
		.amdhsa_next_free_vgpr 17
		.amdhsa_next_free_sgpr 29
		.amdhsa_reserve_vcc 1
		.amdhsa_float_round_mode_32 0
		.amdhsa_float_round_mode_16_64 0
		.amdhsa_float_denorm_mode_32 3
		.amdhsa_float_denorm_mode_16_64 3
		.amdhsa_dx10_clamp 1
		.amdhsa_ieee_mode 1
		.amdhsa_fp16_overflow 0
		.amdhsa_workgroup_processor_mode 1
		.amdhsa_memory_ordered 1
		.amdhsa_forward_progress 0
		.amdhsa_shared_vgpr_count 0
		.amdhsa_exception_fp_ieee_invalid_op 0
		.amdhsa_exception_fp_denorm_src 0
		.amdhsa_exception_fp_ieee_div_zero 0
		.amdhsa_exception_fp_ieee_overflow 0
		.amdhsa_exception_fp_ieee_underflow 0
		.amdhsa_exception_fp_ieee_inexact 0
		.amdhsa_exception_int_div_zero 0
	.end_amdhsa_kernel
	.section	.text._ZN7rocprim17ROCPRIM_304000_NS6detail35device_block_merge_mergepath_kernelINS1_37wrapped_merge_sort_block_merge_configINS0_14default_configE6__halfN2at4cuda3cub6detail10OpaqueTypeILi8EEEEEPS5_SD_PSB_SE_jNS1_19radix_merge_compareILb0ELb0ES5_NS0_19identity_decomposerEEEEEvT0_T1_T2_T3_T4_SM_jT5_PKSM_NS1_7vsmem_tE,"axG",@progbits,_ZN7rocprim17ROCPRIM_304000_NS6detail35device_block_merge_mergepath_kernelINS1_37wrapped_merge_sort_block_merge_configINS0_14default_configE6__halfN2at4cuda3cub6detail10OpaqueTypeILi8EEEEEPS5_SD_PSB_SE_jNS1_19radix_merge_compareILb0ELb0ES5_NS0_19identity_decomposerEEEEEvT0_T1_T2_T3_T4_SM_jT5_PKSM_NS1_7vsmem_tE,comdat
.Lfunc_end195:
	.size	_ZN7rocprim17ROCPRIM_304000_NS6detail35device_block_merge_mergepath_kernelINS1_37wrapped_merge_sort_block_merge_configINS0_14default_configE6__halfN2at4cuda3cub6detail10OpaqueTypeILi8EEEEEPS5_SD_PSB_SE_jNS1_19radix_merge_compareILb0ELb0ES5_NS0_19identity_decomposerEEEEEvT0_T1_T2_T3_T4_SM_jT5_PKSM_NS1_7vsmem_tE, .Lfunc_end195-_ZN7rocprim17ROCPRIM_304000_NS6detail35device_block_merge_mergepath_kernelINS1_37wrapped_merge_sort_block_merge_configINS0_14default_configE6__halfN2at4cuda3cub6detail10OpaqueTypeILi8EEEEEPS5_SD_PSB_SE_jNS1_19radix_merge_compareILb0ELb0ES5_NS0_19identity_decomposerEEEEEvT0_T1_T2_T3_T4_SM_jT5_PKSM_NS1_7vsmem_tE
                                        ; -- End function
	.section	.AMDGPU.csdata,"",@progbits
; Kernel info:
; codeLenInByte = 2764
; NumSgprs: 31
; NumVgprs: 17
; ScratchSize: 0
; MemoryBound: 1
; FloatMode: 240
; IeeeMode: 1
; LDSByteSize: 8208 bytes/workgroup (compile time only)
; SGPRBlocks: 3
; VGPRBlocks: 2
; NumSGPRsForWavesPerEU: 31
; NumVGPRsForWavesPerEU: 17
; Occupancy: 16
; WaveLimiterHint : 1
; COMPUTE_PGM_RSRC2:SCRATCH_EN: 0
; COMPUTE_PGM_RSRC2:USER_SGPR: 13
; COMPUTE_PGM_RSRC2:TRAP_HANDLER: 0
; COMPUTE_PGM_RSRC2:TGID_X_EN: 1
; COMPUTE_PGM_RSRC2:TGID_Y_EN: 1
; COMPUTE_PGM_RSRC2:TGID_Z_EN: 1
; COMPUTE_PGM_RSRC2:TIDIG_COMP_CNT: 0
	.section	.text._ZN7rocprim17ROCPRIM_304000_NS6detail33device_block_merge_oddeven_kernelINS1_37wrapped_merge_sort_block_merge_configINS0_14default_configE6__halfN2at4cuda3cub6detail10OpaqueTypeILi8EEEEEPS5_SD_PSB_SE_jNS1_19radix_merge_compareILb0ELb0ES5_NS0_19identity_decomposerEEEEEvT0_T1_T2_T3_T4_SM_T5_,"axG",@progbits,_ZN7rocprim17ROCPRIM_304000_NS6detail33device_block_merge_oddeven_kernelINS1_37wrapped_merge_sort_block_merge_configINS0_14default_configE6__halfN2at4cuda3cub6detail10OpaqueTypeILi8EEEEEPS5_SD_PSB_SE_jNS1_19radix_merge_compareILb0ELb0ES5_NS0_19identity_decomposerEEEEEvT0_T1_T2_T3_T4_SM_T5_,comdat
	.protected	_ZN7rocprim17ROCPRIM_304000_NS6detail33device_block_merge_oddeven_kernelINS1_37wrapped_merge_sort_block_merge_configINS0_14default_configE6__halfN2at4cuda3cub6detail10OpaqueTypeILi8EEEEEPS5_SD_PSB_SE_jNS1_19radix_merge_compareILb0ELb0ES5_NS0_19identity_decomposerEEEEEvT0_T1_T2_T3_T4_SM_T5_ ; -- Begin function _ZN7rocprim17ROCPRIM_304000_NS6detail33device_block_merge_oddeven_kernelINS1_37wrapped_merge_sort_block_merge_configINS0_14default_configE6__halfN2at4cuda3cub6detail10OpaqueTypeILi8EEEEEPS5_SD_PSB_SE_jNS1_19radix_merge_compareILb0ELb0ES5_NS0_19identity_decomposerEEEEEvT0_T1_T2_T3_T4_SM_T5_
	.globl	_ZN7rocprim17ROCPRIM_304000_NS6detail33device_block_merge_oddeven_kernelINS1_37wrapped_merge_sort_block_merge_configINS0_14default_configE6__halfN2at4cuda3cub6detail10OpaqueTypeILi8EEEEEPS5_SD_PSB_SE_jNS1_19radix_merge_compareILb0ELb0ES5_NS0_19identity_decomposerEEEEEvT0_T1_T2_T3_T4_SM_T5_
	.p2align	8
	.type	_ZN7rocprim17ROCPRIM_304000_NS6detail33device_block_merge_oddeven_kernelINS1_37wrapped_merge_sort_block_merge_configINS0_14default_configE6__halfN2at4cuda3cub6detail10OpaqueTypeILi8EEEEEPS5_SD_PSB_SE_jNS1_19radix_merge_compareILb0ELb0ES5_NS0_19identity_decomposerEEEEEvT0_T1_T2_T3_T4_SM_T5_,@function
_ZN7rocprim17ROCPRIM_304000_NS6detail33device_block_merge_oddeven_kernelINS1_37wrapped_merge_sort_block_merge_configINS0_14default_configE6__halfN2at4cuda3cub6detail10OpaqueTypeILi8EEEEEPS5_SD_PSB_SE_jNS1_19radix_merge_compareILb0ELb0ES5_NS0_19identity_decomposerEEEEEvT0_T1_T2_T3_T4_SM_T5_: ; @_ZN7rocprim17ROCPRIM_304000_NS6detail33device_block_merge_oddeven_kernelINS1_37wrapped_merge_sort_block_merge_configINS0_14default_configE6__halfN2at4cuda3cub6detail10OpaqueTypeILi8EEEEEPS5_SD_PSB_SE_jNS1_19radix_merge_compareILb0ELb0ES5_NS0_19identity_decomposerEEEEEvT0_T1_T2_T3_T4_SM_T5_
; %bb.0:
	s_load_b64 s[16:17], s[0:1], 0x20
	s_waitcnt lgkmcnt(0)
	s_lshr_b32 s2, s16, 8
	s_delay_alu instid0(SALU_CYCLE_1) | instskip(SKIP_4) | instid1(SALU_CYCLE_1)
	s_cmp_lg_u32 s15, s2
	s_cselect_b32 s4, -1, 0
	s_cmp_eq_u32 s15, s2
	s_cselect_b32 s3, -1, 0
	s_lshl_b32 s12, s15, 8
	s_sub_i32 s2, s16, s12
	s_delay_alu instid0(SALU_CYCLE_1) | instskip(NEXT) | instid1(VALU_DEP_1)
	v_cmp_gt_u32_e64 s2, s2, v0
	s_or_b32 s4, s4, s2
	s_delay_alu instid0(SALU_CYCLE_1)
	s_and_saveexec_b32 s5, s4
	s_cbranch_execz .LBB196_26
; %bb.1:
	s_load_b256 s[4:11], s[0:1], 0x0
	s_mov_b32 s13, 0
	v_lshlrev_b32_e32 v1, 3, v0
	s_lshl_b64 s[0:1], s[12:13], 1
	v_lshlrev_b32_e32 v3, 1, v0
	v_add_nc_u32_e32 v5, s12, v0
	s_waitcnt lgkmcnt(0)
	s_add_u32 s0, s4, s0
	s_addc_u32 s1, s5, s1
	s_lshl_b64 s[18:19], s[12:13], 3
	s_delay_alu instid0(SALU_CYCLE_1) | instskip(SKIP_4) | instid1(SALU_CYCLE_1)
	s_add_u32 s8, s8, s18
	s_addc_u32 s9, s9, s19
	global_load_b64 v[1:2], v1, s[8:9]
	global_load_u16 v7, v3, s[0:1]
	s_lshr_b32 s0, s17, 8
	s_sub_i32 s1, 0, s0
	s_delay_alu instid0(SALU_CYCLE_1) | instskip(NEXT) | instid1(SALU_CYCLE_1)
	s_and_b32 s1, s15, s1
	s_and_b32 s0, s1, s0
	s_lshl_b32 s9, s1, 8
	s_sub_i32 s1, 0, s17
	s_cmp_eq_u32 s0, 0
	s_cselect_b32 s0, -1, 0
	s_delay_alu instid0(SALU_CYCLE_1) | instskip(SKIP_1) | instid1(SALU_CYCLE_1)
	s_and_b32 s8, s0, exec_lo
	s_cselect_b32 s1, s17, s1
	s_add_i32 s1, s1, s9
	s_delay_alu instid0(SALU_CYCLE_1)
	s_cmp_lt_u32 s1, s16
	s_cbranch_scc1 .LBB196_6
; %bb.2:
	s_and_b32 vcc_lo, exec_lo, s3
	s_cbranch_vccz .LBB196_7
; %bb.3:
	s_mov_b32 s8, 0
	s_mov_b32 s12, exec_lo
                                        ; implicit-def: $vgpr3_vgpr4
	v_cmpx_gt_u32_e64 s16, v5
	s_cbranch_execz .LBB196_5
; %bb.4:
	v_mov_b32_e32 v6, 0
	s_mov_b32 s13, exec_lo
	s_delay_alu instid0(VALU_DEP_1) | instskip(SKIP_1) | instid1(VALU_DEP_2)
	v_lshlrev_b64 v[3:4], 1, v[5:6]
	v_lshlrev_b64 v[8:9], 3, v[5:6]
	v_add_co_u32 v10, vcc_lo, s6, v3
	s_delay_alu instid0(VALU_DEP_3) | instskip(NEXT) | instid1(VALU_DEP_3)
	v_add_co_ci_u32_e32 v11, vcc_lo, s7, v4, vcc_lo
	v_add_co_u32 v3, vcc_lo, s10, v8
	s_delay_alu instid0(VALU_DEP_4)
	v_add_co_ci_u32_e32 v4, vcc_lo, s11, v9, vcc_lo
	s_waitcnt vmcnt(0)
	global_store_b16 v[10:11], v7, off
.LBB196_5:
	s_or_b32 exec_lo, exec_lo, s12
	s_delay_alu instid0(SALU_CYCLE_1)
	s_and_b32 vcc_lo, exec_lo, s8
	s_cbranch_vccnz .LBB196_8
	s_branch .LBB196_9
.LBB196_6:
                                        ; implicit-def: $vgpr3_vgpr4
	s_cbranch_execnz .LBB196_10
	s_branch .LBB196_24
.LBB196_7:
                                        ; implicit-def: $vgpr3_vgpr4
	s_cbranch_execz .LBB196_9
.LBB196_8:
	v_mov_b32_e32 v6, 0
	s_or_b32 s13, s13, exec_lo
	s_delay_alu instid0(VALU_DEP_1) | instskip(SKIP_1) | instid1(VALU_DEP_2)
	v_lshlrev_b64 v[3:4], 1, v[5:6]
	v_lshlrev_b64 v[8:9], 3, v[5:6]
	v_add_co_u32 v10, vcc_lo, s6, v3
	s_delay_alu instid0(VALU_DEP_3) | instskip(NEXT) | instid1(VALU_DEP_3)
	v_add_co_ci_u32_e32 v11, vcc_lo, s7, v4, vcc_lo
	v_add_co_u32 v3, vcc_lo, s10, v8
	s_delay_alu instid0(VALU_DEP_4)
	v_add_co_ci_u32_e32 v4, vcc_lo, s11, v9, vcc_lo
	s_waitcnt vmcnt(0)
	global_store_b16 v[10:11], v7, off
.LBB196_9:
	s_branch .LBB196_24
.LBB196_10:
	s_min_u32 s8, s1, s16
	s_and_b32 vcc_lo, exec_lo, s3
	s_add_i32 s12, s9, s8
	s_min_u32 s9, s9, s8
	v_subrev_nc_u32_e32 v0, s12, v5
	s_add_i32 s12, s8, s17
	s_delay_alu instid0(SALU_CYCLE_1) | instskip(NEXT) | instid1(VALU_DEP_1)
	s_min_u32 s3, s12, s16
	v_add_nc_u32_e32 v0, s9, v0
	s_cbranch_vccz .LBB196_18
; %bb.11:
                                        ; implicit-def: $vgpr3_vgpr4
	s_and_saveexec_b32 s9, s2
	s_cbranch_execz .LBB196_17
; %bb.12:
	v_mov_b32_e32 v3, s8
	s_cmp_ge_u32 s1, s3
	s_cbranch_scc1 .LBB196_16
; %bb.13:
	s_waitcnt vmcnt(0)
	v_cmp_ne_u16_e32 vcc_lo, 0x8000, v7
	s_mov_b32 s2, 0
	v_dual_mov_b32 v4, s3 :: v_dual_cndmask_b32 v3, 0, v7
	s_delay_alu instid0(VALU_DEP_1) | instskip(SKIP_1) | instid1(VALU_DEP_1)
	v_cmp_lt_i16_e32 vcc_lo, -1, v3
	v_cndmask_b32_e64 v5, -1, 0xffff8000, vcc_lo
	v_xor_b32_e32 v5, v5, v3
	v_mov_b32_e32 v3, s8
	.p2align	6
.LBB196_14:                             ; =>This Inner Loop Header: Depth=1
	s_delay_alu instid0(VALU_DEP_1) | instskip(NEXT) | instid1(VALU_DEP_1)
	v_add_nc_u32_e32 v6, v3, v4
	v_and_b32_e32 v8, -2, v6
	v_lshrrev_b32_e32 v6, 1, v6
	global_load_u16 v8, v8, s[4:5]
	s_waitcnt vmcnt(0)
	v_cmp_ne_u16_e32 vcc_lo, 0x8000, v8
	v_cndmask_b32_e32 v8, 0, v8, vcc_lo
	s_delay_alu instid0(VALU_DEP_1) | instskip(SKIP_1) | instid1(VALU_DEP_1)
	v_cmp_lt_i16_e32 vcc_lo, -1, v8
	v_cndmask_b32_e64 v9, -1, 0xffff8000, vcc_lo
	v_xor_b32_e32 v8, v9, v8
	s_delay_alu instid0(VALU_DEP_1) | instskip(SKIP_3) | instid1(VALU_DEP_1)
	v_cmp_gt_u16_e32 vcc_lo, v5, v8
	v_cndmask_b32_e64 v9, 0, 1, vcc_lo
	v_cmp_le_u16_e32 vcc_lo, v8, v5
	v_cndmask_b32_e64 v8, 0, 1, vcc_lo
	v_cndmask_b32_e64 v8, v8, v9, s0
	v_add_nc_u32_e32 v9, 1, v6
	s_delay_alu instid0(VALU_DEP_2) | instskip(NEXT) | instid1(VALU_DEP_1)
	v_and_b32_e32 v8, 1, v8
	v_cmp_eq_u32_e32 vcc_lo, 1, v8
	s_delay_alu instid0(VALU_DEP_3) | instskip(NEXT) | instid1(VALU_DEP_1)
	v_dual_cndmask_b32 v4, v6, v4 :: v_dual_cndmask_b32 v3, v3, v9
	v_cmp_ge_u32_e32 vcc_lo, v3, v4
	s_or_b32 s2, vcc_lo, s2
	s_delay_alu instid0(SALU_CYCLE_1)
	s_and_not1_b32 exec_lo, exec_lo, s2
	s_cbranch_execnz .LBB196_14
; %bb.15:
	s_or_b32 exec_lo, exec_lo, s2
.LBB196_16:
	s_delay_alu instid0(VALU_DEP_1) | instskip(SKIP_1) | instid1(VALU_DEP_1)
	v_dual_mov_b32 v4, 0 :: v_dual_add_nc_u32 v3, v3, v0
	s_or_b32 s13, s13, exec_lo
	v_lshlrev_b64 v[5:6], 1, v[3:4]
	v_lshlrev_b64 v[3:4], 3, v[3:4]
	s_delay_alu instid0(VALU_DEP_2) | instskip(NEXT) | instid1(VALU_DEP_3)
	v_add_co_u32 v5, vcc_lo, s6, v5
	v_add_co_ci_u32_e32 v6, vcc_lo, s7, v6, vcc_lo
	s_delay_alu instid0(VALU_DEP_3) | instskip(NEXT) | instid1(VALU_DEP_4)
	v_add_co_u32 v3, vcc_lo, s10, v3
	v_add_co_ci_u32_e32 v4, vcc_lo, s11, v4, vcc_lo
	s_waitcnt vmcnt(0)
	global_store_b16 v[5:6], v7, off
.LBB196_17:
	s_or_b32 exec_lo, exec_lo, s9
	s_branch .LBB196_24
.LBB196_18:
                                        ; implicit-def: $vgpr3_vgpr4
	s_cbranch_execz .LBB196_24
; %bb.19:
	v_mov_b32_e32 v3, s8
	s_cmp_ge_u32 s1, s3
	s_cbranch_scc1 .LBB196_23
; %bb.20:
	s_waitcnt vmcnt(0)
	v_cmp_ne_u16_e32 vcc_lo, 0x8000, v7
	s_mov_b32 s1, 0
	v_dual_mov_b32 v4, s3 :: v_dual_cndmask_b32 v3, 0, v7
	s_delay_alu instid0(VALU_DEP_1) | instskip(SKIP_1) | instid1(VALU_DEP_1)
	v_cmp_lt_i16_e32 vcc_lo, -1, v3
	v_cndmask_b32_e64 v5, -1, 0xffff8000, vcc_lo
	v_xor_b32_e32 v5, v5, v3
	v_mov_b32_e32 v3, s8
	.p2align	6
.LBB196_21:                             ; =>This Inner Loop Header: Depth=1
	s_delay_alu instid0(VALU_DEP_1) | instskip(NEXT) | instid1(VALU_DEP_1)
	v_add_nc_u32_e32 v6, v3, v4
	v_and_b32_e32 v8, -2, v6
	v_lshrrev_b32_e32 v6, 1, v6
	global_load_u16 v8, v8, s[4:5]
	s_waitcnt vmcnt(0)
	v_cmp_ne_u16_e32 vcc_lo, 0x8000, v8
	v_cndmask_b32_e32 v8, 0, v8, vcc_lo
	s_delay_alu instid0(VALU_DEP_1) | instskip(SKIP_1) | instid1(VALU_DEP_1)
	v_cmp_lt_i16_e32 vcc_lo, -1, v8
	v_cndmask_b32_e64 v9, -1, 0xffff8000, vcc_lo
	v_xor_b32_e32 v8, v9, v8
	s_delay_alu instid0(VALU_DEP_1) | instskip(SKIP_3) | instid1(VALU_DEP_1)
	v_cmp_gt_u16_e32 vcc_lo, v5, v8
	v_cndmask_b32_e64 v9, 0, 1, vcc_lo
	v_cmp_le_u16_e32 vcc_lo, v8, v5
	v_cndmask_b32_e64 v8, 0, 1, vcc_lo
	v_cndmask_b32_e64 v8, v8, v9, s0
	v_add_nc_u32_e32 v9, 1, v6
	s_delay_alu instid0(VALU_DEP_2) | instskip(NEXT) | instid1(VALU_DEP_1)
	v_and_b32_e32 v8, 1, v8
	v_cmp_eq_u32_e32 vcc_lo, 1, v8
	s_delay_alu instid0(VALU_DEP_3) | instskip(NEXT) | instid1(VALU_DEP_1)
	v_dual_cndmask_b32 v4, v6, v4 :: v_dual_cndmask_b32 v3, v3, v9
	v_cmp_ge_u32_e32 vcc_lo, v3, v4
	s_or_b32 s1, vcc_lo, s1
	s_delay_alu instid0(SALU_CYCLE_1)
	s_and_not1_b32 exec_lo, exec_lo, s1
	s_cbranch_execnz .LBB196_21
; %bb.22:
	s_or_b32 exec_lo, exec_lo, s1
.LBB196_23:
	s_delay_alu instid0(VALU_DEP_1) | instskip(SKIP_1) | instid1(VALU_DEP_1)
	v_dual_mov_b32 v4, 0 :: v_dual_add_nc_u32 v3, v3, v0
	s_mov_b32 s13, -1
	v_lshlrev_b64 v[5:6], 1, v[3:4]
	v_lshlrev_b64 v[3:4], 3, v[3:4]
	s_delay_alu instid0(VALU_DEP_2) | instskip(NEXT) | instid1(VALU_DEP_3)
	v_add_co_u32 v5, vcc_lo, s6, v5
	v_add_co_ci_u32_e32 v6, vcc_lo, s7, v6, vcc_lo
	s_delay_alu instid0(VALU_DEP_3) | instskip(NEXT) | instid1(VALU_DEP_4)
	v_add_co_u32 v3, vcc_lo, s10, v3
	v_add_co_ci_u32_e32 v4, vcc_lo, s11, v4, vcc_lo
	s_waitcnt vmcnt(0)
	global_store_b16 v[5:6], v7, off
.LBB196_24:
	s_and_b32 exec_lo, exec_lo, s13
	s_cbranch_execz .LBB196_26
; %bb.25:
	s_waitcnt vmcnt(1)
	global_store_b64 v[3:4], v[1:2], off
.LBB196_26:
	s_nop 0
	s_sendmsg sendmsg(MSG_DEALLOC_VGPRS)
	s_endpgm
	.section	.rodata,"a",@progbits
	.p2align	6, 0x0
	.amdhsa_kernel _ZN7rocprim17ROCPRIM_304000_NS6detail33device_block_merge_oddeven_kernelINS1_37wrapped_merge_sort_block_merge_configINS0_14default_configE6__halfN2at4cuda3cub6detail10OpaqueTypeILi8EEEEEPS5_SD_PSB_SE_jNS1_19radix_merge_compareILb0ELb0ES5_NS0_19identity_decomposerEEEEEvT0_T1_T2_T3_T4_SM_T5_
		.amdhsa_group_segment_fixed_size 0
		.amdhsa_private_segment_fixed_size 0
		.amdhsa_kernarg_size 44
		.amdhsa_user_sgpr_count 15
		.amdhsa_user_sgpr_dispatch_ptr 0
		.amdhsa_user_sgpr_queue_ptr 0
		.amdhsa_user_sgpr_kernarg_segment_ptr 1
		.amdhsa_user_sgpr_dispatch_id 0
		.amdhsa_user_sgpr_private_segment_size 0
		.amdhsa_wavefront_size32 1
		.amdhsa_uses_dynamic_stack 0
		.amdhsa_enable_private_segment 0
		.amdhsa_system_sgpr_workgroup_id_x 1
		.amdhsa_system_sgpr_workgroup_id_y 0
		.amdhsa_system_sgpr_workgroup_id_z 0
		.amdhsa_system_sgpr_workgroup_info 0
		.amdhsa_system_vgpr_workitem_id 0
		.amdhsa_next_free_vgpr 12
		.amdhsa_next_free_sgpr 20
		.amdhsa_reserve_vcc 1
		.amdhsa_float_round_mode_32 0
		.amdhsa_float_round_mode_16_64 0
		.amdhsa_float_denorm_mode_32 3
		.amdhsa_float_denorm_mode_16_64 3
		.amdhsa_dx10_clamp 1
		.amdhsa_ieee_mode 1
		.amdhsa_fp16_overflow 0
		.amdhsa_workgroup_processor_mode 1
		.amdhsa_memory_ordered 1
		.amdhsa_forward_progress 0
		.amdhsa_shared_vgpr_count 0
		.amdhsa_exception_fp_ieee_invalid_op 0
		.amdhsa_exception_fp_denorm_src 0
		.amdhsa_exception_fp_ieee_div_zero 0
		.amdhsa_exception_fp_ieee_overflow 0
		.amdhsa_exception_fp_ieee_underflow 0
		.amdhsa_exception_fp_ieee_inexact 0
		.amdhsa_exception_int_div_zero 0
	.end_amdhsa_kernel
	.section	.text._ZN7rocprim17ROCPRIM_304000_NS6detail33device_block_merge_oddeven_kernelINS1_37wrapped_merge_sort_block_merge_configINS0_14default_configE6__halfN2at4cuda3cub6detail10OpaqueTypeILi8EEEEEPS5_SD_PSB_SE_jNS1_19radix_merge_compareILb0ELb0ES5_NS0_19identity_decomposerEEEEEvT0_T1_T2_T3_T4_SM_T5_,"axG",@progbits,_ZN7rocprim17ROCPRIM_304000_NS6detail33device_block_merge_oddeven_kernelINS1_37wrapped_merge_sort_block_merge_configINS0_14default_configE6__halfN2at4cuda3cub6detail10OpaqueTypeILi8EEEEEPS5_SD_PSB_SE_jNS1_19radix_merge_compareILb0ELb0ES5_NS0_19identity_decomposerEEEEEvT0_T1_T2_T3_T4_SM_T5_,comdat
.Lfunc_end196:
	.size	_ZN7rocprim17ROCPRIM_304000_NS6detail33device_block_merge_oddeven_kernelINS1_37wrapped_merge_sort_block_merge_configINS0_14default_configE6__halfN2at4cuda3cub6detail10OpaqueTypeILi8EEEEEPS5_SD_PSB_SE_jNS1_19radix_merge_compareILb0ELb0ES5_NS0_19identity_decomposerEEEEEvT0_T1_T2_T3_T4_SM_T5_, .Lfunc_end196-_ZN7rocprim17ROCPRIM_304000_NS6detail33device_block_merge_oddeven_kernelINS1_37wrapped_merge_sort_block_merge_configINS0_14default_configE6__halfN2at4cuda3cub6detail10OpaqueTypeILi8EEEEEPS5_SD_PSB_SE_jNS1_19radix_merge_compareILb0ELb0ES5_NS0_19identity_decomposerEEEEEvT0_T1_T2_T3_T4_SM_T5_
                                        ; -- End function
	.section	.AMDGPU.csdata,"",@progbits
; Kernel info:
; codeLenInByte = 1092
; NumSgprs: 22
; NumVgprs: 12
; ScratchSize: 0
; MemoryBound: 0
; FloatMode: 240
; IeeeMode: 1
; LDSByteSize: 0 bytes/workgroup (compile time only)
; SGPRBlocks: 2
; VGPRBlocks: 1
; NumSGPRsForWavesPerEU: 22
; NumVGPRsForWavesPerEU: 12
; Occupancy: 16
; WaveLimiterHint : 0
; COMPUTE_PGM_RSRC2:SCRATCH_EN: 0
; COMPUTE_PGM_RSRC2:USER_SGPR: 15
; COMPUTE_PGM_RSRC2:TRAP_HANDLER: 0
; COMPUTE_PGM_RSRC2:TGID_X_EN: 1
; COMPUTE_PGM_RSRC2:TGID_Y_EN: 0
; COMPUTE_PGM_RSRC2:TGID_Z_EN: 0
; COMPUTE_PGM_RSRC2:TIDIG_COMP_CNT: 0
	.section	.text._ZN7rocprim17ROCPRIM_304000_NS6detail26onesweep_histograms_kernelINS1_34wrapped_radix_sort_onesweep_configINS0_14default_configE6__halfN2at4cuda3cub6detail10OpaqueTypeILi8EEEEELb0EPKS5_mNS0_19identity_decomposerEEEvT1_PT2_SH_SH_T3_jj,"axG",@progbits,_ZN7rocprim17ROCPRIM_304000_NS6detail26onesweep_histograms_kernelINS1_34wrapped_radix_sort_onesweep_configINS0_14default_configE6__halfN2at4cuda3cub6detail10OpaqueTypeILi8EEEEELb0EPKS5_mNS0_19identity_decomposerEEEvT1_PT2_SH_SH_T3_jj,comdat
	.protected	_ZN7rocprim17ROCPRIM_304000_NS6detail26onesweep_histograms_kernelINS1_34wrapped_radix_sort_onesweep_configINS0_14default_configE6__halfN2at4cuda3cub6detail10OpaqueTypeILi8EEEEELb0EPKS5_mNS0_19identity_decomposerEEEvT1_PT2_SH_SH_T3_jj ; -- Begin function _ZN7rocprim17ROCPRIM_304000_NS6detail26onesweep_histograms_kernelINS1_34wrapped_radix_sort_onesweep_configINS0_14default_configE6__halfN2at4cuda3cub6detail10OpaqueTypeILi8EEEEELb0EPKS5_mNS0_19identity_decomposerEEEvT1_PT2_SH_SH_T3_jj
	.globl	_ZN7rocprim17ROCPRIM_304000_NS6detail26onesweep_histograms_kernelINS1_34wrapped_radix_sort_onesweep_configINS0_14default_configE6__halfN2at4cuda3cub6detail10OpaqueTypeILi8EEEEELb0EPKS5_mNS0_19identity_decomposerEEEvT1_PT2_SH_SH_T3_jj
	.p2align	8
	.type	_ZN7rocprim17ROCPRIM_304000_NS6detail26onesweep_histograms_kernelINS1_34wrapped_radix_sort_onesweep_configINS0_14default_configE6__halfN2at4cuda3cub6detail10OpaqueTypeILi8EEEEELb0EPKS5_mNS0_19identity_decomposerEEEvT1_PT2_SH_SH_T3_jj,@function
_ZN7rocprim17ROCPRIM_304000_NS6detail26onesweep_histograms_kernelINS1_34wrapped_radix_sort_onesweep_configINS0_14default_configE6__halfN2at4cuda3cub6detail10OpaqueTypeILi8EEEEELb0EPKS5_mNS0_19identity_decomposerEEEvT1_PT2_SH_SH_T3_jj: ; @_ZN7rocprim17ROCPRIM_304000_NS6detail26onesweep_histograms_kernelINS1_34wrapped_radix_sort_onesweep_configINS0_14default_configE6__halfN2at4cuda3cub6detail10OpaqueTypeILi8EEEEELb0EPKS5_mNS0_19identity_decomposerEEEvT1_PT2_SH_SH_T3_jj
; %bb.0:
	s_clause 0x1
	s_load_b256 s[4:11], s[0:1], 0x0
	s_load_b64 s[12:13], s[0:1], 0x24
	s_mov_b32 s2, s15
	s_mov_b32 s3, 0
	v_lshlrev_b32_e32 v3, 1, v0
	s_lshl_b64 s[0:1], s[2:3], 13
	s_waitcnt lgkmcnt(0)
	v_cmp_ge_u64_e64 s9, s[2:3], s[10:11]
	s_add_u32 s4, s4, s0
	s_addc_u32 s5, s5, s1
	s_mov_b32 s0, -1
	s_delay_alu instid0(VALU_DEP_1)
	s_and_b32 vcc_lo, exec_lo, s9
	s_cbranch_vccz .LBB197_34
; %bb.1:
	s_lshl_b32 s0, s10, 12
                                        ; implicit-def: $vgpr7
	s_delay_alu instid0(SALU_CYCLE_1) | instskip(SKIP_1) | instid1(VALU_DEP_1)
	s_sub_i32 s3, s8, s0
	v_add_co_u32 v1, s0, s4, v3
	v_add_co_ci_u32_e64 v2, null, s5, 0, s0
	v_cmp_gt_u32_e64 s2, s3, v0
	s_delay_alu instid0(VALU_DEP_1)
	s_and_saveexec_b32 s0, s2
	s_cbranch_execz .LBB197_3
; %bb.2:
	global_load_u16 v7, v[1:2], off
.LBB197_3:
	s_or_b32 exec_lo, exec_lo, s0
	v_or_b32_e32 v4, 0x400, v0
                                        ; implicit-def: $vgpr6
	s_delay_alu instid0(VALU_DEP_1) | instskip(NEXT) | instid1(VALU_DEP_1)
	v_cmp_gt_u32_e64 s1, s3, v4
	s_and_saveexec_b32 s0, s1
	s_cbranch_execz .LBB197_5
; %bb.4:
	global_load_u16 v6, v[1:2], off offset:2048
.LBB197_5:
	s_or_b32 exec_lo, exec_lo, s0
	v_or_b32_e32 v4, 0x800, v0
                                        ; implicit-def: $vgpr5
	s_delay_alu instid0(VALU_DEP_1) | instskip(NEXT) | instid1(VALU_DEP_1)
	v_cmp_gt_u32_e64 s0, s3, v4
	s_and_saveexec_b32 s8, s0
	s_cbranch_execz .LBB197_7
; %bb.6:
	v_add_co_u32 v4, vcc_lo, 0x1000, v1
	v_add_co_ci_u32_e32 v5, vcc_lo, 0, v2, vcc_lo
	global_load_u16 v5, v[4:5], off
.LBB197_7:
	s_or_b32 exec_lo, exec_lo, s8
	v_or_b32_e32 v4, 0xc00, v0
	s_delay_alu instid0(VALU_DEP_1)
	v_cmp_gt_u32_e32 vcc_lo, s3, v4
                                        ; implicit-def: $vgpr4
	s_and_saveexec_b32 s8, vcc_lo
	s_cbranch_execz .LBB197_9
; %bb.8:
	v_add_co_u32 v1, s3, 0x1000, v1
	s_delay_alu instid0(VALU_DEP_1)
	v_add_co_ci_u32_e64 v2, s3, 0, v2, s3
	global_load_u16 v4, v[1:2], off offset:2048
.LBB197_9:
	s_or_b32 exec_lo, exec_lo, s8
	v_or_b32_e32 v1, 0xfffffc00, v0
	v_lshlrev_b32_e32 v2, 2, v0
	v_mov_b32_e32 v8, 0
	s_mov_b32 s3, 0
.LBB197_10:                             ; =>This Inner Loop Header: Depth=1
	s_delay_alu instid0(VALU_DEP_3) | instskip(NEXT) | instid1(VALU_DEP_1)
	v_add_co_u32 v1, s8, 0x400, v1
	s_xor_b32 s8, s8, -1
	ds_store_b32 v2, v8
	v_add_nc_u32_e32 v2, 0x1000, v2
	s_and_b32 s8, exec_lo, s8
	s_delay_alu instid0(SALU_CYCLE_1) | instskip(NEXT) | instid1(SALU_CYCLE_1)
	s_or_b32 s3, s8, s3
	s_and_not1_b32 exec_lo, exec_lo, s3
	s_cbranch_execnz .LBB197_10
; %bb.11:
	s_or_b32 exec_lo, exec_lo, s3
	s_cmp_gt_u32 s13, s12
	s_waitcnt vmcnt(0) lgkmcnt(0)
	s_cselect_b32 s8, -1, 0
	s_cmp_le_u32 s13, s12
	s_barrier
	buffer_gl0_inv
	s_cbranch_scc1 .LBB197_28
; %bb.12:
	v_cmp_lt_i16_e64 s3, -1, v7
	v_and_b32_e32 v2, 3, v0
	s_mov_b32 s10, s12
	s_delay_alu instid0(VALU_DEP_2) | instskip(NEXT) | instid1(VALU_DEP_1)
	v_cndmask_b32_e64 v1, -1, 0xffff8000, s3
	v_xor_b32_e32 v1, v1, v7
	s_delay_alu instid0(VALU_DEP_1) | instskip(NEXT) | instid1(VALU_DEP_1)
	v_cmp_ne_u16_e64 s3, 0x7fff, v1
	v_cndmask_b32_e64 v7, 0xffff8000, v1, s3
	v_dual_mov_b32 v2, 1 :: v_dual_lshlrev_b32 v1, 2, v2
	s_sub_i32 s3, s13, s12
	s_delay_alu instid0(SALU_CYCLE_1) | instskip(NEXT) | instid1(VALU_DEP_1)
	s_mov_b32 s9, s3
	v_dual_mov_b32 v8, v1 :: v_dual_and_b32 v7, 0xffff, v7
	s_branch .LBB197_14
	.p2align	6
.LBB197_13:                             ;   in Loop: Header=BB197_14 Depth=1
	s_or_b32 exec_lo, exec_lo, s11
	v_add_nc_u32_e32 v8, 0x1000, v8
	s_add_i32 s10, s10, 8
	s_add_i32 s9, s9, -8
	s_cmp_ge_u32 s10, s13
	s_cbranch_scc1 .LBB197_16
.LBB197_14:                             ; =>This Inner Loop Header: Depth=1
	s_and_saveexec_b32 s11, s2
	s_cbranch_execz .LBB197_13
; %bb.15:                               ;   in Loop: Header=BB197_14 Depth=1
	s_delay_alu instid0(VALU_DEP_1)
	v_lshrrev_b32_e32 v9, s10, v7
	s_min_u32 s14, s9, 8
	s_delay_alu instid0(VALU_DEP_1) | instid1(SALU_CYCLE_1)
	v_bfe_u32 v9, v9, 0, s14
	s_delay_alu instid0(VALU_DEP_1)
	v_lshl_add_u32 v9, v9, 4, v8
	ds_add_u32 v9, v2
	s_branch .LBB197_13
.LBB197_16:
	v_cmp_lt_i16_e64 s2, -1, v6
	s_mov_b32 s9, s12
	v_mov_b32_e32 v7, v1
	s_delay_alu instid0(VALU_DEP_2) | instskip(NEXT) | instid1(VALU_DEP_1)
	v_cndmask_b32_e64 v2, -1, 0xffff8000, s2
	v_xor_b32_e32 v2, v2, v6
	s_delay_alu instid0(VALU_DEP_1) | instskip(NEXT) | instid1(VALU_DEP_1)
	v_cmp_ne_u16_e64 s2, 0x7fff, v2
	v_cndmask_b32_e64 v6, 0xffff8000, v2, s2
	v_mov_b32_e32 v2, 1
	s_mov_b32 s2, s3
	s_delay_alu instid0(VALU_DEP_2)
	v_and_b32_e32 v6, 0xffff, v6
	s_branch .LBB197_18
	.p2align	6
.LBB197_17:                             ;   in Loop: Header=BB197_18 Depth=1
	s_or_b32 exec_lo, exec_lo, s10
	v_add_nc_u32_e32 v7, 0x1000, v7
	s_add_i32 s9, s9, 8
	s_add_i32 s2, s2, -8
	s_cmp_lt_u32 s9, s13
	s_cbranch_scc0 .LBB197_20
.LBB197_18:                             ; =>This Inner Loop Header: Depth=1
	s_and_saveexec_b32 s10, s1
	s_cbranch_execz .LBB197_17
; %bb.19:                               ;   in Loop: Header=BB197_18 Depth=1
	s_delay_alu instid0(VALU_DEP_1)
	v_lshrrev_b32_e32 v8, s9, v6
	s_min_u32 s11, s2, 8
	s_delay_alu instid0(VALU_DEP_1) | instid1(SALU_CYCLE_1)
	v_bfe_u32 v8, v8, 0, s11
	s_delay_alu instid0(VALU_DEP_1)
	v_lshl_add_u32 v8, v8, 4, v7
	ds_add_u32 v8, v2
	s_branch .LBB197_17
.LBB197_20:
	v_cmp_lt_i16_e64 s1, -1, v5
	v_mov_b32_e32 v6, v1
	s_mov_b32 s2, s12
	s_delay_alu instid0(VALU_DEP_2) | instskip(NEXT) | instid1(VALU_DEP_1)
	v_cndmask_b32_e64 v2, -1, 0xffff8000, s1
	v_xor_b32_e32 v2, v2, v5
	s_delay_alu instid0(VALU_DEP_1) | instskip(NEXT) | instid1(VALU_DEP_1)
	v_cmp_ne_u16_e64 s1, 0x7fff, v2
	v_cndmask_b32_e64 v5, 0xffff8000, v2, s1
	v_mov_b32_e32 v2, 1
	s_mov_b32 s1, s3
	s_delay_alu instid0(VALU_DEP_2)
	v_and_b32_e32 v5, 0xffff, v5
	s_branch .LBB197_22
	.p2align	6
.LBB197_21:                             ;   in Loop: Header=BB197_22 Depth=1
	s_or_b32 exec_lo, exec_lo, s9
	v_add_nc_u32_e32 v6, 0x1000, v6
	s_add_i32 s2, s2, 8
	s_add_i32 s1, s1, -8
	s_cmp_lt_u32 s2, s13
	s_cbranch_scc0 .LBB197_24
.LBB197_22:                             ; =>This Inner Loop Header: Depth=1
	s_and_saveexec_b32 s9, s0
	s_cbranch_execz .LBB197_21
; %bb.23:                               ;   in Loop: Header=BB197_22 Depth=1
	s_delay_alu instid0(VALU_DEP_1)
	v_lshrrev_b32_e32 v7, s2, v5
	s_min_u32 s10, s1, 8
	s_delay_alu instid0(VALU_DEP_1) | instid1(SALU_CYCLE_1)
	v_bfe_u32 v7, v7, 0, s10
	s_delay_alu instid0(VALU_DEP_1)
	v_lshl_add_u32 v7, v7, 4, v6
	ds_add_u32 v7, v2
	s_branch .LBB197_21
.LBB197_24:
	v_cmp_lt_i16_e64 s0, -1, v4
	s_delay_alu instid0(VALU_DEP_1) | instskip(NEXT) | instid1(VALU_DEP_1)
	v_cndmask_b32_e64 v2, -1, 0xffff8000, s0
	v_xor_b32_e32 v2, v2, v4
	v_mov_b32_e32 v4, 1
	s_delay_alu instid0(VALU_DEP_2) | instskip(NEXT) | instid1(VALU_DEP_1)
	v_cmp_ne_u16_e64 s0, 0x7fff, v2
	v_cndmask_b32_e64 v2, 0xffff8000, v2, s0
	s_mov_b32 s0, s12
	s_delay_alu instid0(VALU_DEP_1)
	v_and_b32_e32 v2, 0xffff, v2
	s_branch .LBB197_26
	.p2align	6
.LBB197_25:                             ;   in Loop: Header=BB197_26 Depth=1
	s_or_b32 exec_lo, exec_lo, s1
	v_add_nc_u32_e32 v1, 0x1000, v1
	s_add_i32 s0, s0, 8
	s_add_i32 s3, s3, -8
	s_cmp_lt_u32 s0, s13
	s_cbranch_scc0 .LBB197_28
.LBB197_26:                             ; =>This Inner Loop Header: Depth=1
	s_and_saveexec_b32 s1, vcc_lo
	s_cbranch_execz .LBB197_25
; %bb.27:                               ;   in Loop: Header=BB197_26 Depth=1
	s_delay_alu instid0(VALU_DEP_1)
	v_lshrrev_b32_e32 v5, s0, v2
	s_min_u32 s2, s3, 8
	s_delay_alu instid0(VALU_DEP_1) | instid1(SALU_CYCLE_1)
	v_bfe_u32 v5, v5, 0, s2
	s_delay_alu instid0(VALU_DEP_1)
	v_lshl_add_u32 v5, v5, 4, v1
	ds_add_u32 v5, v4
	s_branch .LBB197_25
.LBB197_28:
	s_and_b32 vcc_lo, exec_lo, s8
	s_waitcnt lgkmcnt(0)
	s_barrier
	buffer_gl0_inv
	s_cbranch_vccz .LBB197_33
; %bb.29:
	v_cmp_gt_u32_e32 vcc_lo, 0x100, v0
	v_dual_mov_b32 v1, v0 :: v_dual_lshlrev_b32 v4, 4, v0
	v_mov_b32_e32 v2, 0
	s_mov_b32 s1, s12
	s_set_inst_prefetch_distance 0x1
	s_branch .LBB197_31
	.p2align	6
.LBB197_30:                             ;   in Loop: Header=BB197_31 Depth=1
	s_or_b32 exec_lo, exec_lo, s2
	v_add_nc_u32_e32 v1, 0x100, v1
	v_add_nc_u32_e32 v4, 0x1000, v4
	s_add_i32 s1, s1, 8
	s_delay_alu instid0(SALU_CYCLE_1)
	s_cmp_lt_u32 s1, s13
	s_cbranch_scc0 .LBB197_33
.LBB197_31:                             ; =>This Inner Loop Header: Depth=1
	s_and_saveexec_b32 s2, vcc_lo
	s_cbranch_execz .LBB197_30
; %bb.32:                               ;   in Loop: Header=BB197_31 Depth=1
	ds_load_2addr_b32 v[5:6], v4 offset1:1
	ds_load_2addr_b32 v[7:8], v4 offset0:2 offset1:3
	v_lshlrev_b64 v[9:10], 3, v[1:2]
	s_waitcnt lgkmcnt(1)
	v_add_nc_u32_e32 v11, v6, v5
	s_delay_alu instid0(VALU_DEP_2) | instskip(NEXT) | instid1(VALU_DEP_1)
	v_add_co_u32 v5, s0, s6, v9
	v_add_co_ci_u32_e64 v6, s0, s7, v10, s0
	s_waitcnt lgkmcnt(0)
	s_delay_alu instid0(VALU_DEP_3)
	v_add3_u32 v7, v11, v7, v8
	v_mov_b32_e32 v8, v2
	global_atomic_add_u64 v[5:6], v[7:8], off
	s_branch .LBB197_30
.LBB197_33:
	s_set_inst_prefetch_distance 0x2
	s_mov_b32 s0, 0
.LBB197_34:
	s_delay_alu instid0(SALU_CYCLE_1)
	s_and_b32 vcc_lo, exec_lo, s0
	s_cbranch_vccz .LBB197_58
; %bb.35:
	v_add_co_u32 v1, s0, s4, v3
	s_delay_alu instid0(VALU_DEP_1) | instskip(SKIP_1) | instid1(VALU_DEP_2)
	v_add_co_ci_u32_e64 v2, null, s5, 0, s0
	s_cmp_eq_u32 s12, 0
	v_add_co_u32 v1, vcc_lo, 0x1000, v1
	s_delay_alu instid0(VALU_DEP_2)
	v_add_co_ci_u32_e32 v2, vcc_lo, 0, v2, vcc_lo
	s_cselect_b32 s0, -1, 0
	s_cmp_eq_u32 s13, 16
	s_clause 0x3
	global_load_u16 v6, v3, s[4:5] offset:2048
	global_load_u16 v4, v[1:2], off
	global_load_u16 v7, v3, s[4:5]
	global_load_u16 v5, v[1:2], off offset:2048
	s_cselect_b32 s1, -1, 0
	v_or_b32_e32 v8, 0xfffffc00, v0
	v_lshlrev_b32_e32 v3, 2, v0
	s_and_b32 s1, s0, s1
	s_mov_b32 s0, 0
	s_and_b32 vcc_lo, exec_lo, s1
	s_mov_b32 s1, -1
	s_cbranch_vccnz .LBB197_53
; %bb.36:
	v_or_b32_e32 v1, 0xfffffc00, v0
	v_dual_mov_b32 v9, 0 :: v_dual_lshlrev_b32 v2, 2, v0
.LBB197_37:                             ; =>This Inner Loop Header: Depth=1
	s_delay_alu instid0(VALU_DEP_2) | instskip(NEXT) | instid1(VALU_DEP_1)
	v_add_co_u32 v1, s1, 0x400, v1
	s_xor_b32 s1, s1, -1
	ds_store_b32 v2, v9
	v_add_nc_u32_e32 v2, 0x1000, v2
	s_and_b32 s1, exec_lo, s1
	s_delay_alu instid0(SALU_CYCLE_1) | instskip(NEXT) | instid1(SALU_CYCLE_1)
	s_or_b32 s0, s1, s0
	s_and_not1_b32 exec_lo, exec_lo, s0
	s_cbranch_execnz .LBB197_37
; %bb.38:
	s_or_b32 exec_lo, exec_lo, s0
	s_cmp_gt_u32 s13, s12
	s_waitcnt vmcnt(0) lgkmcnt(0)
	s_waitcnt_vscnt null, 0x0
	s_cselect_b32 s0, -1, 0
	s_cmp_le_u32 s13, s12
	s_barrier
	buffer_gl0_inv
	s_cbranch_scc1 .LBB197_47
; %bb.39:
	v_cmp_lt_i16_e32 vcc_lo, -1, v7
	s_sub_i32 s1, s13, s12
	s_mov_b32 s3, s12
	s_mov_b32 s2, s1
	v_cndmask_b32_e64 v1, -1, 0xffff8000, vcc_lo
	s_delay_alu instid0(VALU_DEP_1) | instskip(NEXT) | instid1(VALU_DEP_1)
	v_xor_b32_e32 v1, v1, v7
	v_cmp_ne_u16_e32 vcc_lo, 0x7fff, v1
	v_dual_cndmask_b32 v9, 0xffff8000, v1 :: v_dual_and_b32 v2, 3, v0
	s_delay_alu instid0(VALU_DEP_1) | instskip(NEXT) | instid1(VALU_DEP_1)
	v_dual_mov_b32 v2, 1 :: v_dual_lshlrev_b32 v1, 2, v2
	v_dual_mov_b32 v10, v1 :: v_dual_and_b32 v9, 0xffff, v9
.LBB197_40:                             ; =>This Inner Loop Header: Depth=1
	s_delay_alu instid0(VALU_DEP_1)
	v_lshrrev_b32_e32 v11, s3, v9
	s_min_u32 s4, s2, 8
	s_add_i32 s3, s3, 8
	s_add_i32 s2, s2, -8
	s_cmp_ge_u32 s3, s13
	v_bfe_u32 v11, v11, 0, s4
	s_delay_alu instid0(VALU_DEP_1)
	v_lshl_add_u32 v11, v11, 4, v10
	v_add_nc_u32_e32 v10, 0x1000, v10
	ds_add_u32 v11, v2
	s_cbranch_scc0 .LBB197_40
; %bb.41:
	v_cmp_lt_i16_e32 vcc_lo, -1, v6
	s_mov_b32 s2, s1
	s_mov_b32 s3, s12
	v_mov_b32_e32 v10, v1
	v_cndmask_b32_e64 v2, -1, 0xffff8000, vcc_lo
	s_delay_alu instid0(VALU_DEP_1) | instskip(NEXT) | instid1(VALU_DEP_1)
	v_xor_b32_e32 v2, v2, v6
	v_cmp_ne_u16_e32 vcc_lo, 0x7fff, v2
	v_dual_cndmask_b32 v9, 0xffff8000, v2 :: v_dual_mov_b32 v2, 1
	s_delay_alu instid0(VALU_DEP_1)
	v_and_b32_e32 v9, 0xffff, v9
.LBB197_42:                             ; =>This Inner Loop Header: Depth=1
	s_delay_alu instid0(VALU_DEP_1)
	v_lshrrev_b32_e32 v11, s3, v9
	s_min_u32 s4, s2, 8
	s_add_i32 s3, s3, 8
	s_add_i32 s2, s2, -8
	s_cmp_lt_u32 s3, s13
	v_bfe_u32 v11, v11, 0, s4
	s_delay_alu instid0(VALU_DEP_1)
	v_lshl_add_u32 v11, v11, 4, v10
	v_add_nc_u32_e32 v10, 0x1000, v10
	ds_add_u32 v11, v2
	s_cbranch_scc1 .LBB197_42
; %bb.43:
	v_cmp_lt_i16_e32 vcc_lo, -1, v4
	s_mov_b32 s2, s1
	s_mov_b32 s3, s12
	v_mov_b32_e32 v10, v1
	v_cndmask_b32_e64 v2, -1, 0xffff8000, vcc_lo
	s_delay_alu instid0(VALU_DEP_1) | instskip(NEXT) | instid1(VALU_DEP_1)
	v_xor_b32_e32 v2, v2, v4
	v_cmp_ne_u16_e32 vcc_lo, 0x7fff, v2
	v_dual_cndmask_b32 v9, 0xffff8000, v2 :: v_dual_mov_b32 v2, 1
	s_delay_alu instid0(VALU_DEP_1)
	v_and_b32_e32 v9, 0xffff, v9
.LBB197_44:                             ; =>This Inner Loop Header: Depth=1
	s_delay_alu instid0(VALU_DEP_1)
	v_lshrrev_b32_e32 v11, s3, v9
	s_min_u32 s4, s2, 8
	s_add_i32 s3, s3, 8
	s_add_i32 s2, s2, -8
	s_cmp_lt_u32 s3, s13
	v_bfe_u32 v11, v11, 0, s4
	s_delay_alu instid0(VALU_DEP_1)
	v_lshl_add_u32 v11, v11, 4, v10
	v_add_nc_u32_e32 v10, 0x1000, v10
	ds_add_u32 v11, v2
	s_cbranch_scc1 .LBB197_44
; %bb.45:
	v_cmp_lt_i16_e32 vcc_lo, -1, v5
	s_mov_b32 s2, s12
	v_mov_b32_e32 v9, 1
	v_cndmask_b32_e64 v2, -1, 0xffff8000, vcc_lo
	s_delay_alu instid0(VALU_DEP_1) | instskip(NEXT) | instid1(VALU_DEP_1)
	v_xor_b32_e32 v2, v2, v5
	v_cmp_ne_u16_e32 vcc_lo, 0x7fff, v2
	v_cndmask_b32_e32 v2, 0xffff8000, v2, vcc_lo
	s_delay_alu instid0(VALU_DEP_1)
	v_and_b32_e32 v2, 0xffff, v2
.LBB197_46:                             ; =>This Inner Loop Header: Depth=1
	s_delay_alu instid0(VALU_DEP_1)
	v_lshrrev_b32_e32 v10, s2, v2
	s_min_u32 s3, s1, 8
	s_add_i32 s2, s2, 8
	s_add_i32 s1, s1, -8
	s_cmp_lt_u32 s2, s13
	v_bfe_u32 v10, v10, 0, s3
	s_delay_alu instid0(VALU_DEP_1)
	v_lshl_add_u32 v10, v10, 4, v1
	v_add_nc_u32_e32 v1, 0x1000, v1
	ds_add_u32 v10, v9
	s_cbranch_scc1 .LBB197_46
.LBB197_47:
	s_and_b32 vcc_lo, exec_lo, s0
	s_waitcnt lgkmcnt(0)
	s_barrier
	buffer_gl0_inv
	s_cbranch_vccz .LBB197_52
; %bb.48:
	v_cmp_gt_u32_e32 vcc_lo, 0x100, v0
	v_dual_mov_b32 v2, 0 :: v_dual_lshlrev_b32 v9, 4, v0
	v_mov_b32_e32 v1, v0
	s_set_inst_prefetch_distance 0x1
	s_branch .LBB197_50
	.p2align	6
.LBB197_49:                             ;   in Loop: Header=BB197_50 Depth=1
	s_or_b32 exec_lo, exec_lo, s1
	v_add_nc_u32_e32 v1, 0x100, v1
	v_add_nc_u32_e32 v9, 0x1000, v9
	s_add_i32 s12, s12, 8
	s_delay_alu instid0(SALU_CYCLE_1)
	s_cmp_ge_u32 s12, s13
	s_cbranch_scc1 .LBB197_52
.LBB197_50:                             ; =>This Inner Loop Header: Depth=1
	s_and_saveexec_b32 s1, vcc_lo
	s_cbranch_execz .LBB197_49
; %bb.51:                               ;   in Loop: Header=BB197_50 Depth=1
	ds_load_2addr_b32 v[10:11], v9 offset1:1
	ds_load_2addr_b32 v[12:13], v9 offset0:2 offset1:3
	v_lshlrev_b64 v[14:15], 3, v[1:2]
	s_waitcnt lgkmcnt(1)
	v_add_nc_u32_e32 v16, v11, v10
	s_delay_alu instid0(VALU_DEP_2) | instskip(NEXT) | instid1(VALU_DEP_1)
	v_add_co_u32 v10, s0, s6, v14
	v_add_co_ci_u32_e64 v11, s0, s7, v15, s0
	s_waitcnt lgkmcnt(0)
	s_delay_alu instid0(VALU_DEP_3)
	v_add3_u32 v12, v16, v12, v13
	v_mov_b32_e32 v13, v2
	global_atomic_add_u64 v[10:11], v[12:13], off
	s_branch .LBB197_49
.LBB197_52:
	s_set_inst_prefetch_distance 0x2
	s_mov_b32 s1, 0
.LBB197_53:
	s_delay_alu instid0(SALU_CYCLE_1)
	s_and_b32 vcc_lo, exec_lo, s1
	s_cbranch_vccz .LBB197_58
; %bb.54:
	v_dual_mov_b32 v1, 0 :: v_dual_mov_b32 v2, v3
	s_mov_b32 s0, 0
.LBB197_55:                             ; =>This Inner Loop Header: Depth=1
	v_add_co_u32 v8, s1, 0x400, v8
	s_delay_alu instid0(VALU_DEP_1) | instskip(SKIP_3) | instid1(SALU_CYCLE_1)
	s_xor_b32 s1, s1, -1
	ds_store_b32 v2, v1
	v_add_nc_u32_e32 v2, 0x1000, v2
	s_and_b32 s1, exec_lo, s1
	s_or_b32 s0, s1, s0
	s_delay_alu instid0(SALU_CYCLE_1)
	s_and_not1_b32 exec_lo, exec_lo, s0
	s_cbranch_execnz .LBB197_55
; %bb.56:
	s_or_b32 exec_lo, exec_lo, s0
	s_waitcnt vmcnt(1)
	v_cmp_lt_i16_e32 vcc_lo, -1, v7
	s_waitcnt vmcnt(0) lgkmcnt(0)
	s_waitcnt_vscnt null, 0x0
	s_barrier
	buffer_gl0_inv
	s_mov_b32 s0, exec_lo
	v_cndmask_b32_e64 v1, -1, 0xffff8000, vcc_lo
	v_cmp_lt_i16_e32 vcc_lo, -1, v6
	v_mov_b32_e32 v10, 1
	s_delay_alu instid0(VALU_DEP_3) | instskip(SKIP_2) | instid1(VALU_DEP_3)
	v_xor_b32_e32 v1, v1, v7
	v_cndmask_b32_e64 v2, -1, 0xffff8000, vcc_lo
	v_and_b32_e32 v7, 3, v0
	v_cmp_ne_u16_e32 vcc_lo, 0x7fff, v1
	s_delay_alu instid0(VALU_DEP_3) | instskip(SKIP_1) | instid1(VALU_DEP_2)
	v_xor_b32_e32 v2, v2, v6
	v_cndmask_b32_e32 v1, 0xffff8000, v1, vcc_lo
	v_cmp_ne_u16_e32 vcc_lo, 0x7fff, v2
	s_delay_alu instid0(VALU_DEP_2) | instskip(SKIP_2) | instid1(VALU_DEP_3)
	v_and_b32_e32 v1, 0xffff, v1
	v_cndmask_b32_e32 v2, 0xffff8000, v2, vcc_lo
	v_cmp_lt_i16_e32 vcc_lo, -1, v4
	v_lshlrev_b32_e32 v8, 2, v1
	s_delay_alu instid0(VALU_DEP_3) | instskip(SKIP_4) | instid1(VALU_DEP_4)
	v_and_b32_e32 v2, 0xffff, v2
	v_cndmask_b32_e64 v6, -1, 0xffff8000, vcc_lo
	v_cmp_lt_i16_e32 vcc_lo, -1, v5
	v_lshrrev_b32_e32 v1, 6, v1
	v_and_or_b32 v8, 0x3fc, v8, v7
	v_xor_b32_e32 v4, v6, v4
	v_cndmask_b32_e64 v9, -1, 0xffff8000, vcc_lo
	s_delay_alu instid0(VALU_DEP_4) | instskip(NEXT) | instid1(VALU_DEP_3)
	v_and_or_b32 v1, 0x3fc, v1, v7
	v_cmp_ne_u16_e32 vcc_lo, 0x7fff, v4
	s_delay_alu instid0(VALU_DEP_3) | instskip(SKIP_1) | instid1(VALU_DEP_4)
	v_xor_b32_e32 v5, v9, v5
	v_lshlrev_b32_e32 v11, 2, v2
	v_lshlrev_b32_e32 v1, 2, v1
	v_lshrrev_b32_e32 v2, 6, v2
	v_cndmask_b32_e32 v4, 0xffff8000, v4, vcc_lo
	v_cmp_ne_u16_e32 vcc_lo, 0x7fff, v5
	v_lshlrev_b32_e32 v8, 2, v8
	v_and_or_b32 v6, 0x3fc, v11, v7
	v_and_or_b32 v2, 0x3fc, v2, v7
	v_and_b32_e32 v4, 0xffff, v4
	v_cndmask_b32_e32 v5, 0xffff8000, v5, vcc_lo
	ds_add_u32 v8, v10
	v_lshlrev_b32_e32 v6, 2, v6
	ds_add_u32 v1, v10 offset:4096
	v_lshlrev_b32_e32 v2, 2, v2
	v_and_b32_e32 v1, 0xffff, v5
	v_lshlrev_b32_e32 v5, 2, v4
	v_lshrrev_b32_e32 v4, 6, v4
	ds_add_u32 v6, v10
	v_lshlrev_b32_e32 v6, 2, v1
	v_lshrrev_b32_e32 v1, 6, v1
	v_and_or_b32 v5, 0x3fc, v5, v7
	v_and_or_b32 v4, 0x3fc, v4, v7
	s_delay_alu instid0(VALU_DEP_4) | instskip(NEXT) | instid1(VALU_DEP_4)
	v_and_or_b32 v6, 0x3fc, v6, v7
	v_and_or_b32 v1, 0x3fc, v1, v7
	s_delay_alu instid0(VALU_DEP_4) | instskip(NEXT) | instid1(VALU_DEP_4)
	v_lshlrev_b32_e32 v5, 2, v5
	v_lshlrev_b32_e32 v4, 2, v4
	s_delay_alu instid0(VALU_DEP_4) | instskip(NEXT) | instid1(VALU_DEP_4)
	v_lshlrev_b32_e32 v6, 2, v6
	v_lshlrev_b32_e32 v1, 2, v1
	ds_add_u32 v2, v10 offset:4096
	ds_add_u32 v5, v10
	ds_add_u32 v4, v10 offset:4096
	ds_add_u32 v6, v10
	ds_add_u32 v1, v10 offset:4096
	s_waitcnt lgkmcnt(0)
	s_barrier
	buffer_gl0_inv
	v_cmpx_gt_u32_e32 0x100, v0
	s_cbranch_execz .LBB197_58
; %bb.57:
	v_lshlrev_b32_e32 v5, 2, v3
	v_lshlrev_b32_e32 v6, 3, v0
	ds_load_2addr_b32 v[1:2], v5 offset1:1
	ds_load_2addr_b32 v[3:4], v5 offset0:2 offset1:3
	s_waitcnt lgkmcnt(1)
	v_dual_mov_b32 v1, 0 :: v_dual_add_nc_u32 v2, v2, v1
	s_waitcnt lgkmcnt(0)
	s_delay_alu instid0(VALU_DEP_1)
	v_add3_u32 v0, v2, v3, v4
	v_add_nc_u32_e32 v2, 0x1000, v5
	global_atomic_add_u64 v6, v[0:1], s[6:7]
	v_add_nc_u32_e32 v0, 0x1008, v5
	ds_load_2addr_b32 v[2:3], v2 offset1:1
	ds_load_2addr_b32 v[4:5], v0 offset1:1
	s_waitcnt lgkmcnt(1)
	v_add_nc_u32_e32 v0, v3, v2
	s_waitcnt lgkmcnt(0)
	s_delay_alu instid0(VALU_DEP_1)
	v_add3_u32 v0, v0, v4, v5
	global_atomic_add_u64 v6, v[0:1], s[6:7] offset:2048
.LBB197_58:
	s_nop 0
	s_sendmsg sendmsg(MSG_DEALLOC_VGPRS)
	s_endpgm
	.section	.rodata,"a",@progbits
	.p2align	6, 0x0
	.amdhsa_kernel _ZN7rocprim17ROCPRIM_304000_NS6detail26onesweep_histograms_kernelINS1_34wrapped_radix_sort_onesweep_configINS0_14default_configE6__halfN2at4cuda3cub6detail10OpaqueTypeILi8EEEEELb0EPKS5_mNS0_19identity_decomposerEEEvT1_PT2_SH_SH_T3_jj
		.amdhsa_group_segment_fixed_size 8192
		.amdhsa_private_segment_fixed_size 0
		.amdhsa_kernarg_size 44
		.amdhsa_user_sgpr_count 15
		.amdhsa_user_sgpr_dispatch_ptr 0
		.amdhsa_user_sgpr_queue_ptr 0
		.amdhsa_user_sgpr_kernarg_segment_ptr 1
		.amdhsa_user_sgpr_dispatch_id 0
		.amdhsa_user_sgpr_private_segment_size 0
		.amdhsa_wavefront_size32 1
		.amdhsa_uses_dynamic_stack 0
		.amdhsa_enable_private_segment 0
		.amdhsa_system_sgpr_workgroup_id_x 1
		.amdhsa_system_sgpr_workgroup_id_y 0
		.amdhsa_system_sgpr_workgroup_id_z 0
		.amdhsa_system_sgpr_workgroup_info 0
		.amdhsa_system_vgpr_workitem_id 0
		.amdhsa_next_free_vgpr 17
		.amdhsa_next_free_sgpr 16
		.amdhsa_reserve_vcc 1
		.amdhsa_float_round_mode_32 0
		.amdhsa_float_round_mode_16_64 0
		.amdhsa_float_denorm_mode_32 3
		.amdhsa_float_denorm_mode_16_64 3
		.amdhsa_dx10_clamp 1
		.amdhsa_ieee_mode 1
		.amdhsa_fp16_overflow 0
		.amdhsa_workgroup_processor_mode 1
		.amdhsa_memory_ordered 1
		.amdhsa_forward_progress 0
		.amdhsa_shared_vgpr_count 0
		.amdhsa_exception_fp_ieee_invalid_op 0
		.amdhsa_exception_fp_denorm_src 0
		.amdhsa_exception_fp_ieee_div_zero 0
		.amdhsa_exception_fp_ieee_overflow 0
		.amdhsa_exception_fp_ieee_underflow 0
		.amdhsa_exception_fp_ieee_inexact 0
		.amdhsa_exception_int_div_zero 0
	.end_amdhsa_kernel
	.section	.text._ZN7rocprim17ROCPRIM_304000_NS6detail26onesweep_histograms_kernelINS1_34wrapped_radix_sort_onesweep_configINS0_14default_configE6__halfN2at4cuda3cub6detail10OpaqueTypeILi8EEEEELb0EPKS5_mNS0_19identity_decomposerEEEvT1_PT2_SH_SH_T3_jj,"axG",@progbits,_ZN7rocprim17ROCPRIM_304000_NS6detail26onesweep_histograms_kernelINS1_34wrapped_radix_sort_onesweep_configINS0_14default_configE6__halfN2at4cuda3cub6detail10OpaqueTypeILi8EEEEELb0EPKS5_mNS0_19identity_decomposerEEEvT1_PT2_SH_SH_T3_jj,comdat
.Lfunc_end197:
	.size	_ZN7rocprim17ROCPRIM_304000_NS6detail26onesweep_histograms_kernelINS1_34wrapped_radix_sort_onesweep_configINS0_14default_configE6__halfN2at4cuda3cub6detail10OpaqueTypeILi8EEEEELb0EPKS5_mNS0_19identity_decomposerEEEvT1_PT2_SH_SH_T3_jj, .Lfunc_end197-_ZN7rocprim17ROCPRIM_304000_NS6detail26onesweep_histograms_kernelINS1_34wrapped_radix_sort_onesweep_configINS0_14default_configE6__halfN2at4cuda3cub6detail10OpaqueTypeILi8EEEEELb0EPKS5_mNS0_19identity_decomposerEEEvT1_PT2_SH_SH_T3_jj
                                        ; -- End function
	.section	.AMDGPU.csdata,"",@progbits
; Kernel info:
; codeLenInByte = 2972
; NumSgprs: 18
; NumVgprs: 17
; ScratchSize: 0
; MemoryBound: 0
; FloatMode: 240
; IeeeMode: 1
; LDSByteSize: 8192 bytes/workgroup (compile time only)
; SGPRBlocks: 2
; VGPRBlocks: 2
; NumSGPRsForWavesPerEU: 18
; NumVGPRsForWavesPerEU: 17
; Occupancy: 16
; WaveLimiterHint : 1
; COMPUTE_PGM_RSRC2:SCRATCH_EN: 0
; COMPUTE_PGM_RSRC2:USER_SGPR: 15
; COMPUTE_PGM_RSRC2:TRAP_HANDLER: 0
; COMPUTE_PGM_RSRC2:TGID_X_EN: 1
; COMPUTE_PGM_RSRC2:TGID_Y_EN: 0
; COMPUTE_PGM_RSRC2:TGID_Z_EN: 0
; COMPUTE_PGM_RSRC2:TIDIG_COMP_CNT: 0
	.section	.text._ZN7rocprim17ROCPRIM_304000_NS6detail25onesweep_iteration_kernelINS1_34wrapped_radix_sort_onesweep_configINS0_14default_configE6__halfN2at4cuda3cub6detail10OpaqueTypeILi8EEEEELb0EPKS5_PS5_PKSB_PSB_mNS0_19identity_decomposerEEEvT1_T2_T3_T4_jPT5_SP_PNS1_23onesweep_lookback_stateET6_jjj,"axG",@progbits,_ZN7rocprim17ROCPRIM_304000_NS6detail25onesweep_iteration_kernelINS1_34wrapped_radix_sort_onesweep_configINS0_14default_configE6__halfN2at4cuda3cub6detail10OpaqueTypeILi8EEEEELb0EPKS5_PS5_PKSB_PSB_mNS0_19identity_decomposerEEEvT1_T2_T3_T4_jPT5_SP_PNS1_23onesweep_lookback_stateET6_jjj,comdat
	.protected	_ZN7rocprim17ROCPRIM_304000_NS6detail25onesweep_iteration_kernelINS1_34wrapped_radix_sort_onesweep_configINS0_14default_configE6__halfN2at4cuda3cub6detail10OpaqueTypeILi8EEEEELb0EPKS5_PS5_PKSB_PSB_mNS0_19identity_decomposerEEEvT1_T2_T3_T4_jPT5_SP_PNS1_23onesweep_lookback_stateET6_jjj ; -- Begin function _ZN7rocprim17ROCPRIM_304000_NS6detail25onesweep_iteration_kernelINS1_34wrapped_radix_sort_onesweep_configINS0_14default_configE6__halfN2at4cuda3cub6detail10OpaqueTypeILi8EEEEELb0EPKS5_PS5_PKSB_PSB_mNS0_19identity_decomposerEEEvT1_T2_T3_T4_jPT5_SP_PNS1_23onesweep_lookback_stateET6_jjj
	.globl	_ZN7rocprim17ROCPRIM_304000_NS6detail25onesweep_iteration_kernelINS1_34wrapped_radix_sort_onesweep_configINS0_14default_configE6__halfN2at4cuda3cub6detail10OpaqueTypeILi8EEEEELb0EPKS5_PS5_PKSB_PSB_mNS0_19identity_decomposerEEEvT1_T2_T3_T4_jPT5_SP_PNS1_23onesweep_lookback_stateET6_jjj
	.p2align	8
	.type	_ZN7rocprim17ROCPRIM_304000_NS6detail25onesweep_iteration_kernelINS1_34wrapped_radix_sort_onesweep_configINS0_14default_configE6__halfN2at4cuda3cub6detail10OpaqueTypeILi8EEEEELb0EPKS5_PS5_PKSB_PSB_mNS0_19identity_decomposerEEEvT1_T2_T3_T4_jPT5_SP_PNS1_23onesweep_lookback_stateET6_jjj,@function
_ZN7rocprim17ROCPRIM_304000_NS6detail25onesweep_iteration_kernelINS1_34wrapped_radix_sort_onesweep_configINS0_14default_configE6__halfN2at4cuda3cub6detail10OpaqueTypeILi8EEEEELb0EPKS5_PS5_PKSB_PSB_mNS0_19identity_decomposerEEEvT1_T2_T3_T4_jPT5_SP_PNS1_23onesweep_lookback_stateET6_jjj: ; @_ZN7rocprim17ROCPRIM_304000_NS6detail25onesweep_iteration_kernelINS1_34wrapped_radix_sort_onesweep_configINS0_14default_configE6__halfN2at4cuda3cub6detail10OpaqueTypeILi8EEEEELb0EPKS5_PS5_PKSB_PSB_mNS0_19identity_decomposerEEEvT1_T2_T3_T4_jPT5_SP_PNS1_23onesweep_lookback_stateET6_jjj
; %bb.0:
	s_clause 0x3
	s_load_b128 s[28:31], s[0:1], 0x44
	s_load_b256 s[16:23], s[0:1], 0x0
	s_load_b128 s[24:27], s[0:1], 0x28
	s_load_b64 s[12:13], s[0:1], 0x38
	v_and_b32_e32 v5, 0x3ff, v0
	v_mbcnt_lo_u32_b32 v14, -1, 0
	s_waitcnt lgkmcnt(0)
	s_cmp_ge_u32 s15, s30
	s_cbranch_scc0 .LBB198_62
; %bb.1:
	s_load_b32 s4, s[0:1], 0x20
	v_dual_mov_b32 v6, 0x7fff :: v_dual_lshlrev_b32 v11, 2, v5
	s_lshl_b32 s5, s30, 12
	s_lshl_b32 s30, s15, 12
	s_mov_b32 s31, 0
	s_delay_alu instid0(VALU_DEP_1) | instskip(SKIP_2) | instid1(VALU_DEP_2)
	v_and_b32_e32 v10, 0xf80, v11
	v_lshlrev_b32_e32 v1, 1, v14
	s_lshl_b64 s[2:3], s[30:31], 1
	v_dual_mov_b32 v7, 0x7fff :: v_dual_lshlrev_b32 v2, 1, v10
	v_or_b32_e32 v8, v14, v10
	s_waitcnt lgkmcnt(0)
	s_sub_i32 s34, s4, s5
	s_add_u32 s2, s16, s2
	s_addc_u32 s3, s17, s3
	v_add_co_u32 v1, s2, s2, v1
	s_delay_alu instid0(VALU_DEP_1) | instskip(SKIP_1) | instid1(VALU_DEP_3)
	v_add_co_ci_u32_e64 v3, null, s3, 0, s2
	v_cmp_gt_u32_e32 vcc_lo, s34, v8
	v_add_co_u32 v1, s2, v1, v2
	s_delay_alu instid0(VALU_DEP_1)
	v_add_co_ci_u32_e64 v2, s2, 0, v3, s2
	s_and_saveexec_b32 s2, vcc_lo
	s_cbranch_execz .LBB198_3
; %bb.2:
	global_load_u16 v7, v[1:2], off
.LBB198_3:
	s_or_b32 exec_lo, exec_lo, s2
	v_add_nc_u32_e32 v3, 32, v8
	s_delay_alu instid0(VALU_DEP_1) | instskip(NEXT) | instid1(VALU_DEP_1)
	v_cmp_gt_u32_e64 s2, s34, v3
	s_and_saveexec_b32 s3, s2
	s_cbranch_execz .LBB198_5
; %bb.4:
	global_load_u16 v6, v[1:2], off offset:64
.LBB198_5:
	s_or_b32 exec_lo, exec_lo, s3
	v_dual_mov_b32 v3, 0x7fff :: v_dual_add_nc_u32 v4, 64, v8
	s_delay_alu instid0(VALU_DEP_1) | instskip(SKIP_1) | instid1(VALU_DEP_2)
	v_cmp_gt_u32_e64 s3, s34, v4
	v_mov_b32_e32 v4, 0x7fff
	s_and_saveexec_b32 s4, s3
	s_cbranch_execz .LBB198_7
; %bb.6:
	global_load_u16 v4, v[1:2], off offset:128
.LBB198_7:
	s_or_b32 exec_lo, exec_lo, s4
	v_add_nc_u32_e32 v8, 0x60, v8
	s_delay_alu instid0(VALU_DEP_1) | instskip(NEXT) | instid1(VALU_DEP_1)
	v_cmp_gt_u32_e64 s4, s34, v8
	s_and_saveexec_b32 s5, s4
	s_cbranch_execz .LBB198_9
; %bb.8:
	global_load_u16 v3, v[1:2], off offset:192
.LBB198_9:
	s_or_b32 exec_lo, exec_lo, s5
	s_clause 0x1
	s_load_b32 s5, s[0:1], 0x5c
	s_load_b32 s14, s[0:1], 0x50
	s_add_u32 s6, s0, 0x50
	s_addc_u32 s7, s1, 0
	s_waitcnt lgkmcnt(0)
	s_lshr_b32 s8, s5, 16
	s_cmp_lt_u32 s15, s14
	s_cselect_b32 s5, 12, 18
	s_delay_alu instid0(SALU_CYCLE_1) | instskip(SKIP_3) | instid1(VALU_DEP_1)
	s_add_u32 s6, s6, s5
	s_waitcnt vmcnt(0)
	v_cmp_lt_i16_e64 s5, -1, v7
	s_addc_u32 s7, s7, 0
	v_cndmask_b32_e64 v1, -1, 0xffff8000, s5
	s_delay_alu instid0(VALU_DEP_1) | instskip(NEXT) | instid1(VALU_DEP_1)
	v_xor_b32_e32 v12, v1, v7
	v_cmp_ne_u16_e64 s5, 0x7fff, v12
	s_delay_alu instid0(VALU_DEP_1) | instskip(SKIP_2) | instid1(SALU_CYCLE_1)
	v_cndmask_b32_e64 v1, 0xffff8000, v12, s5
	v_mov_b32_e32 v8, 0
	s_lshl_b32 s5, -1, s29
	s_not_b32 s33, s5
	s_delay_alu instid0(VALU_DEP_2) | instskip(SKIP_2) | instid1(VALU_DEP_1)
	v_and_b32_e32 v1, 0xffff, v1
	global_load_u16 v9, v8, s[6:7]
	v_lshrrev_b32_e32 v1, s28, v1
	v_and_b32_e32 v7, s33, v1
	v_bfe_u32 v1, v0, 10, 10
	s_delay_alu instid0(VALU_DEP_2)
	v_and_b32_e32 v2, 1, v7
	v_lshlrev_b32_e32 v13, 30, v7
	v_lshlrev_b32_e32 v15, 29, v7
	;; [unrolled: 1-line block ×4, first 2 shown]
	v_add_co_u32 v2, s5, v2, -1
	s_delay_alu instid0(VALU_DEP_1)
	v_cndmask_b32_e64 v17, 0, 1, s5
	v_not_b32_e32 v21, v13
	v_cmp_gt_i32_e64 s6, 0, v13
	v_not_b32_e32 v13, v15
	v_lshlrev_b32_e32 v19, 26, v7
	v_cmp_ne_u32_e64 s5, 0, v17
	v_ashrrev_i32_e32 v21, 31, v21
	v_lshlrev_b32_e32 v20, 25, v7
	v_ashrrev_i32_e32 v13, 31, v13
	v_lshlrev_b32_e32 v17, 24, v7
	v_xor_b32_e32 v2, s5, v2
	v_cmp_gt_i32_e64 s5, 0, v15
	v_not_b32_e32 v15, v16
	v_xor_b32_e32 v21, s6, v21
	v_cmp_gt_i32_e64 s6, 0, v16
	v_and_b32_e32 v2, exec_lo, v2
	v_not_b32_e32 v16, v18
	v_ashrrev_i32_e32 v15, 31, v15
	v_xor_b32_e32 v13, s5, v13
	v_cmp_gt_i32_e64 s5, 0, v18
	v_and_b32_e32 v2, v2, v21
	v_not_b32_e32 v18, v19
	v_ashrrev_i32_e32 v16, 31, v16
	v_xor_b32_e32 v15, s6, v15
	v_cmp_gt_i32_e64 s6, 0, v19
	v_and_b32_e32 v2, v2, v13
	;; [unrolled: 5-line block ×4, first 2 shown]
	v_bfe_u32 v16, v0, 20, 10
	v_ashrrev_i32_e32 v15, 31, v15
	v_xor_b32_e32 v13, s5, v13
	v_mul_u32_u24_e32 v17, 9, v5
	v_and_b32_e32 v2, v2, v18
	v_mad_u32_u24 v16, v16, s8, v1
	v_xor_b32_e32 v18, s6, v15
	v_mul_u32_u24_e32 v7, 33, v7
	v_lshlrev_b32_e32 v15, 2, v17
	v_and_b32_e32 v13, v2, v13
	ds_store_2addr_b32 v15, v8, v8 offset0:32 offset1:33
	ds_store_2addr_b32 v15, v8, v8 offset0:34 offset1:35
	;; [unrolled: 1-line block ×4, first 2 shown]
	ds_store_b32 v15, v8 offset:160
	s_waitcnt vmcnt(0) lgkmcnt(0)
	s_barrier
	buffer_gl0_inv
	; wave barrier
	v_mad_u64_u32 v[1:2], null, v16, v9, v[5:6]
	v_and_b32_e32 v2, v13, v18
	s_delay_alu instid0(VALU_DEP_1) | instskip(NEXT) | instid1(VALU_DEP_3)
	v_mbcnt_lo_u32_b32 v13, v2, 0
	v_lshrrev_b32_e32 v1, 5, v1
	v_cmp_ne_u32_e64 s6, 0, v2
	s_delay_alu instid0(VALU_DEP_3) | instskip(NEXT) | instid1(VALU_DEP_3)
	v_cmp_eq_u32_e64 s5, 0, v13
	v_add_lshl_u32 v16, v1, v7, 2
	s_delay_alu instid0(VALU_DEP_2) | instskip(NEXT) | instid1(SALU_CYCLE_1)
	s_and_b32 s6, s6, s5
	s_and_saveexec_b32 s5, s6
	s_cbranch_execz .LBB198_11
; %bb.10:
	v_bcnt_u32_b32 v2, v2, 0
	ds_store_b32 v16, v2 offset:128
.LBB198_11:
	s_or_b32 exec_lo, exec_lo, s5
	v_cmp_lt_i16_e64 s5, -1, v6
	; wave barrier
	s_delay_alu instid0(VALU_DEP_1) | instskip(NEXT) | instid1(VALU_DEP_1)
	v_cndmask_b32_e64 v2, -1, 0xffff8000, s5
	v_xor_b32_e32 v17, v2, v6
	s_delay_alu instid0(VALU_DEP_1) | instskip(NEXT) | instid1(VALU_DEP_1)
	v_cmp_ne_u16_e64 s5, 0x7fff, v17
	v_cndmask_b32_e64 v2, 0xffff8000, v17, s5
	s_delay_alu instid0(VALU_DEP_1) | instskip(NEXT) | instid1(VALU_DEP_1)
	v_and_b32_e32 v2, 0xffff, v2
	v_lshrrev_b32_e32 v2, s28, v2
	s_delay_alu instid0(VALU_DEP_1) | instskip(NEXT) | instid1(VALU_DEP_1)
	v_and_b32_e32 v2, s33, v2
	v_and_b32_e32 v6, 1, v2
	v_lshlrev_b32_e32 v7, 30, v2
	v_lshlrev_b32_e32 v8, 29, v2
	v_lshlrev_b32_e32 v9, 28, v2
	v_lshlrev_b32_e32 v19, 27, v2
	v_add_co_u32 v6, s5, v6, -1
	s_delay_alu instid0(VALU_DEP_1)
	v_cndmask_b32_e64 v18, 0, 1, s5
	v_not_b32_e32 v22, v7
	v_cmp_gt_i32_e64 s6, 0, v7
	v_not_b32_e32 v7, v8
	v_lshlrev_b32_e32 v20, 26, v2
	v_cmp_ne_u32_e64 s5, 0, v18
	v_ashrrev_i32_e32 v22, 31, v22
	v_lshlrev_b32_e32 v21, 25, v2
	v_ashrrev_i32_e32 v7, 31, v7
	v_lshlrev_b32_e32 v18, 24, v2
	v_xor_b32_e32 v6, s5, v6
	v_cmp_gt_i32_e64 s5, 0, v8
	v_not_b32_e32 v8, v9
	v_xor_b32_e32 v22, s6, v22
	v_cmp_gt_i32_e64 s6, 0, v9
	v_and_b32_e32 v6, exec_lo, v6
	v_not_b32_e32 v9, v19
	v_ashrrev_i32_e32 v8, 31, v8
	v_xor_b32_e32 v7, s5, v7
	v_cmp_gt_i32_e64 s5, 0, v19
	v_and_b32_e32 v6, v6, v22
	v_not_b32_e32 v19, v20
	v_ashrrev_i32_e32 v9, 31, v9
	v_xor_b32_e32 v8, s6, v8
	v_cmp_gt_i32_e64 s6, 0, v20
	v_and_b32_e32 v6, v6, v7
	;; [unrolled: 5-line block ×3, first 2 shown]
	v_not_b32_e32 v8, v18
	v_ashrrev_i32_e32 v7, 31, v7
	v_xor_b32_e32 v19, s6, v19
	v_mul_u32_u24_e32 v2, 33, v2
	v_and_b32_e32 v6, v6, v9
	v_cmp_gt_i32_e64 s6, 0, v18
	v_ashrrev_i32_e32 v8, 31, v8
	v_xor_b32_e32 v7, s5, v7
	v_add_lshl_u32 v21, v1, v2, 2
	v_and_b32_e32 v6, v6, v19
	s_delay_alu instid0(VALU_DEP_4) | instskip(SKIP_2) | instid1(VALU_DEP_1)
	v_xor_b32_e32 v2, s6, v8
	ds_load_b32 v18, v21 offset:128
	v_and_b32_e32 v6, v6, v7
	; wave barrier
	v_and_b32_e32 v2, v6, v2
	s_delay_alu instid0(VALU_DEP_1) | instskip(SKIP_1) | instid1(VALU_DEP_2)
	v_mbcnt_lo_u32_b32 v19, v2, 0
	v_cmp_ne_u32_e64 s6, 0, v2
	v_cmp_eq_u32_e64 s5, 0, v19
	s_delay_alu instid0(VALU_DEP_1) | instskip(NEXT) | instid1(SALU_CYCLE_1)
	s_and_b32 s6, s6, s5
	s_and_saveexec_b32 s5, s6
	s_cbranch_execz .LBB198_13
; %bb.12:
	s_waitcnt lgkmcnt(0)
	v_bcnt_u32_b32 v2, v2, v18
	ds_store_b32 v21, v2 offset:128
.LBB198_13:
	s_or_b32 exec_lo, exec_lo, s5
	v_cmp_lt_i16_e64 s5, -1, v4
	; wave barrier
	s_delay_alu instid0(VALU_DEP_1) | instskip(NEXT) | instid1(VALU_DEP_1)
	v_cndmask_b32_e64 v2, -1, 0xffff8000, s5
	v_xor_b32_e32 v20, v2, v4
	s_delay_alu instid0(VALU_DEP_1) | instskip(NEXT) | instid1(VALU_DEP_1)
	v_cmp_ne_u16_e64 s5, 0x7fff, v20
	v_cndmask_b32_e64 v2, 0xffff8000, v20, s5
	s_delay_alu instid0(VALU_DEP_1) | instskip(NEXT) | instid1(VALU_DEP_1)
	v_and_b32_e32 v2, 0xffff, v2
	v_lshrrev_b32_e32 v2, s28, v2
	s_delay_alu instid0(VALU_DEP_1) | instskip(NEXT) | instid1(VALU_DEP_1)
	v_and_b32_e32 v2, s33, v2
	v_and_b32_e32 v4, 1, v2
	v_lshlrev_b32_e32 v6, 30, v2
	v_lshlrev_b32_e32 v7, 29, v2
	;; [unrolled: 1-line block ×4, first 2 shown]
	v_add_co_u32 v4, s5, v4, -1
	s_delay_alu instid0(VALU_DEP_1)
	v_cndmask_b32_e64 v9, 0, 1, s5
	v_not_b32_e32 v25, v6
	v_cmp_gt_i32_e64 s6, 0, v6
	v_not_b32_e32 v6, v7
	v_lshlrev_b32_e32 v23, 26, v2
	v_cmp_ne_u32_e64 s5, 0, v9
	v_ashrrev_i32_e32 v25, 31, v25
	v_lshlrev_b32_e32 v24, 25, v2
	v_ashrrev_i32_e32 v6, 31, v6
	v_lshlrev_b32_e32 v9, 24, v2
	v_xor_b32_e32 v4, s5, v4
	v_cmp_gt_i32_e64 s5, 0, v7
	v_not_b32_e32 v7, v8
	v_xor_b32_e32 v25, s6, v25
	v_cmp_gt_i32_e64 s6, 0, v8
	v_and_b32_e32 v4, exec_lo, v4
	v_not_b32_e32 v8, v22
	v_ashrrev_i32_e32 v7, 31, v7
	v_xor_b32_e32 v6, s5, v6
	v_cmp_gt_i32_e64 s5, 0, v22
	v_and_b32_e32 v4, v4, v25
	v_not_b32_e32 v22, v23
	v_ashrrev_i32_e32 v8, 31, v8
	v_xor_b32_e32 v7, s6, v7
	v_cmp_gt_i32_e64 s6, 0, v23
	v_and_b32_e32 v4, v4, v6
	;; [unrolled: 5-line block ×3, first 2 shown]
	v_not_b32_e32 v7, v9
	v_ashrrev_i32_e32 v6, 31, v6
	v_xor_b32_e32 v22, s6, v22
	v_mul_u32_u24_e32 v2, 33, v2
	v_and_b32_e32 v4, v4, v8
	v_cmp_gt_i32_e64 s6, 0, v9
	v_ashrrev_i32_e32 v7, 31, v7
	v_xor_b32_e32 v6, s5, v6
	s_delay_alu instid0(VALU_DEP_4) | instskip(SKIP_1) | instid1(VALU_DEP_4)
	v_and_b32_e32 v4, v4, v22
	v_add_lshl_u32 v22, v1, v2, 2
	v_xor_b32_e32 v2, s6, v7
	s_delay_alu instid0(VALU_DEP_3) | instskip(SKIP_2) | instid1(VALU_DEP_1)
	v_and_b32_e32 v4, v4, v6
	ds_load_b32 v23, v22 offset:128
	; wave barrier
	v_and_b32_e32 v2, v4, v2
	v_mbcnt_lo_u32_b32 v24, v2, 0
	v_cmp_ne_u32_e64 s6, 0, v2
	s_delay_alu instid0(VALU_DEP_2) | instskip(NEXT) | instid1(VALU_DEP_1)
	v_cmp_eq_u32_e64 s5, 0, v24
	s_and_b32 s6, s6, s5
	s_delay_alu instid0(SALU_CYCLE_1)
	s_and_saveexec_b32 s5, s6
	s_cbranch_execz .LBB198_15
; %bb.14:
	s_waitcnt lgkmcnt(0)
	v_bcnt_u32_b32 v2, v2, v23
	ds_store_b32 v22, v2 offset:128
.LBB198_15:
	s_or_b32 exec_lo, exec_lo, s5
	v_cmp_lt_i16_e64 s5, -1, v3
	; wave barrier
	v_add_nc_u32_e32 v29, 0x80, v15
	s_delay_alu instid0(VALU_DEP_2) | instskip(NEXT) | instid1(VALU_DEP_1)
	v_cndmask_b32_e64 v2, -1, 0xffff8000, s5
	v_xor_b32_e32 v25, v2, v3
	s_delay_alu instid0(VALU_DEP_1) | instskip(NEXT) | instid1(VALU_DEP_1)
	v_cmp_ne_u16_e64 s5, 0x7fff, v25
	v_cndmask_b32_e64 v2, 0xffff8000, v25, s5
	s_delay_alu instid0(VALU_DEP_1) | instskip(NEXT) | instid1(VALU_DEP_1)
	v_and_b32_e32 v2, 0xffff, v2
	v_lshrrev_b32_e32 v2, s28, v2
	s_delay_alu instid0(VALU_DEP_1) | instskip(NEXT) | instid1(VALU_DEP_1)
	v_and_b32_e32 v2, s33, v2
	v_and_b32_e32 v3, 1, v2
	v_lshlrev_b32_e32 v4, 30, v2
	v_lshlrev_b32_e32 v6, 29, v2
	;; [unrolled: 1-line block ×4, first 2 shown]
	v_add_co_u32 v3, s5, v3, -1
	s_delay_alu instid0(VALU_DEP_1)
	v_cndmask_b32_e64 v8, 0, 1, s5
	v_not_b32_e32 v28, v4
	v_cmp_gt_i32_e64 s6, 0, v4
	v_not_b32_e32 v4, v6
	v_lshlrev_b32_e32 v26, 26, v2
	v_cmp_ne_u32_e64 s5, 0, v8
	v_ashrrev_i32_e32 v28, 31, v28
	v_lshlrev_b32_e32 v27, 25, v2
	v_ashrrev_i32_e32 v4, 31, v4
	v_lshlrev_b32_e32 v8, 24, v2
	v_xor_b32_e32 v3, s5, v3
	v_cmp_gt_i32_e64 s5, 0, v6
	v_not_b32_e32 v6, v7
	v_xor_b32_e32 v28, s6, v28
	v_cmp_gt_i32_e64 s6, 0, v7
	v_and_b32_e32 v3, exec_lo, v3
	v_not_b32_e32 v7, v9
	v_ashrrev_i32_e32 v6, 31, v6
	v_xor_b32_e32 v4, s5, v4
	v_cmp_gt_i32_e64 s5, 0, v9
	v_and_b32_e32 v3, v3, v28
	v_not_b32_e32 v9, v26
	v_ashrrev_i32_e32 v7, 31, v7
	v_xor_b32_e32 v6, s6, v6
	v_cmp_gt_i32_e64 s6, 0, v26
	v_and_b32_e32 v3, v3, v4
	v_not_b32_e32 v4, v27
	v_ashrrev_i32_e32 v9, 31, v9
	v_xor_b32_e32 v7, s5, v7
	v_cmp_gt_i32_e64 s5, 0, v27
	v_and_b32_e32 v3, v3, v6
	v_not_b32_e32 v6, v8
	v_ashrrev_i32_e32 v4, 31, v4
	v_xor_b32_e32 v9, s6, v9
	v_mul_u32_u24_e32 v2, 33, v2
	v_and_b32_e32 v3, v3, v7
	v_cmp_gt_i32_e64 s6, 0, v8
	v_ashrrev_i32_e32 v6, 31, v6
	v_xor_b32_e32 v4, s5, v4
	v_add_lshl_u32 v28, v2, v1, 2
	v_and_b32_e32 v3, v3, v9
	s_delay_alu instid0(VALU_DEP_4) | instskip(SKIP_2) | instid1(VALU_DEP_1)
	v_xor_b32_e32 v1, s6, v6
	ds_load_b32 v26, v28 offset:128
	v_and_b32_e32 v2, v3, v4
	; wave barrier
	v_and_b32_e32 v1, v2, v1
	s_delay_alu instid0(VALU_DEP_1) | instskip(SKIP_1) | instid1(VALU_DEP_2)
	v_mbcnt_lo_u32_b32 v27, v1, 0
	v_cmp_ne_u32_e64 s6, 0, v1
	v_cmp_eq_u32_e64 s5, 0, v27
	s_delay_alu instid0(VALU_DEP_1) | instskip(NEXT) | instid1(SALU_CYCLE_1)
	s_and_b32 s6, s6, s5
	s_and_saveexec_b32 s5, s6
	s_cbranch_execz .LBB198_17
; %bb.16:
	s_waitcnt lgkmcnt(0)
	v_bcnt_u32_b32 v1, v1, v26
	ds_store_b32 v28, v1 offset:128
.LBB198_17:
	s_or_b32 exec_lo, exec_lo, s5
	; wave barrier
	s_waitcnt lgkmcnt(0)
	s_barrier
	buffer_gl0_inv
	ds_load_2addr_b32 v[8:9], v15 offset0:32 offset1:33
	ds_load_2addr_b32 v[6:7], v29 offset0:2 offset1:3
	;; [unrolled: 1-line block ×4, first 2 shown]
	ds_load_b32 v30, v29 offset:32
	v_and_b32_e32 v33, 16, v14
	v_and_b32_e32 v34, 31, v5
	s_mov_b32 s11, exec_lo
	s_delay_alu instid0(VALU_DEP_2) | instskip(SKIP_3) | instid1(VALU_DEP_1)
	v_cmp_eq_u32_e64 s9, 0, v33
	s_waitcnt lgkmcnt(3)
	v_add3_u32 v31, v9, v8, v6
	s_waitcnt lgkmcnt(2)
	v_add3_u32 v31, v31, v7, v3
	s_waitcnt lgkmcnt(1)
	s_delay_alu instid0(VALU_DEP_1) | instskip(SKIP_1) | instid1(VALU_DEP_1)
	v_add3_u32 v31, v31, v4, v1
	s_waitcnt lgkmcnt(0)
	v_add3_u32 v30, v31, v2, v30
	v_and_b32_e32 v31, 15, v14
	s_delay_alu instid0(VALU_DEP_2) | instskip(NEXT) | instid1(VALU_DEP_2)
	v_mov_b32_dpp v32, v30 row_shr:1 row_mask:0xf bank_mask:0xf
	v_cmp_eq_u32_e64 s5, 0, v31
	v_cmp_lt_u32_e64 s6, 1, v31
	v_cmp_lt_u32_e64 s7, 3, v31
	;; [unrolled: 1-line block ×3, first 2 shown]
	s_delay_alu instid0(VALU_DEP_4) | instskip(NEXT) | instid1(VALU_DEP_1)
	v_cndmask_b32_e64 v32, v32, 0, s5
	v_add_nc_u32_e32 v30, v32, v30
	s_delay_alu instid0(VALU_DEP_1) | instskip(NEXT) | instid1(VALU_DEP_1)
	v_mov_b32_dpp v32, v30 row_shr:2 row_mask:0xf bank_mask:0xf
	v_cndmask_b32_e64 v32, 0, v32, s6
	s_delay_alu instid0(VALU_DEP_1) | instskip(NEXT) | instid1(VALU_DEP_1)
	v_add_nc_u32_e32 v30, v30, v32
	v_mov_b32_dpp v32, v30 row_shr:4 row_mask:0xf bank_mask:0xf
	s_delay_alu instid0(VALU_DEP_1) | instskip(NEXT) | instid1(VALU_DEP_1)
	v_cndmask_b32_e64 v32, 0, v32, s7
	v_add_nc_u32_e32 v30, v30, v32
	s_delay_alu instid0(VALU_DEP_1) | instskip(NEXT) | instid1(VALU_DEP_1)
	v_mov_b32_dpp v32, v30 row_shr:8 row_mask:0xf bank_mask:0xf
	v_cndmask_b32_e64 v31, 0, v32, s8
	v_bfe_i32 v32, v14, 4, 1
	s_delay_alu instid0(VALU_DEP_2) | instskip(SKIP_4) | instid1(VALU_DEP_2)
	v_add_nc_u32_e32 v30, v30, v31
	ds_swizzle_b32 v31, v30 offset:swizzle(BROADCAST,32,15)
	s_waitcnt lgkmcnt(0)
	v_and_b32_e32 v32, v32, v31
	v_lshrrev_b32_e32 v31, 5, v5
	v_add_nc_u32_e32 v30, v30, v32
	v_cmpx_eq_u32_e32 31, v34
	s_cbranch_execz .LBB198_19
; %bb.18:
	s_delay_alu instid0(VALU_DEP_3)
	v_lshlrev_b32_e32 v32, 2, v31
	ds_store_b32 v32, v30
.LBB198_19:
	s_or_b32 exec_lo, exec_lo, s11
	v_cmp_lt_u32_e64 s10, 31, v5
	s_mov_b32 s35, exec_lo
	s_waitcnt lgkmcnt(0)
	s_barrier
	buffer_gl0_inv
	v_cmpx_gt_u32_e32 32, v5
	s_cbranch_execz .LBB198_21
; %bb.20:
	ds_load_b32 v32, v11
	s_waitcnt lgkmcnt(0)
	v_mov_b32_dpp v33, v32 row_shr:1 row_mask:0xf bank_mask:0xf
	s_delay_alu instid0(VALU_DEP_1) | instskip(NEXT) | instid1(VALU_DEP_1)
	v_cndmask_b32_e64 v33, v33, 0, s5
	v_add_nc_u32_e32 v32, v33, v32
	s_delay_alu instid0(VALU_DEP_1) | instskip(NEXT) | instid1(VALU_DEP_1)
	v_mov_b32_dpp v33, v32 row_shr:2 row_mask:0xf bank_mask:0xf
	v_cndmask_b32_e64 v33, 0, v33, s6
	s_delay_alu instid0(VALU_DEP_1) | instskip(NEXT) | instid1(VALU_DEP_1)
	v_add_nc_u32_e32 v32, v32, v33
	v_mov_b32_dpp v33, v32 row_shr:4 row_mask:0xf bank_mask:0xf
	s_delay_alu instid0(VALU_DEP_1) | instskip(NEXT) | instid1(VALU_DEP_1)
	v_cndmask_b32_e64 v33, 0, v33, s7
	v_add_nc_u32_e32 v32, v32, v33
	s_delay_alu instid0(VALU_DEP_1) | instskip(NEXT) | instid1(VALU_DEP_1)
	v_mov_b32_dpp v33, v32 row_shr:8 row_mask:0xf bank_mask:0xf
	v_cndmask_b32_e64 v33, 0, v33, s8
	s_delay_alu instid0(VALU_DEP_1) | instskip(SKIP_3) | instid1(VALU_DEP_1)
	v_add_nc_u32_e32 v32, v32, v33
	ds_swizzle_b32 v33, v32 offset:swizzle(BROADCAST,32,15)
	s_waitcnt lgkmcnt(0)
	v_cndmask_b32_e64 v33, v33, 0, s9
	v_add_nc_u32_e32 v32, v32, v33
	ds_store_b32 v11, v32
.LBB198_21:
	s_or_b32 exec_lo, exec_lo, s35
	v_mov_b32_e32 v11, 0
	s_waitcnt lgkmcnt(0)
	s_barrier
	buffer_gl0_inv
	s_and_saveexec_b32 s5, s10
	s_cbranch_execz .LBB198_23
; %bb.22:
	v_lshl_add_u32 v11, v31, 2, -4
	ds_load_b32 v11, v11
.LBB198_23:
	s_or_b32 exec_lo, exec_lo, s5
	v_add_nc_u32_e32 v31, -1, v14
	s_waitcnt lgkmcnt(0)
	v_add_nc_u32_e32 v30, v11, v30
	s_delay_alu instid0(VALU_DEP_2) | instskip(NEXT) | instid1(VALU_DEP_1)
	v_cmp_gt_i32_e64 s5, 0, v31
	v_cndmask_b32_e64 v31, v31, v14, s5
	v_cmp_eq_u32_e64 s5, 0, v14
	s_delay_alu instid0(VALU_DEP_2) | instskip(SKIP_4) | instid1(VALU_DEP_1)
	v_lshlrev_b32_e32 v31, 2, v31
	ds_bpermute_b32 v30, v31, v30
	s_waitcnt lgkmcnt(0)
	v_cndmask_b32_e64 v11, v30, v11, s5
	v_cmp_ne_u32_e64 s5, 0, v5
	v_cndmask_b32_e64 v11, 0, v11, s5
	v_cmp_gt_u32_e64 s5, 0x100, v5
	s_delay_alu instid0(VALU_DEP_2) | instskip(NEXT) | instid1(VALU_DEP_1)
	v_add_nc_u32_e32 v8, v11, v8
	v_add_nc_u32_e32 v9, v8, v9
	s_delay_alu instid0(VALU_DEP_1) | instskip(NEXT) | instid1(VALU_DEP_1)
	v_add_nc_u32_e32 v6, v9, v6
	v_add_nc_u32_e32 v7, v6, v7
	s_delay_alu instid0(VALU_DEP_1) | instskip(NEXT) | instid1(VALU_DEP_1)
	;; [unrolled: 3-line block ×3, first 2 shown]
	v_add_nc_u32_e32 v1, v4, v1
	v_add_nc_u32_e32 v2, v1, v2
	ds_store_2addr_b32 v15, v11, v8 offset0:32 offset1:33
	ds_store_2addr_b32 v29, v9, v6 offset0:2 offset1:3
	;; [unrolled: 1-line block ×4, first 2 shown]
	ds_store_b32 v29, v2 offset:32
	s_waitcnt lgkmcnt(0)
	s_barrier
	buffer_gl0_inv
	ds_load_b32 v1, v16 offset:128
	ds_load_b32 v2, v21 offset:128
	;; [unrolled: 1-line block ×4, first 2 shown]
                                        ; implicit-def: $vgpr15
                                        ; implicit-def: $vgpr16
	s_and_saveexec_b32 s7, s5
	s_cbranch_execz .LBB198_27
; %bb.24:
	v_mul_u32_u24_e32 v6, 33, v5
	s_mov_b32 s8, exec_lo
	s_delay_alu instid0(VALU_DEP_1)
	v_dual_mov_b32 v6, 0x1000 :: v_dual_lshlrev_b32 v7, 2, v6
	ds_load_b32 v15, v7 offset:128
	v_cmpx_ne_u32_e32 0xff, v5
	s_cbranch_execz .LBB198_26
; %bb.25:
	ds_load_b32 v6, v7 offset:260
.LBB198_26:
	s_or_b32 exec_lo, exec_lo, s8
	s_waitcnt lgkmcnt(0)
	v_sub_nc_u32_e32 v16, v6, v15
.LBB198_27:
	s_or_b32 exec_lo, exec_lo, s7
	s_waitcnt lgkmcnt(3)
	v_add_nc_u32_e32 v22, v1, v13
	s_waitcnt lgkmcnt(2)
	v_add3_u32 v21, v19, v18, v2
	s_waitcnt lgkmcnt(1)
	v_add3_u32 v19, v24, v23, v3
	;; [unrolled: 2-line block ×3, first 2 shown]
	v_lshlrev_b32_e32 v1, 1, v22
	v_lshlrev_b32_e32 v2, 1, v21
	;; [unrolled: 1-line block ×3, first 2 shown]
	s_delay_alu instid0(VALU_DEP_4)
	v_lshlrev_b32_e32 v4, 1, v18
	s_barrier
	buffer_gl0_inv
	ds_store_b16 v1, v12 offset:2048
	ds_store_b16 v2, v17 offset:2048
	;; [unrolled: 1-line block ×4, first 2 shown]
	s_waitcnt lgkmcnt(0)
	s_barrier
	buffer_gl0_inv
	s_and_saveexec_b32 s7, s5
	s_cbranch_execz .LBB198_37
; %bb.28:
	v_lshl_or_b32 v3, s15, 8, v5
	v_mov_b32_e32 v4, 0
	v_mov_b32_e32 v8, 0
	s_mov_b32 s8, 0
	s_mov_b32 s9, s15
	s_delay_alu instid0(VALU_DEP_2) | instskip(SKIP_1) | instid1(VALU_DEP_2)
	v_lshlrev_b64 v[1:2], 2, v[3:4]
	v_or_b32_e32 v3, 2.0, v16
	v_add_co_u32 v1, s6, s12, v1
	s_delay_alu instid0(VALU_DEP_1)
	v_add_co_ci_u32_e64 v2, s6, s13, v2, s6
                                        ; implicit-def: $sgpr6
	global_store_b32 v[1:2], v3, off
	s_branch .LBB198_30
	.p2align	6
.LBB198_29:                             ;   in Loop: Header=BB198_30 Depth=1
	s_or_b32 exec_lo, exec_lo, s10
	v_and_b32_e32 v6, 0x3fffffff, v9
	v_cmp_eq_u32_e64 s6, 0x80000000, v3
	s_delay_alu instid0(VALU_DEP_2) | instskip(NEXT) | instid1(VALU_DEP_2)
	v_add_nc_u32_e32 v8, v6, v8
	s_and_b32 s10, exec_lo, s6
	s_delay_alu instid0(SALU_CYCLE_1) | instskip(NEXT) | instid1(SALU_CYCLE_1)
	s_or_b32 s8, s10, s8
	s_and_not1_b32 exec_lo, exec_lo, s8
	s_cbranch_execz .LBB198_36
.LBB198_30:                             ; =>This Loop Header: Depth=1
                                        ;     Child Loop BB198_33 Depth 2
	s_or_b32 s6, s6, exec_lo
	s_cmp_eq_u32 s9, 0
	s_cbranch_scc1 .LBB198_35
; %bb.31:                               ;   in Loop: Header=BB198_30 Depth=1
	s_add_i32 s9, s9, -1
	s_mov_b32 s10, exec_lo
	v_lshl_or_b32 v3, s9, 8, v5
	s_delay_alu instid0(VALU_DEP_1) | instskip(NEXT) | instid1(VALU_DEP_1)
	v_lshlrev_b64 v[6:7], 2, v[3:4]
	v_add_co_u32 v6, s6, s12, v6
	s_delay_alu instid0(VALU_DEP_1) | instskip(SKIP_3) | instid1(VALU_DEP_1)
	v_add_co_ci_u32_e64 v7, s6, s13, v7, s6
	global_load_b32 v9, v[6:7], off glc
	s_waitcnt vmcnt(0)
	v_and_b32_e32 v3, -2.0, v9
	v_cmpx_eq_u32_e32 0, v3
	s_cbranch_execz .LBB198_29
; %bb.32:                               ;   in Loop: Header=BB198_30 Depth=1
	s_mov_b32 s11, 0
.LBB198_33:                             ;   Parent Loop BB198_30 Depth=1
                                        ; =>  This Inner Loop Header: Depth=2
	global_load_b32 v9, v[6:7], off glc
	s_waitcnt vmcnt(0)
	v_and_b32_e32 v3, -2.0, v9
	s_delay_alu instid0(VALU_DEP_1) | instskip(NEXT) | instid1(VALU_DEP_1)
	v_cmp_ne_u32_e64 s6, 0, v3
	s_or_b32 s11, s6, s11
	s_delay_alu instid0(SALU_CYCLE_1)
	s_and_not1_b32 exec_lo, exec_lo, s11
	s_cbranch_execnz .LBB198_33
; %bb.34:                               ;   in Loop: Header=BB198_30 Depth=1
	s_or_b32 exec_lo, exec_lo, s11
	s_branch .LBB198_29
.LBB198_35:                             ;   in Loop: Header=BB198_30 Depth=1
                                        ; implicit-def: $sgpr9
	s_and_b32 s10, exec_lo, s6
	s_delay_alu instid0(SALU_CYCLE_1) | instskip(NEXT) | instid1(SALU_CYCLE_1)
	s_or_b32 s8, s10, s8
	s_and_not1_b32 exec_lo, exec_lo, s8
	s_cbranch_execnz .LBB198_30
.LBB198_36:
	s_or_b32 exec_lo, exec_lo, s8
	v_add_nc_u32_e32 v3, v8, v16
	v_lshlrev_b32_e32 v4, 3, v5
	s_delay_alu instid0(VALU_DEP_2) | instskip(SKIP_3) | instid1(VALU_DEP_1)
	v_or_b32_e32 v3, 0x80000000, v3
	global_store_b32 v[1:2], v3, off
	global_load_b64 v[1:2], v4, s[24:25]
	v_sub_co_u32 v3, s6, v8, v15
	v_sub_co_ci_u32_e64 v6, null, 0, 0, s6
	s_waitcnt vmcnt(0)
	s_delay_alu instid0(VALU_DEP_2) | instskip(NEXT) | instid1(VALU_DEP_1)
	v_add_co_u32 v1, s6, v3, v1
	v_add_co_ci_u32_e64 v2, s6, v6, v2, s6
	ds_store_b64 v4, v[1:2]
.LBB198_37:
	s_or_b32 exec_lo, exec_lo, s7
	v_cmp_gt_u32_e64 s6, s34, v5
	v_lshlrev_b32_e32 v24, 1, v5
	s_waitcnt lgkmcnt(0)
	s_waitcnt_vscnt null, 0x0
	s_barrier
	buffer_gl0_inv
	s_and_saveexec_b32 s8, s6
	s_cbranch_execz .LBB198_39
; %bb.38:
	ds_load_u16 v3, v24 offset:2048
	s_waitcnt lgkmcnt(0)
	v_cmp_ne_u16_e64 s7, 0x7fff, v3
	s_delay_alu instid0(VALU_DEP_1) | instskip(SKIP_1) | instid1(VALU_DEP_2)
	v_cndmask_b32_e64 v1, 0xffff8000, v3, s7
	v_cmp_lt_i16_e64 s7, -1, v3
	v_and_b32_e32 v1, 0xffff, v1
	s_delay_alu instid0(VALU_DEP_2) | instskip(NEXT) | instid1(VALU_DEP_2)
	v_cndmask_b32_e64 v4, 0xffff8000, -1, s7
	v_lshrrev_b32_e32 v1, s28, v1
	s_delay_alu instid0(VALU_DEP_2) | instskip(NEXT) | instid1(VALU_DEP_2)
	v_xor_b32_e32 v3, v4, v3
	v_and_b32_e32 v1, s33, v1
	s_delay_alu instid0(VALU_DEP_1) | instskip(SKIP_3) | instid1(VALU_DEP_1)
	v_lshlrev_b32_e32 v1, 3, v1
	ds_load_b64 v[1:2], v1
	s_waitcnt lgkmcnt(0)
	v_lshlrev_b64 v[1:2], 1, v[1:2]
	v_add_co_u32 v1, s7, s18, v1
	s_delay_alu instid0(VALU_DEP_1) | instskip(NEXT) | instid1(VALU_DEP_2)
	v_add_co_ci_u32_e64 v2, s7, s19, v2, s7
	v_add_co_u32 v1, s7, v1, v24
	s_delay_alu instid0(VALU_DEP_1)
	v_add_co_ci_u32_e64 v2, s7, 0, v2, s7
	global_store_b16 v[1:2], v3, off
.LBB198_39:
	s_or_b32 exec_lo, exec_lo, s8
	v_or_b32_e32 v17, 0x400, v5
	s_delay_alu instid0(VALU_DEP_1) | instskip(NEXT) | instid1(VALU_DEP_1)
	v_cmp_gt_u32_e64 s7, s34, v17
	s_and_saveexec_b32 s9, s7
	s_cbranch_execz .LBB198_41
; %bb.40:
	ds_load_u16 v3, v24 offset:4096
	s_waitcnt lgkmcnt(0)
	v_cmp_ne_u16_e64 s8, 0x7fff, v3
	s_delay_alu instid0(VALU_DEP_1) | instskip(SKIP_1) | instid1(VALU_DEP_2)
	v_cndmask_b32_e64 v1, 0xffff8000, v3, s8
	v_cmp_lt_i16_e64 s8, -1, v3
	v_and_b32_e32 v1, 0xffff, v1
	s_delay_alu instid0(VALU_DEP_2) | instskip(NEXT) | instid1(VALU_DEP_2)
	v_cndmask_b32_e64 v4, 0xffff8000, -1, s8
	v_lshrrev_b32_e32 v1, s28, v1
	s_delay_alu instid0(VALU_DEP_2) | instskip(NEXT) | instid1(VALU_DEP_2)
	v_xor_b32_e32 v3, v4, v3
	v_and_b32_e32 v1, s33, v1
	s_delay_alu instid0(VALU_DEP_1) | instskip(SKIP_3) | instid1(VALU_DEP_1)
	v_lshlrev_b32_e32 v1, 3, v1
	ds_load_b64 v[1:2], v1
	s_waitcnt lgkmcnt(0)
	v_lshlrev_b64 v[1:2], 1, v[1:2]
	v_add_co_u32 v1, s8, s18, v1
	s_delay_alu instid0(VALU_DEP_1) | instskip(NEXT) | instid1(VALU_DEP_2)
	v_add_co_ci_u32_e64 v2, s8, s19, v2, s8
	v_add_co_u32 v1, s8, v1, v24
	s_delay_alu instid0(VALU_DEP_1)
	v_add_co_ci_u32_e64 v2, s8, 0, v2, s8
	global_store_b16 v[1:2], v3, off offset:2048
.LBB198_41:
	s_or_b32 exec_lo, exec_lo, s9
	v_or_b32_e32 v20, 0x800, v5
	s_delay_alu instid0(VALU_DEP_1) | instskip(NEXT) | instid1(VALU_DEP_1)
	v_cmp_gt_u32_e64 s8, s34, v20
	s_and_saveexec_b32 s10, s8
	s_cbranch_execz .LBB198_43
; %bb.42:
	ds_load_u16 v3, v24 offset:6144
	v_lshlrev_b32_e32 v4, 1, v20
	s_waitcnt lgkmcnt(0)
	v_cmp_ne_u16_e64 s9, 0x7fff, v3
	s_delay_alu instid0(VALU_DEP_1) | instskip(SKIP_1) | instid1(VALU_DEP_2)
	v_cndmask_b32_e64 v1, 0xffff8000, v3, s9
	v_cmp_lt_i16_e64 s9, -1, v3
	v_and_b32_e32 v1, 0xffff, v1
	s_delay_alu instid0(VALU_DEP_2) | instskip(NEXT) | instid1(VALU_DEP_2)
	v_cndmask_b32_e64 v6, 0xffff8000, -1, s9
	v_lshrrev_b32_e32 v1, s28, v1
	s_delay_alu instid0(VALU_DEP_2) | instskip(NEXT) | instid1(VALU_DEP_2)
	v_xor_b32_e32 v3, v6, v3
	v_and_b32_e32 v1, s33, v1
	s_delay_alu instid0(VALU_DEP_1) | instskip(SKIP_3) | instid1(VALU_DEP_1)
	v_lshlrev_b32_e32 v1, 3, v1
	ds_load_b64 v[1:2], v1
	s_waitcnt lgkmcnt(0)
	v_lshlrev_b64 v[1:2], 1, v[1:2]
	v_add_co_u32 v1, s9, s18, v1
	s_delay_alu instid0(VALU_DEP_1) | instskip(NEXT) | instid1(VALU_DEP_2)
	v_add_co_ci_u32_e64 v2, s9, s19, v2, s9
	v_add_co_u32 v1, s9, v1, v4
	s_delay_alu instid0(VALU_DEP_1)
	v_add_co_ci_u32_e64 v2, s9, 0, v2, s9
	global_store_b16 v[1:2], v3, off
.LBB198_43:
	s_or_b32 exec_lo, exec_lo, s10
	v_or_b32_e32 v23, 0xc00, v5
	s_delay_alu instid0(VALU_DEP_1) | instskip(NEXT) | instid1(VALU_DEP_1)
	v_cmp_gt_u32_e64 s9, s34, v23
	s_and_saveexec_b32 s11, s9
	s_cbranch_execz .LBB198_45
; %bb.44:
	ds_load_u16 v3, v24 offset:8192
	v_lshlrev_b32_e32 v4, 1, v23
	s_waitcnt lgkmcnt(0)
	v_cmp_ne_u16_e64 s10, 0x7fff, v3
	s_delay_alu instid0(VALU_DEP_1) | instskip(SKIP_1) | instid1(VALU_DEP_2)
	v_cndmask_b32_e64 v1, 0xffff8000, v3, s10
	v_cmp_lt_i16_e64 s10, -1, v3
	v_and_b32_e32 v1, 0xffff, v1
	s_delay_alu instid0(VALU_DEP_2) | instskip(NEXT) | instid1(VALU_DEP_2)
	v_cndmask_b32_e64 v6, 0xffff8000, -1, s10
	v_lshrrev_b32_e32 v1, s28, v1
	s_delay_alu instid0(VALU_DEP_2) | instskip(NEXT) | instid1(VALU_DEP_2)
	v_xor_b32_e32 v3, v6, v3
	v_and_b32_e32 v1, s33, v1
	s_delay_alu instid0(VALU_DEP_1) | instskip(SKIP_3) | instid1(VALU_DEP_1)
	v_lshlrev_b32_e32 v1, 3, v1
	ds_load_b64 v[1:2], v1
	s_waitcnt lgkmcnt(0)
	v_lshlrev_b64 v[1:2], 1, v[1:2]
	v_add_co_u32 v1, s10, s18, v1
	s_delay_alu instid0(VALU_DEP_1) | instskip(NEXT) | instid1(VALU_DEP_2)
	v_add_co_ci_u32_e64 v2, s10, s19, v2, s10
	v_add_co_u32 v1, s10, v1, v4
	s_delay_alu instid0(VALU_DEP_1)
	v_add_co_ci_u32_e64 v2, s10, 0, v2, s10
	global_store_b16 v[1:2], v3, off
.LBB198_45:
	s_or_b32 exec_lo, exec_lo, s11
	v_lshlrev_b32_e32 v1, 3, v14
	s_lshl_b64 s[10:11], s[30:31], 3
	v_lshlrev_b32_e32 v2, 3, v10
	s_add_u32 s10, s20, s10
	s_addc_u32 s11, s21, s11
	v_add_co_u32 v1, s10, s10, v1
	s_delay_alu instid0(VALU_DEP_1) | instskip(NEXT) | instid1(VALU_DEP_2)
	v_add_co_ci_u32_e64 v3, null, s11, 0, s10
                                        ; implicit-def: $vgpr6_vgpr7
	v_add_co_u32 v1, s10, v1, v2
	s_delay_alu instid0(VALU_DEP_1) | instskip(SKIP_1) | instid1(SALU_CYCLE_1)
	v_add_co_ci_u32_e64 v2, s10, 0, v3, s10
	s_and_saveexec_b32 s10, vcc_lo
	s_xor_b32 s10, exec_lo, s10
	s_cbranch_execnz .LBB198_99
; %bb.46:
	s_or_b32 exec_lo, exec_lo, s10
                                        ; implicit-def: $vgpr8_vgpr9
	s_and_saveexec_b32 s10, s2
	s_cbranch_execnz .LBB198_100
.LBB198_47:
	s_or_b32 exec_lo, exec_lo, s10
                                        ; implicit-def: $vgpr10_vgpr11
	s_and_saveexec_b32 s2, s3
	s_cbranch_execnz .LBB198_101
.LBB198_48:
	s_or_b32 exec_lo, exec_lo, s2
                                        ; implicit-def: $vgpr12_vgpr13
	s_and_saveexec_b32 s2, s4
	s_cbranch_execnz .LBB198_102
.LBB198_49:
	s_or_b32 exec_lo, exec_lo, s2
                                        ; implicit-def: $vgpr1_vgpr2_vgpr3_vgpr4
	s_and_saveexec_b32 s2, s6
	s_cbranch_execnz .LBB198_103
.LBB198_50:
	s_or_b32 exec_lo, exec_lo, s2
	s_and_saveexec_b32 s2, s7
	s_cbranch_execnz .LBB198_104
.LBB198_51:
	s_or_b32 exec_lo, exec_lo, s2
	s_and_saveexec_b32 s2, s8
	s_cbranch_execnz .LBB198_105
.LBB198_52:
	s_or_b32 exec_lo, exec_lo, s2
	s_and_saveexec_b32 s2, s9
	s_cbranch_execz .LBB198_54
.LBB198_53:
	ds_load_u16 v4, v24 offset:8192
	s_waitcnt lgkmcnt(0)
	v_cmp_ne_u16_e32 vcc_lo, 0x7fff, v4
	v_cndmask_b32_e32 v4, 0xffff8000, v4, vcc_lo
	s_delay_alu instid0(VALU_DEP_1) | instskip(NEXT) | instid1(VALU_DEP_1)
	v_and_b32_e32 v4, 0xffff, v4
	v_lshrrev_b32_e32 v4, s28, v4
	s_delay_alu instid0(VALU_DEP_1)
	v_and_b32_e32 v4, s33, v4
.LBB198_54:
	s_or_b32 exec_lo, exec_lo, s2
	v_lshlrev_b32_e32 v22, 3, v22
	v_lshlrev_b32_e32 v21, 3, v21
	;; [unrolled: 1-line block ×3, first 2 shown]
	s_waitcnt vmcnt(0)
	s_waitcnt_vscnt null, 0x0
	s_barrier
	buffer_gl0_inv
	v_lshlrev_b32_e32 v18, 3, v18
	ds_store_b64 v22, v[6:7] offset:2048
	ds_store_b64 v21, v[8:9] offset:2048
	;; [unrolled: 1-line block ×3, first 2 shown]
	v_lshlrev_b32_e32 v6, 3, v5
	ds_store_b64 v18, v[12:13] offset:2048
	s_waitcnt lgkmcnt(0)
	s_barrier
	buffer_gl0_inv
	s_and_saveexec_b32 s2, s6
	s_cbranch_execnz .LBB198_106
; %bb.55:
	s_or_b32 exec_lo, exec_lo, s2
	s_and_saveexec_b32 s2, s7
	s_cbranch_execnz .LBB198_107
.LBB198_56:
	s_or_b32 exec_lo, exec_lo, s2
	s_and_saveexec_b32 s2, s8
	s_cbranch_execnz .LBB198_108
.LBB198_57:
	s_or_b32 exec_lo, exec_lo, s2
	s_and_saveexec_b32 s2, s9
	s_cbranch_execz .LBB198_59
.LBB198_58:
	v_lshlrev_b32_e32 v1, 3, v4
	ds_load_b64 v[1:2], v1
	ds_load_b64 v[3:4], v6 offset:26624
	v_lshlrev_b32_e32 v6, 3, v23
	s_waitcnt lgkmcnt(1)
	v_lshlrev_b64 v[1:2], 3, v[1:2]
	s_delay_alu instid0(VALU_DEP_1) | instskip(NEXT) | instid1(VALU_DEP_2)
	v_add_co_u32 v1, vcc_lo, s22, v1
	v_add_co_ci_u32_e32 v2, vcc_lo, s23, v2, vcc_lo
	s_delay_alu instid0(VALU_DEP_2) | instskip(NEXT) | instid1(VALU_DEP_2)
	v_add_co_u32 v1, vcc_lo, v1, v6
	v_add_co_ci_u32_e32 v2, vcc_lo, 0, v2, vcc_lo
	s_waitcnt lgkmcnt(0)
	global_store_b64 v[1:2], v[3:4], off
.LBB198_59:
	s_or_b32 exec_lo, exec_lo, s2
	s_add_i32 s14, s14, -1
	s_mov_b32 s2, 0
	s_cmp_eq_u32 s15, s14
	s_mov_b32 s8, 0
	s_cselect_b32 s3, -1, 0
                                        ; implicit-def: $vgpr2_vgpr3
	s_delay_alu instid0(SALU_CYCLE_1) | instskip(NEXT) | instid1(SALU_CYCLE_1)
	s_and_b32 s3, s5, s3
	s_and_saveexec_b32 s4, s3
	s_delay_alu instid0(SALU_CYCLE_1)
	s_xor_b32 s3, exec_lo, s4
; %bb.60:
	v_add_co_u32 v2, s4, v15, v16
	v_mov_b32_e32 v6, 0
	v_add_co_ci_u32_e64 v3, null, 0, 0, s4
	s_mov_b32 s8, exec_lo
; %bb.61:
	s_or_b32 exec_lo, exec_lo, s3
	s_delay_alu instid0(SALU_CYCLE_1)
	s_and_b32 vcc_lo, exec_lo, s2
	s_cbranch_vccnz .LBB198_63
	s_branch .LBB198_96
.LBB198_62:
	s_mov_b32 s8, 0
                                        ; implicit-def: $vgpr2_vgpr3
	s_cbranch_execz .LBB198_96
.LBB198_63:
	v_lshlrev_b32_e32 v11, 2, v5
	s_lshl_b32 s6, s15, 12
	s_mov_b32 s7, 0
	v_lshlrev_b32_e32 v1, 1, v14
	s_lshl_b64 s[2:3], s[6:7], 1
	v_dual_mov_b32 v9, 0 :: v_dual_and_b32 v4, 0xf80, v11
	s_add_u32 s2, s16, s2
	s_addc_u32 s3, s17, s3
	v_add_co_u32 v1, s2, s2, v1
	s_delay_alu instid0(VALU_DEP_2) | instskip(SKIP_1) | instid1(VALU_DEP_2)
	v_lshlrev_b32_e32 v2, 1, v4
	v_add_co_ci_u32_e64 v3, null, s3, 0, s2
	v_add_co_u32 v6, vcc_lo, v1, v2
	s_delay_alu instid0(VALU_DEP_2)
	v_add_co_ci_u32_e32 v7, vcc_lo, 0, v3, vcc_lo
	global_load_u16 v8, v[6:7], off
	s_clause 0x1
	s_load_b32 s2, s[0:1], 0x5c
	s_load_b32 s9, s[0:1], 0x50
	s_add_u32 s0, s0, 0x50
	s_addc_u32 s1, s1, 0
	s_waitcnt lgkmcnt(0)
	s_lshr_b32 s2, s2, 16
	s_cmp_lt_u32 s15, s9
	s_cselect_b32 s3, 12, 18
	s_delay_alu instid0(SALU_CYCLE_1)
	s_add_u32 s0, s0, s3
	s_addc_u32 s1, s1, 0
	global_load_u16 v12, v9, s[0:1]
	s_clause 0x2
	global_load_u16 v3, v[6:7], off offset:64
	global_load_u16 v2, v[6:7], off offset:128
	;; [unrolled: 1-line block ×3, first 2 shown]
	s_lshl_b32 s0, -1, s29
	s_delay_alu instid0(SALU_CYCLE_1) | instskip(SKIP_3) | instid1(VALU_DEP_1)
	s_not_b32 s10, s0
	s_waitcnt vmcnt(4)
	v_cmp_lt_i16_e32 vcc_lo, -1, v8
	v_cndmask_b32_e64 v6, -1, 0xffff8000, vcc_lo
	v_xor_b32_e32 v10, v6, v8
	s_delay_alu instid0(VALU_DEP_1) | instskip(SKIP_1) | instid1(VALU_DEP_1)
	v_cmp_ne_u16_e32 vcc_lo, 0x7fff, v10
	v_cndmask_b32_e32 v6, 0xffff8000, v10, vcc_lo
	v_and_b32_e32 v6, 0xffff, v6
	s_delay_alu instid0(VALU_DEP_1) | instskip(NEXT) | instid1(VALU_DEP_1)
	v_lshrrev_b32_e32 v6, s28, v6
	v_and_b32_e32 v13, s10, v6
	v_bfe_u32 v6, v0, 10, 10
	v_bfe_u32 v0, v0, 20, 10
	s_delay_alu instid0(VALU_DEP_3)
	v_and_b32_e32 v7, 1, v13
	v_lshlrev_b32_e32 v8, 30, v13
	v_lshlrev_b32_e32 v15, 29, v13
	;; [unrolled: 1-line block ×4, first 2 shown]
	v_add_co_u32 v7, s0, v7, -1
	s_delay_alu instid0(VALU_DEP_1)
	v_cndmask_b32_e64 v17, 0, 1, s0
	v_not_b32_e32 v21, v8
	v_cmp_gt_i32_e64 s0, 0, v8
	v_not_b32_e32 v8, v15
	v_lshlrev_b32_e32 v19, 26, v13
	v_cmp_ne_u32_e32 vcc_lo, 0, v17
	v_ashrrev_i32_e32 v21, 31, v21
	v_lshlrev_b32_e32 v20, 25, v13
	v_ashrrev_i32_e32 v8, 31, v8
	v_lshlrev_b32_e32 v17, 24, v13
	v_xor_b32_e32 v7, vcc_lo, v7
	v_cmp_gt_i32_e32 vcc_lo, 0, v15
	v_not_b32_e32 v15, v16
	v_xor_b32_e32 v21, s0, v21
	v_cmp_gt_i32_e64 s0, 0, v16
	v_and_b32_e32 v7, exec_lo, v7
	v_not_b32_e32 v16, v18
	v_ashrrev_i32_e32 v15, 31, v15
	v_xor_b32_e32 v8, vcc_lo, v8
	v_cmp_gt_i32_e32 vcc_lo, 0, v18
	v_and_b32_e32 v7, v7, v21
	v_not_b32_e32 v18, v19
	v_ashrrev_i32_e32 v16, 31, v16
	v_xor_b32_e32 v15, s0, v15
	v_cmp_gt_i32_e64 s0, 0, v19
	v_and_b32_e32 v7, v7, v8
	v_not_b32_e32 v8, v20
	v_ashrrev_i32_e32 v18, 31, v18
	v_xor_b32_e32 v16, vcc_lo, v16
	v_cmp_gt_i32_e32 vcc_lo, 0, v20
	v_and_b32_e32 v7, v7, v15
	v_not_b32_e32 v15, v17
	v_ashrrev_i32_e32 v8, 31, v8
	v_xor_b32_e32 v18, s0, v18
	v_cmp_gt_i32_e64 s0, 0, v17
	v_and_b32_e32 v7, v7, v16
	v_ashrrev_i32_e32 v15, 31, v15
	v_xor_b32_e32 v8, vcc_lo, v8
	v_mad_u32_u24 v0, v0, s2, v6
	v_mul_u32_u24_e32 v16, 9, v5
	v_and_b32_e32 v7, v7, v18
	v_xor_b32_e32 v6, s0, v15
	s_delay_alu instid0(VALU_DEP_3) | instskip(NEXT) | instid1(VALU_DEP_3)
	v_lshlrev_b32_e32 v15, 2, v16
	v_and_b32_e32 v17, v7, v8
	s_waitcnt vmcnt(3)
	s_delay_alu instid0(VALU_DEP_3)
	v_mad_u64_u32 v[7:8], null, v0, v12, v[5:6]
	ds_store_2addr_b32 v15, v9, v9 offset0:32 offset1:33
	ds_store_2addr_b32 v15, v9, v9 offset0:34 offset1:35
	;; [unrolled: 1-line block ×4, first 2 shown]
	v_and_b32_e32 v6, v17, v6
	ds_store_b32 v15, v9 offset:160
	s_waitcnt vmcnt(0) lgkmcnt(0)
	s_waitcnt_vscnt null, 0x0
	s_barrier
	v_lshrrev_b32_e32 v0, 5, v7
	v_mbcnt_lo_u32_b32 v12, v6, 0
	v_mul_u32_u24_e32 v7, 33, v13
	v_cmp_ne_u32_e64 s0, 0, v6
	buffer_gl0_inv
	v_cmp_eq_u32_e32 vcc_lo, 0, v12
	v_add_lshl_u32 v16, v0, v7, 2
	; wave barrier
	s_and_b32 s1, s0, vcc_lo
	s_delay_alu instid0(SALU_CYCLE_1)
	s_and_saveexec_b32 s0, s1
	s_cbranch_execz .LBB198_65
; %bb.64:
	v_bcnt_u32_b32 v6, v6, 0
	ds_store_b32 v16, v6 offset:128
.LBB198_65:
	s_or_b32 exec_lo, exec_lo, s0
	v_cmp_lt_i16_e32 vcc_lo, -1, v3
	; wave barrier
	v_cndmask_b32_e64 v6, -1, 0xffff8000, vcc_lo
	s_delay_alu instid0(VALU_DEP_1) | instskip(NEXT) | instid1(VALU_DEP_1)
	v_xor_b32_e32 v13, v6, v3
	v_cmp_ne_u16_e32 vcc_lo, 0x7fff, v13
	v_cndmask_b32_e32 v3, 0xffff8000, v13, vcc_lo
	s_delay_alu instid0(VALU_DEP_1) | instskip(NEXT) | instid1(VALU_DEP_1)
	v_and_b32_e32 v3, 0xffff, v3
	v_lshrrev_b32_e32 v3, s28, v3
	s_delay_alu instid0(VALU_DEP_1) | instskip(NEXT) | instid1(VALU_DEP_1)
	v_and_b32_e32 v3, s10, v3
	v_and_b32_e32 v6, 1, v3
	v_lshlrev_b32_e32 v7, 30, v3
	v_lshlrev_b32_e32 v8, 29, v3
	;; [unrolled: 1-line block ×4, first 2 shown]
	v_add_co_u32 v6, s0, v6, -1
	s_delay_alu instid0(VALU_DEP_1)
	v_cndmask_b32_e64 v17, 0, 1, s0
	v_not_b32_e32 v21, v7
	v_cmp_gt_i32_e64 s0, 0, v7
	v_not_b32_e32 v7, v8
	v_lshlrev_b32_e32 v19, 26, v3
	v_cmp_ne_u32_e32 vcc_lo, 0, v17
	v_ashrrev_i32_e32 v21, 31, v21
	v_lshlrev_b32_e32 v20, 25, v3
	v_ashrrev_i32_e32 v7, 31, v7
	v_lshlrev_b32_e32 v17, 24, v3
	v_xor_b32_e32 v6, vcc_lo, v6
	v_cmp_gt_i32_e32 vcc_lo, 0, v8
	v_not_b32_e32 v8, v9
	v_xor_b32_e32 v21, s0, v21
	v_cmp_gt_i32_e64 s0, 0, v9
	v_and_b32_e32 v6, exec_lo, v6
	v_not_b32_e32 v9, v18
	v_ashrrev_i32_e32 v8, 31, v8
	v_xor_b32_e32 v7, vcc_lo, v7
	v_cmp_gt_i32_e32 vcc_lo, 0, v18
	v_and_b32_e32 v6, v6, v21
	v_not_b32_e32 v18, v19
	v_ashrrev_i32_e32 v9, 31, v9
	v_xor_b32_e32 v8, s0, v8
	v_cmp_gt_i32_e64 s0, 0, v19
	v_and_b32_e32 v6, v6, v7
	v_not_b32_e32 v7, v20
	v_ashrrev_i32_e32 v18, 31, v18
	v_xor_b32_e32 v9, vcc_lo, v9
	v_cmp_gt_i32_e32 vcc_lo, 0, v20
	v_and_b32_e32 v6, v6, v8
	v_not_b32_e32 v8, v17
	v_ashrrev_i32_e32 v7, 31, v7
	v_xor_b32_e32 v18, s0, v18
	v_mul_u32_u24_e32 v3, 33, v3
	v_and_b32_e32 v6, v6, v9
	v_cmp_gt_i32_e64 s0, 0, v17
	v_ashrrev_i32_e32 v8, 31, v8
	v_xor_b32_e32 v7, vcc_lo, v7
	v_add_lshl_u32 v20, v0, v3, 2
	v_and_b32_e32 v6, v6, v18
	s_delay_alu instid0(VALU_DEP_4) | instskip(SKIP_2) | instid1(VALU_DEP_1)
	v_xor_b32_e32 v3, s0, v8
	ds_load_b32 v17, v20 offset:128
	v_and_b32_e32 v6, v6, v7
	; wave barrier
	v_and_b32_e32 v3, v6, v3
	s_delay_alu instid0(VALU_DEP_1) | instskip(SKIP_1) | instid1(VALU_DEP_2)
	v_mbcnt_lo_u32_b32 v18, v3, 0
	v_cmp_ne_u32_e64 s0, 0, v3
	v_cmp_eq_u32_e32 vcc_lo, 0, v18
	s_delay_alu instid0(VALU_DEP_2) | instskip(NEXT) | instid1(SALU_CYCLE_1)
	s_and_b32 s1, s0, vcc_lo
	s_and_saveexec_b32 s0, s1
	s_cbranch_execz .LBB198_67
; %bb.66:
	s_waitcnt lgkmcnt(0)
	v_bcnt_u32_b32 v3, v3, v17
	ds_store_b32 v20, v3 offset:128
.LBB198_67:
	s_or_b32 exec_lo, exec_lo, s0
	v_cmp_lt_i16_e32 vcc_lo, -1, v2
	; wave barrier
	v_cndmask_b32_e64 v3, -1, 0xffff8000, vcc_lo
	s_delay_alu instid0(VALU_DEP_1) | instskip(NEXT) | instid1(VALU_DEP_1)
	v_xor_b32_e32 v19, v3, v2
	v_cmp_ne_u16_e32 vcc_lo, 0x7fff, v19
	v_cndmask_b32_e32 v2, 0xffff8000, v19, vcc_lo
	s_delay_alu instid0(VALU_DEP_1) | instskip(NEXT) | instid1(VALU_DEP_1)
	v_and_b32_e32 v2, 0xffff, v2
	v_lshrrev_b32_e32 v2, s28, v2
	s_delay_alu instid0(VALU_DEP_1) | instskip(NEXT) | instid1(VALU_DEP_1)
	v_and_b32_e32 v2, s10, v2
	v_and_b32_e32 v3, 1, v2
	v_lshlrev_b32_e32 v6, 30, v2
	v_lshlrev_b32_e32 v7, 29, v2
	;; [unrolled: 1-line block ×4, first 2 shown]
	v_add_co_u32 v3, s0, v3, -1
	s_delay_alu instid0(VALU_DEP_1)
	v_cndmask_b32_e64 v9, 0, 1, s0
	v_not_b32_e32 v24, v6
	v_cmp_gt_i32_e64 s0, 0, v6
	v_not_b32_e32 v6, v7
	v_lshlrev_b32_e32 v22, 26, v2
	v_cmp_ne_u32_e32 vcc_lo, 0, v9
	v_ashrrev_i32_e32 v24, 31, v24
	v_lshlrev_b32_e32 v23, 25, v2
	v_ashrrev_i32_e32 v6, 31, v6
	v_lshlrev_b32_e32 v9, 24, v2
	v_xor_b32_e32 v3, vcc_lo, v3
	v_cmp_gt_i32_e32 vcc_lo, 0, v7
	v_not_b32_e32 v7, v8
	v_xor_b32_e32 v24, s0, v24
	v_cmp_gt_i32_e64 s0, 0, v8
	v_and_b32_e32 v3, exec_lo, v3
	v_not_b32_e32 v8, v21
	v_ashrrev_i32_e32 v7, 31, v7
	v_xor_b32_e32 v6, vcc_lo, v6
	v_cmp_gt_i32_e32 vcc_lo, 0, v21
	v_and_b32_e32 v3, v3, v24
	v_not_b32_e32 v21, v22
	v_ashrrev_i32_e32 v8, 31, v8
	v_xor_b32_e32 v7, s0, v7
	v_cmp_gt_i32_e64 s0, 0, v22
	v_and_b32_e32 v3, v3, v6
	v_not_b32_e32 v6, v23
	v_ashrrev_i32_e32 v21, 31, v21
	v_xor_b32_e32 v8, vcc_lo, v8
	v_cmp_gt_i32_e32 vcc_lo, 0, v23
	v_and_b32_e32 v3, v3, v7
	v_not_b32_e32 v7, v9
	v_ashrrev_i32_e32 v6, 31, v6
	v_xor_b32_e32 v21, s0, v21
	v_mul_u32_u24_e32 v2, 33, v2
	v_and_b32_e32 v3, v3, v8
	v_cmp_gt_i32_e64 s0, 0, v9
	v_ashrrev_i32_e32 v7, 31, v7
	v_xor_b32_e32 v6, vcc_lo, v6
	v_add_lshl_u32 v24, v2, v0, 2
	v_and_b32_e32 v3, v3, v21
	s_delay_alu instid0(VALU_DEP_4) | instskip(SKIP_2) | instid1(VALU_DEP_1)
	v_xor_b32_e32 v2, s0, v7
	ds_load_b32 v21, v24 offset:128
	v_and_b32_e32 v3, v3, v6
	; wave barrier
	v_and_b32_e32 v2, v3, v2
	s_delay_alu instid0(VALU_DEP_1) | instskip(SKIP_1) | instid1(VALU_DEP_2)
	v_mbcnt_lo_u32_b32 v22, v2, 0
	v_cmp_ne_u32_e64 s0, 0, v2
	v_cmp_eq_u32_e32 vcc_lo, 0, v22
	s_delay_alu instid0(VALU_DEP_2) | instskip(NEXT) | instid1(SALU_CYCLE_1)
	s_and_b32 s1, s0, vcc_lo
	s_and_saveexec_b32 s0, s1
	s_cbranch_execz .LBB198_69
; %bb.68:
	s_waitcnt lgkmcnt(0)
	v_bcnt_u32_b32 v2, v2, v21
	ds_store_b32 v24, v2 offset:128
.LBB198_69:
	s_or_b32 exec_lo, exec_lo, s0
	v_cmp_lt_i16_e32 vcc_lo, -1, v1
	; wave barrier
	v_add_nc_u32_e32 v28, 0x80, v15
	v_cndmask_b32_e64 v2, -1, 0xffff8000, vcc_lo
	s_delay_alu instid0(VALU_DEP_1) | instskip(NEXT) | instid1(VALU_DEP_1)
	v_xor_b32_e32 v23, v2, v1
	v_cmp_ne_u16_e32 vcc_lo, 0x7fff, v23
	v_cndmask_b32_e32 v1, 0xffff8000, v23, vcc_lo
	s_delay_alu instid0(VALU_DEP_1) | instskip(NEXT) | instid1(VALU_DEP_1)
	v_and_b32_e32 v1, 0xffff, v1
	v_lshrrev_b32_e32 v1, s28, v1
	s_delay_alu instid0(VALU_DEP_1) | instskip(NEXT) | instid1(VALU_DEP_1)
	v_and_b32_e32 v1, s10, v1
	v_and_b32_e32 v2, 1, v1
	v_lshlrev_b32_e32 v3, 30, v1
	v_lshlrev_b32_e32 v6, 29, v1
	;; [unrolled: 1-line block ×4, first 2 shown]
	v_add_co_u32 v2, s0, v2, -1
	s_delay_alu instid0(VALU_DEP_1)
	v_cndmask_b32_e64 v8, 0, 1, s0
	v_not_b32_e32 v27, v3
	v_cmp_gt_i32_e64 s0, 0, v3
	v_not_b32_e32 v3, v6
	v_lshlrev_b32_e32 v25, 26, v1
	v_cmp_ne_u32_e32 vcc_lo, 0, v8
	v_ashrrev_i32_e32 v27, 31, v27
	v_lshlrev_b32_e32 v26, 25, v1
	v_ashrrev_i32_e32 v3, 31, v3
	v_lshlrev_b32_e32 v8, 24, v1
	v_xor_b32_e32 v2, vcc_lo, v2
	v_cmp_gt_i32_e32 vcc_lo, 0, v6
	v_not_b32_e32 v6, v7
	v_xor_b32_e32 v27, s0, v27
	v_cmp_gt_i32_e64 s0, 0, v7
	v_and_b32_e32 v2, exec_lo, v2
	v_not_b32_e32 v7, v9
	v_ashrrev_i32_e32 v6, 31, v6
	v_xor_b32_e32 v3, vcc_lo, v3
	v_cmp_gt_i32_e32 vcc_lo, 0, v9
	v_and_b32_e32 v2, v2, v27
	v_not_b32_e32 v9, v25
	v_ashrrev_i32_e32 v7, 31, v7
	v_xor_b32_e32 v6, s0, v6
	v_cmp_gt_i32_e64 s0, 0, v25
	v_and_b32_e32 v2, v2, v3
	v_not_b32_e32 v3, v26
	v_ashrrev_i32_e32 v9, 31, v9
	v_xor_b32_e32 v7, vcc_lo, v7
	v_cmp_gt_i32_e32 vcc_lo, 0, v26
	v_and_b32_e32 v2, v2, v6
	v_not_b32_e32 v6, v8
	v_ashrrev_i32_e32 v3, 31, v3
	v_xor_b32_e32 v9, s0, v9
	v_mul_u32_u24_e32 v1, 33, v1
	v_and_b32_e32 v2, v2, v7
	v_cmp_gt_i32_e64 s0, 0, v8
	v_ashrrev_i32_e32 v6, 31, v6
	v_xor_b32_e32 v3, vcc_lo, v3
	v_add_lshl_u32 v27, v1, v0, 2
	v_and_b32_e32 v2, v2, v9
	s_delay_alu instid0(VALU_DEP_4) | instskip(SKIP_2) | instid1(VALU_DEP_1)
	v_xor_b32_e32 v0, s0, v6
	ds_load_b32 v25, v27 offset:128
	v_and_b32_e32 v1, v2, v3
	; wave barrier
	v_and_b32_e32 v0, v1, v0
	s_delay_alu instid0(VALU_DEP_1) | instskip(SKIP_1) | instid1(VALU_DEP_2)
	v_mbcnt_lo_u32_b32 v26, v0, 0
	v_cmp_ne_u32_e64 s0, 0, v0
	v_cmp_eq_u32_e32 vcc_lo, 0, v26
	s_delay_alu instid0(VALU_DEP_2) | instskip(NEXT) | instid1(SALU_CYCLE_1)
	s_and_b32 s1, s0, vcc_lo
	s_and_saveexec_b32 s0, s1
	s_cbranch_execz .LBB198_71
; %bb.70:
	s_waitcnt lgkmcnt(0)
	v_bcnt_u32_b32 v0, v0, v25
	ds_store_b32 v27, v0 offset:128
.LBB198_71:
	s_or_b32 exec_lo, exec_lo, s0
	; wave barrier
	s_waitcnt lgkmcnt(0)
	s_barrier
	buffer_gl0_inv
	ds_load_2addr_b32 v[8:9], v15 offset0:32 offset1:33
	ds_load_2addr_b32 v[6:7], v28 offset0:2 offset1:3
	;; [unrolled: 1-line block ×4, first 2 shown]
	ds_load_b32 v29, v28 offset:32
	v_and_b32_e32 v32, 16, v14
	v_and_b32_e32 v33, 31, v5
	s_mov_b32 s5, exec_lo
	s_delay_alu instid0(VALU_DEP_2) | instskip(SKIP_3) | instid1(VALU_DEP_1)
	v_cmp_eq_u32_e64 s3, 0, v32
	s_waitcnt lgkmcnt(3)
	v_add3_u32 v30, v9, v8, v6
	s_waitcnt lgkmcnt(2)
	v_add3_u32 v30, v30, v7, v2
	s_waitcnt lgkmcnt(1)
	s_delay_alu instid0(VALU_DEP_1) | instskip(SKIP_1) | instid1(VALU_DEP_1)
	v_add3_u32 v30, v30, v3, v0
	s_waitcnt lgkmcnt(0)
	v_add3_u32 v29, v30, v1, v29
	v_and_b32_e32 v30, 15, v14
	s_delay_alu instid0(VALU_DEP_2) | instskip(NEXT) | instid1(VALU_DEP_2)
	v_mov_b32_dpp v31, v29 row_shr:1 row_mask:0xf bank_mask:0xf
	v_cmp_eq_u32_e32 vcc_lo, 0, v30
	v_cmp_lt_u32_e64 s0, 1, v30
	v_cmp_lt_u32_e64 s1, 3, v30
	;; [unrolled: 1-line block ×3, first 2 shown]
	v_cndmask_b32_e64 v31, v31, 0, vcc_lo
	s_delay_alu instid0(VALU_DEP_1) | instskip(NEXT) | instid1(VALU_DEP_1)
	v_add_nc_u32_e32 v29, v31, v29
	v_mov_b32_dpp v31, v29 row_shr:2 row_mask:0xf bank_mask:0xf
	s_delay_alu instid0(VALU_DEP_1) | instskip(NEXT) | instid1(VALU_DEP_1)
	v_cndmask_b32_e64 v31, 0, v31, s0
	v_add_nc_u32_e32 v29, v29, v31
	s_delay_alu instid0(VALU_DEP_1) | instskip(NEXT) | instid1(VALU_DEP_1)
	v_mov_b32_dpp v31, v29 row_shr:4 row_mask:0xf bank_mask:0xf
	v_cndmask_b32_e64 v31, 0, v31, s1
	s_delay_alu instid0(VALU_DEP_1) | instskip(NEXT) | instid1(VALU_DEP_1)
	v_add_nc_u32_e32 v29, v29, v31
	v_mov_b32_dpp v31, v29 row_shr:8 row_mask:0xf bank_mask:0xf
	s_delay_alu instid0(VALU_DEP_1) | instskip(SKIP_1) | instid1(VALU_DEP_2)
	v_cndmask_b32_e64 v30, 0, v31, s2
	v_bfe_i32 v31, v14, 4, 1
	v_add_nc_u32_e32 v29, v29, v30
	ds_swizzle_b32 v30, v29 offset:swizzle(BROADCAST,32,15)
	s_waitcnt lgkmcnt(0)
	v_and_b32_e32 v31, v31, v30
	v_lshrrev_b32_e32 v30, 5, v5
	s_delay_alu instid0(VALU_DEP_2)
	v_add_nc_u32_e32 v29, v29, v31
	v_cmpx_eq_u32_e32 31, v33
	s_cbranch_execz .LBB198_73
; %bb.72:
	s_delay_alu instid0(VALU_DEP_3)
	v_lshlrev_b32_e32 v31, 2, v30
	ds_store_b32 v31, v29
.LBB198_73:
	s_or_b32 exec_lo, exec_lo, s5
	v_cmp_lt_u32_e64 s4, 31, v5
	s_mov_b32 s11, exec_lo
	s_waitcnt lgkmcnt(0)
	s_barrier
	buffer_gl0_inv
	v_cmpx_gt_u32_e32 32, v5
	s_cbranch_execz .LBB198_75
; %bb.74:
	ds_load_b32 v31, v11
	s_waitcnt lgkmcnt(0)
	v_mov_b32_dpp v32, v31 row_shr:1 row_mask:0xf bank_mask:0xf
	s_delay_alu instid0(VALU_DEP_1) | instskip(NEXT) | instid1(VALU_DEP_1)
	v_cndmask_b32_e64 v32, v32, 0, vcc_lo
	v_add_nc_u32_e32 v31, v32, v31
	s_delay_alu instid0(VALU_DEP_1) | instskip(NEXT) | instid1(VALU_DEP_1)
	v_mov_b32_dpp v32, v31 row_shr:2 row_mask:0xf bank_mask:0xf
	v_cndmask_b32_e64 v32, 0, v32, s0
	s_delay_alu instid0(VALU_DEP_1) | instskip(NEXT) | instid1(VALU_DEP_1)
	v_add_nc_u32_e32 v31, v31, v32
	v_mov_b32_dpp v32, v31 row_shr:4 row_mask:0xf bank_mask:0xf
	s_delay_alu instid0(VALU_DEP_1) | instskip(NEXT) | instid1(VALU_DEP_1)
	v_cndmask_b32_e64 v32, 0, v32, s1
	v_add_nc_u32_e32 v31, v31, v32
	s_delay_alu instid0(VALU_DEP_1) | instskip(NEXT) | instid1(VALU_DEP_1)
	v_mov_b32_dpp v32, v31 row_shr:8 row_mask:0xf bank_mask:0xf
	v_cndmask_b32_e64 v32, 0, v32, s2
	s_delay_alu instid0(VALU_DEP_1) | instskip(SKIP_3) | instid1(VALU_DEP_1)
	v_add_nc_u32_e32 v31, v31, v32
	ds_swizzle_b32 v32, v31 offset:swizzle(BROADCAST,32,15)
	s_waitcnt lgkmcnt(0)
	v_cndmask_b32_e64 v32, v32, 0, s3
	v_add_nc_u32_e32 v31, v31, v32
	ds_store_b32 v11, v31
.LBB198_75:
	s_or_b32 exec_lo, exec_lo, s11
	v_mov_b32_e32 v11, 0
	s_waitcnt lgkmcnt(0)
	s_barrier
	buffer_gl0_inv
	s_and_saveexec_b32 s0, s4
	s_cbranch_execz .LBB198_77
; %bb.76:
	v_lshl_add_u32 v11, v30, 2, -4
	ds_load_b32 v11, v11
.LBB198_77:
	s_or_b32 exec_lo, exec_lo, s0
	v_add_nc_u32_e32 v30, -1, v14
	v_cmp_lt_u32_e64 s0, 0xff, v5
	s_waitcnt lgkmcnt(0)
	v_add_nc_u32_e32 v29, v11, v29
	s_delay_alu instid0(VALU_DEP_3) | instskip(SKIP_2) | instid1(VALU_DEP_2)
	v_cmp_gt_i32_e32 vcc_lo, 0, v30
	v_cndmask_b32_e32 v30, v30, v14, vcc_lo
	v_cmp_eq_u32_e32 vcc_lo, 0, v14
	v_lshlrev_b32_e32 v30, 2, v30
	ds_bpermute_b32 v29, v30, v29
	s_waitcnt lgkmcnt(0)
	v_cndmask_b32_e32 v11, v29, v11, vcc_lo
	v_cmp_ne_u32_e32 vcc_lo, 0, v5
	s_delay_alu instid0(VALU_DEP_2) | instskip(SKIP_1) | instid1(VALU_DEP_2)
	v_cndmask_b32_e32 v11, 0, v11, vcc_lo
	v_cmp_gt_u32_e32 vcc_lo, 0x100, v5
	v_add_nc_u32_e32 v8, v11, v8
	s_delay_alu instid0(VALU_DEP_1) | instskip(NEXT) | instid1(VALU_DEP_1)
	v_add_nc_u32_e32 v9, v8, v9
	v_add_nc_u32_e32 v6, v9, v6
	s_delay_alu instid0(VALU_DEP_1) | instskip(NEXT) | instid1(VALU_DEP_1)
	v_add_nc_u32_e32 v7, v6, v7
	;; [unrolled: 3-line block ×3, first 2 shown]
	v_add_nc_u32_e32 v0, v3, v0
	s_delay_alu instid0(VALU_DEP_1)
	v_add_nc_u32_e32 v1, v0, v1
	ds_store_2addr_b32 v15, v11, v8 offset0:32 offset1:33
	ds_store_2addr_b32 v28, v9, v6 offset0:2 offset1:3
	;; [unrolled: 1-line block ×4, first 2 shown]
	ds_store_b32 v28, v1 offset:32
	v_mov_b32_e32 v0, 0
	s_waitcnt lgkmcnt(0)
	s_barrier
	buffer_gl0_inv
	ds_load_b32 v2, v16 offset:128
	ds_load_b32 v3, v20 offset:128
	;; [unrolled: 1-line block ×4, first 2 shown]
	v_mov_b32_e32 v1, 0
                                        ; implicit-def: $vgpr11
	s_and_saveexec_b32 s2, vcc_lo
	s_cbranch_execz .LBB198_81
; %bb.78:
	v_mul_u32_u24_e32 v0, 33, v5
	s_mov_b32 s3, exec_lo
	s_delay_alu instid0(VALU_DEP_1)
	v_dual_mov_b32 v1, 0x1000 :: v_dual_lshlrev_b32 v8, 2, v0
	ds_load_b32 v0, v8 offset:128
	v_cmpx_ne_u32_e32 0xff, v5
	s_cbranch_execz .LBB198_80
; %bb.79:
	ds_load_b32 v1, v8 offset:260
.LBB198_80:
	s_or_b32 exec_lo, exec_lo, s3
	s_waitcnt lgkmcnt(0)
	v_sub_nc_u32_e32 v11, v1, v0
	v_mov_b32_e32 v1, 0
.LBB198_81:
	s_or_b32 exec_lo, exec_lo, s2
	s_waitcnt lgkmcnt(3)
	v_add_nc_u32_e32 v20, v2, v12
	s_waitcnt lgkmcnt(1)
	v_add3_u32 v15, v22, v21, v6
	v_add3_u32 v16, v18, v17, v3
	s_waitcnt lgkmcnt(0)
	v_add3_u32 v12, v26, v25, v7
	v_lshlrev_b32_e32 v2, 1, v20
	v_lshlrev_b32_e32 v6, 1, v15
	;; [unrolled: 1-line block ×3, first 2 shown]
	s_delay_alu instid0(VALU_DEP_4)
	v_lshlrev_b32_e32 v7, 1, v12
	s_barrier
	buffer_gl0_inv
	ds_store_b16 v2, v10 offset:2048
	ds_store_b16 v3, v13 offset:2048
	;; [unrolled: 1-line block ×4, first 2 shown]
	s_waitcnt lgkmcnt(0)
	s_barrier
	buffer_gl0_inv
	s_and_saveexec_b32 s1, s0
	s_delay_alu instid0(SALU_CYCLE_1)
	s_xor_b32 s0, exec_lo, s1
; %bb.82:
	v_mov_b32_e32 v6, 0
; %bb.83:
	s_and_not1_saveexec_b32 s1, s0
	s_cbranch_execz .LBB198_93
; %bb.84:
	v_lshl_or_b32 v6, s15, 8, v5
	v_dual_mov_b32 v7, 0 :: v_dual_mov_b32 v10, 0
	s_mov_b32 s2, 0
	s_mov_b32 s3, s15
	s_delay_alu instid0(VALU_DEP_1) | instskip(SKIP_1) | instid1(VALU_DEP_2)
	v_lshlrev_b64 v[2:3], 2, v[6:7]
	v_or_b32_e32 v6, 2.0, v11
	v_add_co_u32 v2, s0, s12, v2
	s_delay_alu instid0(VALU_DEP_1)
	v_add_co_ci_u32_e64 v3, s0, s13, v3, s0
                                        ; implicit-def: $sgpr0
	global_store_b32 v[2:3], v6, off
	s_branch .LBB198_87
	.p2align	6
.LBB198_85:                             ;   in Loop: Header=BB198_87 Depth=1
	s_or_b32 exec_lo, exec_lo, s5
.LBB198_86:                             ;   in Loop: Header=BB198_87 Depth=1
	s_delay_alu instid0(SALU_CYCLE_1) | instskip(SKIP_2) | instid1(VALU_DEP_2)
	s_or_b32 exec_lo, exec_lo, s4
	v_and_b32_e32 v8, 0x3fffffff, v13
	v_cmp_eq_u32_e64 s0, 0x80000000, v6
	v_add_nc_u32_e32 v10, v8, v10
	s_delay_alu instid0(VALU_DEP_2) | instskip(NEXT) | instid1(SALU_CYCLE_1)
	s_and_b32 s4, exec_lo, s0
	s_or_b32 s2, s4, s2
	s_delay_alu instid0(SALU_CYCLE_1)
	s_and_not1_b32 exec_lo, exec_lo, s2
	s_cbranch_execz .LBB198_92
.LBB198_87:                             ; =>This Loop Header: Depth=1
                                        ;     Child Loop BB198_90 Depth 2
	s_or_b32 s0, s0, exec_lo
	s_cmp_eq_u32 s3, 0
	s_cbranch_scc1 .LBB198_91
; %bb.88:                               ;   in Loop: Header=BB198_87 Depth=1
	s_add_i32 s3, s3, -1
	s_mov_b32 s4, exec_lo
	v_lshl_or_b32 v6, s3, 8, v5
	s_delay_alu instid0(VALU_DEP_1) | instskip(NEXT) | instid1(VALU_DEP_1)
	v_lshlrev_b64 v[8:9], 2, v[6:7]
	v_add_co_u32 v8, s0, s12, v8
	s_delay_alu instid0(VALU_DEP_1) | instskip(SKIP_3) | instid1(VALU_DEP_1)
	v_add_co_ci_u32_e64 v9, s0, s13, v9, s0
	global_load_b32 v13, v[8:9], off glc
	s_waitcnt vmcnt(0)
	v_and_b32_e32 v6, -2.0, v13
	v_cmpx_eq_u32_e32 0, v6
	s_cbranch_execz .LBB198_86
; %bb.89:                               ;   in Loop: Header=BB198_87 Depth=1
	s_mov_b32 s5, 0
.LBB198_90:                             ;   Parent Loop BB198_87 Depth=1
                                        ; =>  This Inner Loop Header: Depth=2
	global_load_b32 v13, v[8:9], off glc
	s_waitcnt vmcnt(0)
	v_and_b32_e32 v6, -2.0, v13
	s_delay_alu instid0(VALU_DEP_1) | instskip(NEXT) | instid1(VALU_DEP_1)
	v_cmp_ne_u32_e64 s0, 0, v6
	s_or_b32 s5, s0, s5
	s_delay_alu instid0(SALU_CYCLE_1)
	s_and_not1_b32 exec_lo, exec_lo, s5
	s_cbranch_execnz .LBB198_90
	s_branch .LBB198_85
.LBB198_91:                             ;   in Loop: Header=BB198_87 Depth=1
                                        ; implicit-def: $sgpr3
	s_and_b32 s4, exec_lo, s0
	s_delay_alu instid0(SALU_CYCLE_1) | instskip(NEXT) | instid1(SALU_CYCLE_1)
	s_or_b32 s2, s4, s2
	s_and_not1_b32 exec_lo, exec_lo, s2
	s_cbranch_execnz .LBB198_87
.LBB198_92:
	s_or_b32 exec_lo, exec_lo, s2
	v_add_nc_u32_e32 v6, v10, v11
	v_lshlrev_b32_e32 v7, 3, v5
	s_delay_alu instid0(VALU_DEP_2) | instskip(SKIP_3) | instid1(VALU_DEP_1)
	v_or_b32_e32 v6, 0x80000000, v6
	global_store_b32 v[2:3], v6, off
	global_load_b64 v[2:3], v7, s[24:25]
	v_sub_co_u32 v6, s0, v10, v0
	v_sub_co_ci_u32_e64 v8, s0, 0, v1, s0
	s_waitcnt vmcnt(0)
	s_delay_alu instid0(VALU_DEP_2) | instskip(SKIP_1) | instid1(VALU_DEP_3)
	v_add_co_u32 v2, s0, v6, v2
	v_mov_b32_e32 v6, 0
	v_add_co_ci_u32_e64 v3, s0, v8, v3, s0
	ds_store_b64 v7, v[2:3]
.LBB198_93:
	s_or_b32 exec_lo, exec_lo, s1
	v_lshlrev_b32_e32 v19, 1, v5
	s_waitcnt lgkmcnt(0)
	s_waitcnt_vscnt null, 0x0
	s_barrier
	buffer_gl0_inv
	v_lshlrev_b32_e32 v21, 1, v5
	ds_load_u16 v13, v19 offset:8192
	ds_load_u16 v22, v21 offset:2048
	;; [unrolled: 1-line block ×3, first 2 shown]
	v_lshlrev_b32_e32 v14, 3, v14
	s_lshl_b64 s[2:3], s[6:7], 3
	v_lshlrev_b64 v[17:18], 1, v[5:6]
	s_add_u32 s1, s20, s2
	s_addc_u32 s2, s21, s3
	v_or_b32_e32 v29, 0xc00, v5
	v_or_b32_e32 v28, 0x800, v5
	v_lshlrev_b32_e32 v4, 3, v4
	v_lshlrev_b32_e32 v16, 3, v16
	;; [unrolled: 1-line block ×6, first 2 shown]
	s_add_i32 s9, s9, -1
	s_delay_alu instid0(SALU_CYCLE_1) | instskip(SKIP_2) | instid1(VALU_DEP_1)
	s_cmp_eq_u32 s15, s9
	s_waitcnt lgkmcnt(2)
	v_cmp_ne_u16_e64 s0, 0x7fff, v13
	v_cndmask_b32_e64 v2, 0xffff8000, v13, s0
	s_waitcnt lgkmcnt(1)
	v_cmp_ne_u16_e64 s0, 0x7fff, v22
	s_delay_alu instid0(VALU_DEP_2) | instskip(NEXT) | instid1(VALU_DEP_2)
	v_and_b32_e32 v2, 0xffff, v2
	v_cndmask_b32_e64 v3, 0xffff8000, v22, s0
	s_waitcnt lgkmcnt(0)
	v_cmp_ne_u16_e64 s0, 0x7fff, v23
	s_delay_alu instid0(VALU_DEP_3) | instskip(NEXT) | instid1(VALU_DEP_3)
	v_lshrrev_b32_e32 v2, s28, v2
	v_and_b32_e32 v3, 0xffff, v3
	s_delay_alu instid0(VALU_DEP_3) | instskip(NEXT) | instid1(VALU_DEP_3)
	v_cndmask_b32_e64 v7, 0xffff8000, v23, s0
	v_and_b32_e32 v2, s10, v2
	s_delay_alu instid0(VALU_DEP_3) | instskip(NEXT) | instid1(VALU_DEP_3)
	v_lshrrev_b32_e32 v8, s28, v3
	v_and_b32_e32 v7, 0xffff, v7
	s_delay_alu instid0(VALU_DEP_3) | instskip(NEXT) | instid1(VALU_DEP_3)
	v_lshlrev_b32_e32 v24, 3, v2
	v_and_b32_e32 v8, s10, v8
	s_delay_alu instid0(VALU_DEP_3) | instskip(SKIP_4) | instid1(VALU_DEP_1)
	v_lshrrev_b32_e32 v7, s28, v7
	ds_load_b64 v[2:3], v24
	ds_load_u16 v25, v19 offset:6144
	v_lshlrev_b32_e32 v27, 3, v8
	v_and_b32_e32 v7, s10, v7
	v_lshlrev_b32_e32 v26, 3, v7
	ds_load_b64 v[7:8], v26
	ds_load_b64 v[9:10], v27
	s_waitcnt lgkmcnt(3)
	v_lshlrev_b64 v[2:3], 1, v[2:3]
	s_waitcnt lgkmcnt(2)
	v_cmp_ne_u16_e64 s0, 0x7fff, v25
	s_delay_alu instid0(VALU_DEP_1) | instskip(SKIP_1) | instid1(VALU_DEP_2)
	v_cndmask_b32_e64 v30, 0xffff8000, v25, s0
	v_cmp_lt_i16_e64 s0, -1, v22
	v_and_b32_e32 v30, 0xffff, v30
	s_delay_alu instid0(VALU_DEP_2)
	v_cndmask_b32_e64 v33, 0xffff8000, -1, s0
	v_cmp_lt_i16_e64 s0, -1, v23
	s_waitcnt lgkmcnt(0)
	v_lshlrev_b64 v[9:10], 1, v[9:10]
	v_lshlrev_b64 v[7:8], 1, v[7:8]
	v_lshrrev_b32_e32 v30, s28, v30
	v_xor_b32_e32 v22, v33, v22
	v_cndmask_b32_e64 v34, 0xffff8000, -1, s0
	v_cmp_lt_i16_e64 s0, -1, v13
	s_delay_alu instid0(VALU_DEP_4) | instskip(NEXT) | instid1(VALU_DEP_3)
	v_and_b32_e32 v30, s10, v30
	v_xor_b32_e32 v23, v34, v23
	s_delay_alu instid0(VALU_DEP_3) | instskip(SKIP_1) | instid1(VALU_DEP_4)
	v_cndmask_b32_e64 v35, 0xffff8000, -1, s0
	v_add_co_u32 v36, s0, s1, v14
	v_lshlrev_b32_e32 v30, 3, v30
	v_add_co_ci_u32_e64 v37, null, s2, 0, s0
	s_delay_alu instid0(VALU_DEP_4) | instskip(SKIP_3) | instid1(SALU_CYCLE_1)
	v_xor_b32_e32 v33, v35, v13
	v_cmp_lt_i16_e64 s0, -1, v25
	ds_load_b64 v[13:14], v30
	s_cselect_b32 s1, -1, 0
	s_and_b32 s1, vcc_lo, s1
	v_cndmask_b32_e64 v34, 0xffff8000, -1, s0
	v_add_co_u32 v9, s0, s18, v9
	s_delay_alu instid0(VALU_DEP_1) | instskip(NEXT) | instid1(VALU_DEP_3)
	v_add_co_ci_u32_e64 v10, s0, s19, v10, s0
	v_xor_b32_e32 v25, v34, v25
	v_add_co_u32 v34, s0, s18, v7
	s_delay_alu instid0(VALU_DEP_1) | instskip(SKIP_1) | instid1(VALU_DEP_1)
	v_add_co_ci_u32_e64 v35, s0, s19, v8, s0
	v_add_co_u32 v38, s0, s18, v2
	v_add_co_ci_u32_e64 v39, s0, s19, v3, s0
	v_add_co_u32 v2, s0, v9, v17
	s_waitcnt lgkmcnt(0)
	v_lshlrev_b64 v[7:8], 1, v[13:14]
	v_add_co_ci_u32_e64 v3, s0, v10, v18, s0
	v_add_co_u32 v9, s0, v34, v17
	s_delay_alu instid0(VALU_DEP_1) | instskip(NEXT) | instid1(VALU_DEP_4)
	v_add_co_ci_u32_e64 v10, s0, v35, v18, s0
	v_add_co_u32 v13, s0, s18, v7
	s_delay_alu instid0(VALU_DEP_1) | instskip(SKIP_1) | instid1(VALU_DEP_1)
	v_add_co_ci_u32_e64 v14, s0, s19, v8, s0
	v_add_co_u32 v7, s0, v38, v32
	v_add_co_ci_u32_e64 v8, s0, 0, v39, s0
	s_delay_alu instid0(VALU_DEP_4) | instskip(NEXT) | instid1(VALU_DEP_1)
	v_add_co_u32 v13, s0, v13, v31
	v_add_co_ci_u32_e64 v14, s0, 0, v14, s0
	v_add_co_u32 v17, s0, v36, v4
	s_delay_alu instid0(VALU_DEP_1)
	v_add_co_ci_u32_e64 v18, s0, 0, v37, s0
	s_clause 0x3
	global_store_b16 v[2:3], v22, off
	global_store_b16 v[9:10], v23, off offset:2048
	global_store_b16 v[13:14], v25, off
	global_store_b16 v[7:8], v33, off
	s_clause 0x3
	global_load_b64 v[2:3], v[17:18], off
	global_load_b64 v[7:8], v[17:18], off offset:256
	global_load_b64 v[9:10], v[17:18], off offset:512
	;; [unrolled: 1-line block ×3, first 2 shown]
	v_lshlrev_b32_e32 v4, 3, v20
	s_waitcnt vmcnt(0)
	s_waitcnt_vscnt null, 0x0
	s_barrier
	buffer_gl0_inv
	v_mad_i32_i24 v20, v5, 6, v21
	v_lshlrev_b32_e32 v25, 3, v28
	ds_store_b64 v4, v[2:3] offset:2048
	ds_store_b64 v16, v[7:8] offset:2048
	;; [unrolled: 1-line block ×4, first 2 shown]
	s_waitcnt lgkmcnt(0)
	s_barrier
	buffer_gl0_inv
	ds_load_b64 v[2:3], v27
	ds_load_b64 v[12:13], v26
	ds_load_b64 v[14:15], v30
	ds_load_b64 v[16:17], v24
	v_or_b32_e32 v4, 0x800, v19
	v_lshlrev_b64 v[18:19], 3, v[5:6]
	v_lshl_or_b32 v24, v5, 3, 0x2000
	v_lshlrev_b32_e32 v26, 3, v29
	s_delay_alu instid0(VALU_DEP_4)
	v_mad_u32_u24 v4, v5, 6, v4
	ds_load_2addr_stride64_b64 v[7:10], v4 offset0:16 offset1:32
	ds_load_b64 v[20:21], v20 offset:2048
	ds_load_b64 v[22:23], v4 offset:24576
	s_waitcnt lgkmcnt(6)
	v_lshlrev_b64 v[2:3], 3, v[2:3]
	s_waitcnt lgkmcnt(5)
	v_lshlrev_b64 v[12:13], 3, v[12:13]
	;; [unrolled: 2-line block ×4, first 2 shown]
	v_add_co_u32 v2, s0, s22, v2
	s_delay_alu instid0(VALU_DEP_1) | instskip(SKIP_1) | instid1(VALU_DEP_1)
	v_add_co_ci_u32_e64 v3, s0, s23, v3, s0
	v_add_co_u32 v4, s0, s22, v12
	v_add_co_ci_u32_e64 v13, s0, s23, v13, s0
	v_add_co_u32 v14, s0, s22, v14
	s_delay_alu instid0(VALU_DEP_1) | instskip(SKIP_1) | instid1(VALU_DEP_1)
	v_add_co_ci_u32_e64 v15, s0, s23, v15, s0
	v_add_co_u32 v16, s0, s22, v16
	v_add_co_ci_u32_e64 v17, s0, s23, v17, s0
	;; [unrolled: 5-line block ×4, first 2 shown]
	s_waitcnt lgkmcnt(1)
	s_clause 0x2
	global_store_b64 v[2:3], v[20:21], off
	global_store_b64 v[12:13], v[7:8], off
	;; [unrolled: 1-line block ×3, first 2 shown]
	s_waitcnt lgkmcnt(0)
	global_store_b64 v[16:17], v[22:23], off
                                        ; implicit-def: $vgpr2_vgpr3
	s_and_saveexec_b32 s0, s1
; %bb.94:
	v_add_co_u32 v2, vcc_lo, v0, v11
	v_add_co_ci_u32_e32 v3, vcc_lo, 0, v1, vcc_lo
	s_or_b32 s8, s8, exec_lo
; %bb.95:
	s_or_b32 exec_lo, exec_lo, s0
.LBB198_96:
	s_and_saveexec_b32 s0, s8
	s_cbranch_execnz .LBB198_98
; %bb.97:
	s_nop 0
	s_sendmsg sendmsg(MSG_DEALLOC_VGPRS)
	s_endpgm
.LBB198_98:
	v_lshlrev_b32_e32 v0, 3, v5
	v_lshlrev_b64 v[4:5], 3, v[5:6]
	ds_load_b64 v[0:1], v0
	v_add_co_u32 v4, vcc_lo, s26, v4
	v_add_co_ci_u32_e32 v5, vcc_lo, s27, v5, vcc_lo
	s_waitcnt lgkmcnt(0)
	v_add_co_u32 v0, vcc_lo, v0, v2
	v_add_co_ci_u32_e32 v1, vcc_lo, v1, v3, vcc_lo
	global_store_b64 v[4:5], v[0:1], off
	s_nop 0
	s_sendmsg sendmsg(MSG_DEALLOC_VGPRS)
	s_endpgm
.LBB198_99:
	global_load_b64 v[6:7], v[1:2], off
	s_or_b32 exec_lo, exec_lo, s10
                                        ; implicit-def: $vgpr8_vgpr9
	s_and_saveexec_b32 s10, s2
	s_cbranch_execz .LBB198_47
.LBB198_100:
	global_load_b64 v[8:9], v[1:2], off offset:256
	s_or_b32 exec_lo, exec_lo, s10
                                        ; implicit-def: $vgpr10_vgpr11
	s_and_saveexec_b32 s2, s3
	s_cbranch_execz .LBB198_48
.LBB198_101:
	global_load_b64 v[10:11], v[1:2], off offset:512
	s_or_b32 exec_lo, exec_lo, s2
                                        ; implicit-def: $vgpr12_vgpr13
	s_and_saveexec_b32 s2, s4
	s_cbranch_execz .LBB198_49
.LBB198_102:
	global_load_b64 v[12:13], v[1:2], off offset:768
	s_or_b32 exec_lo, exec_lo, s2
                                        ; implicit-def: $vgpr1_vgpr2_vgpr3_vgpr4
	s_and_saveexec_b32 s2, s6
	s_cbranch_execz .LBB198_50
.LBB198_103:
	ds_load_u16 v1, v24 offset:2048
	s_waitcnt lgkmcnt(0)
	v_cmp_ne_u16_e32 vcc_lo, 0x7fff, v1
	v_cndmask_b32_e32 v1, 0xffff8000, v1, vcc_lo
	s_delay_alu instid0(VALU_DEP_1) | instskip(NEXT) | instid1(VALU_DEP_1)
	v_and_b32_e32 v1, 0xffff, v1
	v_lshrrev_b32_e32 v1, s28, v1
	s_delay_alu instid0(VALU_DEP_1)
	v_and_b32_e32 v1, s33, v1
	s_or_b32 exec_lo, exec_lo, s2
	s_and_saveexec_b32 s2, s7
	s_cbranch_execz .LBB198_51
.LBB198_104:
	ds_load_u16 v2, v24 offset:4096
	s_waitcnt lgkmcnt(0)
	v_cmp_ne_u16_e32 vcc_lo, 0x7fff, v2
	v_cndmask_b32_e32 v2, 0xffff8000, v2, vcc_lo
	s_delay_alu instid0(VALU_DEP_1) | instskip(NEXT) | instid1(VALU_DEP_1)
	v_and_b32_e32 v2, 0xffff, v2
	v_lshrrev_b32_e32 v2, s28, v2
	s_delay_alu instid0(VALU_DEP_1)
	v_and_b32_e32 v2, s33, v2
	s_or_b32 exec_lo, exec_lo, s2
	s_and_saveexec_b32 s2, s8
	s_cbranch_execz .LBB198_52
.LBB198_105:
	ds_load_u16 v3, v24 offset:6144
	s_waitcnt lgkmcnt(0)
	v_cmp_ne_u16_e32 vcc_lo, 0x7fff, v3
	v_cndmask_b32_e32 v3, 0xffff8000, v3, vcc_lo
	s_delay_alu instid0(VALU_DEP_1) | instskip(NEXT) | instid1(VALU_DEP_1)
	v_and_b32_e32 v3, 0xffff, v3
	v_lshrrev_b32_e32 v3, s28, v3
	s_delay_alu instid0(VALU_DEP_1)
	v_and_b32_e32 v3, s33, v3
	s_or_b32 exec_lo, exec_lo, s2
	s_and_saveexec_b32 s2, s9
	s_cbranch_execnz .LBB198_53
	s_branch .LBB198_54
.LBB198_106:
	v_lshlrev_b32_e32 v1, 3, v1
	ds_load_b64 v[7:8], v1
	ds_load_b64 v[9:10], v6 offset:2048
	s_waitcnt lgkmcnt(1)
	v_lshlrev_b64 v[7:8], 3, v[7:8]
	s_delay_alu instid0(VALU_DEP_1) | instskip(NEXT) | instid1(VALU_DEP_2)
	v_add_co_u32 v1, vcc_lo, s22, v7
	v_add_co_ci_u32_e32 v8, vcc_lo, s23, v8, vcc_lo
	s_delay_alu instid0(VALU_DEP_2) | instskip(NEXT) | instid1(VALU_DEP_2)
	v_add_co_u32 v7, vcc_lo, v1, v6
	v_add_co_ci_u32_e32 v8, vcc_lo, 0, v8, vcc_lo
	s_waitcnt lgkmcnt(0)
	global_store_b64 v[7:8], v[9:10], off
	s_or_b32 exec_lo, exec_lo, s2
	s_and_saveexec_b32 s2, s7
	s_cbranch_execz .LBB198_56
.LBB198_107:
	v_lshlrev_b32_e32 v1, 3, v2
	v_lshlrev_b32_e32 v9, 3, v17
	ds_load_b64 v[1:2], v1
	ds_load_b64 v[7:8], v6 offset:10240
	s_waitcnt lgkmcnt(1)
	v_lshlrev_b64 v[1:2], 3, v[1:2]
	s_delay_alu instid0(VALU_DEP_1) | instskip(NEXT) | instid1(VALU_DEP_2)
	v_add_co_u32 v1, vcc_lo, s22, v1
	v_add_co_ci_u32_e32 v2, vcc_lo, s23, v2, vcc_lo
	s_delay_alu instid0(VALU_DEP_2) | instskip(NEXT) | instid1(VALU_DEP_2)
	v_add_co_u32 v1, vcc_lo, v1, v9
	v_add_co_ci_u32_e32 v2, vcc_lo, 0, v2, vcc_lo
	s_waitcnt lgkmcnt(0)
	global_store_b64 v[1:2], v[7:8], off
	s_or_b32 exec_lo, exec_lo, s2
	s_and_saveexec_b32 s2, s8
	s_cbranch_execz .LBB198_57
.LBB198_108:
	v_lshlrev_b32_e32 v1, 3, v3
	v_lshlrev_b32_e32 v3, 3, v20
	ds_load_b64 v[1:2], v1
	ds_load_b64 v[7:8], v6 offset:18432
	s_waitcnt lgkmcnt(1)
	v_lshlrev_b64 v[1:2], 3, v[1:2]
	s_delay_alu instid0(VALU_DEP_1) | instskip(NEXT) | instid1(VALU_DEP_2)
	v_add_co_u32 v1, vcc_lo, s22, v1
	v_add_co_ci_u32_e32 v2, vcc_lo, s23, v2, vcc_lo
	s_delay_alu instid0(VALU_DEP_2) | instskip(NEXT) | instid1(VALU_DEP_2)
	v_add_co_u32 v1, vcc_lo, v1, v3
	v_add_co_ci_u32_e32 v2, vcc_lo, 0, v2, vcc_lo
	s_waitcnt lgkmcnt(0)
	global_store_b64 v[1:2], v[7:8], off
	s_or_b32 exec_lo, exec_lo, s2
	s_and_saveexec_b32 s2, s9
	s_cbranch_execnz .LBB198_58
	s_branch .LBB198_59
	.section	.rodata,"a",@progbits
	.p2align	6, 0x0
	.amdhsa_kernel _ZN7rocprim17ROCPRIM_304000_NS6detail25onesweep_iteration_kernelINS1_34wrapped_radix_sort_onesweep_configINS0_14default_configE6__halfN2at4cuda3cub6detail10OpaqueTypeILi8EEEEELb0EPKS5_PS5_PKSB_PSB_mNS0_19identity_decomposerEEEvT1_T2_T3_T4_jPT5_SP_PNS1_23onesweep_lookback_stateET6_jjj
		.amdhsa_group_segment_fixed_size 36992
		.amdhsa_private_segment_fixed_size 0
		.amdhsa_kernarg_size 336
		.amdhsa_user_sgpr_count 15
		.amdhsa_user_sgpr_dispatch_ptr 0
		.amdhsa_user_sgpr_queue_ptr 0
		.amdhsa_user_sgpr_kernarg_segment_ptr 1
		.amdhsa_user_sgpr_dispatch_id 0
		.amdhsa_user_sgpr_private_segment_size 0
		.amdhsa_wavefront_size32 1
		.amdhsa_uses_dynamic_stack 0
		.amdhsa_enable_private_segment 0
		.amdhsa_system_sgpr_workgroup_id_x 1
		.amdhsa_system_sgpr_workgroup_id_y 0
		.amdhsa_system_sgpr_workgroup_id_z 0
		.amdhsa_system_sgpr_workgroup_info 0
		.amdhsa_system_vgpr_workitem_id 2
		.amdhsa_next_free_vgpr 40
		.amdhsa_next_free_sgpr 36
		.amdhsa_reserve_vcc 1
		.amdhsa_float_round_mode_32 0
		.amdhsa_float_round_mode_16_64 0
		.amdhsa_float_denorm_mode_32 3
		.amdhsa_float_denorm_mode_16_64 3
		.amdhsa_dx10_clamp 1
		.amdhsa_ieee_mode 1
		.amdhsa_fp16_overflow 0
		.amdhsa_workgroup_processor_mode 1
		.amdhsa_memory_ordered 1
		.amdhsa_forward_progress 0
		.amdhsa_shared_vgpr_count 0
		.amdhsa_exception_fp_ieee_invalid_op 0
		.amdhsa_exception_fp_denorm_src 0
		.amdhsa_exception_fp_ieee_div_zero 0
		.amdhsa_exception_fp_ieee_overflow 0
		.amdhsa_exception_fp_ieee_underflow 0
		.amdhsa_exception_fp_ieee_inexact 0
		.amdhsa_exception_int_div_zero 0
	.end_amdhsa_kernel
	.section	.text._ZN7rocprim17ROCPRIM_304000_NS6detail25onesweep_iteration_kernelINS1_34wrapped_radix_sort_onesweep_configINS0_14default_configE6__halfN2at4cuda3cub6detail10OpaqueTypeILi8EEEEELb0EPKS5_PS5_PKSB_PSB_mNS0_19identity_decomposerEEEvT1_T2_T3_T4_jPT5_SP_PNS1_23onesweep_lookback_stateET6_jjj,"axG",@progbits,_ZN7rocprim17ROCPRIM_304000_NS6detail25onesweep_iteration_kernelINS1_34wrapped_radix_sort_onesweep_configINS0_14default_configE6__halfN2at4cuda3cub6detail10OpaqueTypeILi8EEEEELb0EPKS5_PS5_PKSB_PSB_mNS0_19identity_decomposerEEEvT1_T2_T3_T4_jPT5_SP_PNS1_23onesweep_lookback_stateET6_jjj,comdat
.Lfunc_end198:
	.size	_ZN7rocprim17ROCPRIM_304000_NS6detail25onesweep_iteration_kernelINS1_34wrapped_radix_sort_onesweep_configINS0_14default_configE6__halfN2at4cuda3cub6detail10OpaqueTypeILi8EEEEELb0EPKS5_PS5_PKSB_PSB_mNS0_19identity_decomposerEEEvT1_T2_T3_T4_jPT5_SP_PNS1_23onesweep_lookback_stateET6_jjj, .Lfunc_end198-_ZN7rocprim17ROCPRIM_304000_NS6detail25onesweep_iteration_kernelINS1_34wrapped_radix_sort_onesweep_configINS0_14default_configE6__halfN2at4cuda3cub6detail10OpaqueTypeILi8EEEEELb0EPKS5_PS5_PKSB_PSB_mNS0_19identity_decomposerEEEvT1_T2_T3_T4_jPT5_SP_PNS1_23onesweep_lookback_stateET6_jjj
                                        ; -- End function
	.section	.AMDGPU.csdata,"",@progbits
; Kernel info:
; codeLenInByte = 9952
; NumSgprs: 38
; NumVgprs: 40
; ScratchSize: 0
; MemoryBound: 0
; FloatMode: 240
; IeeeMode: 1
; LDSByteSize: 36992 bytes/workgroup (compile time only)
; SGPRBlocks: 4
; VGPRBlocks: 4
; NumSGPRsForWavesPerEU: 38
; NumVGPRsForWavesPerEU: 40
; Occupancy: 16
; WaveLimiterHint : 1
; COMPUTE_PGM_RSRC2:SCRATCH_EN: 0
; COMPUTE_PGM_RSRC2:USER_SGPR: 15
; COMPUTE_PGM_RSRC2:TRAP_HANDLER: 0
; COMPUTE_PGM_RSRC2:TGID_X_EN: 1
; COMPUTE_PGM_RSRC2:TGID_Y_EN: 0
; COMPUTE_PGM_RSRC2:TGID_Z_EN: 0
; COMPUTE_PGM_RSRC2:TIDIG_COMP_CNT: 2
	.section	.text._ZN7rocprim17ROCPRIM_304000_NS6detail25onesweep_iteration_kernelINS1_34wrapped_radix_sort_onesweep_configINS0_14default_configE6__halfN2at4cuda3cub6detail10OpaqueTypeILi8EEEEELb0EPS5_SD_PSB_SE_mNS0_19identity_decomposerEEEvT1_T2_T3_T4_jPT5_SL_PNS1_23onesweep_lookback_stateET6_jjj,"axG",@progbits,_ZN7rocprim17ROCPRIM_304000_NS6detail25onesweep_iteration_kernelINS1_34wrapped_radix_sort_onesweep_configINS0_14default_configE6__halfN2at4cuda3cub6detail10OpaqueTypeILi8EEEEELb0EPS5_SD_PSB_SE_mNS0_19identity_decomposerEEEvT1_T2_T3_T4_jPT5_SL_PNS1_23onesweep_lookback_stateET6_jjj,comdat
	.protected	_ZN7rocprim17ROCPRIM_304000_NS6detail25onesweep_iteration_kernelINS1_34wrapped_radix_sort_onesweep_configINS0_14default_configE6__halfN2at4cuda3cub6detail10OpaqueTypeILi8EEEEELb0EPS5_SD_PSB_SE_mNS0_19identity_decomposerEEEvT1_T2_T3_T4_jPT5_SL_PNS1_23onesweep_lookback_stateET6_jjj ; -- Begin function _ZN7rocprim17ROCPRIM_304000_NS6detail25onesweep_iteration_kernelINS1_34wrapped_radix_sort_onesweep_configINS0_14default_configE6__halfN2at4cuda3cub6detail10OpaqueTypeILi8EEEEELb0EPS5_SD_PSB_SE_mNS0_19identity_decomposerEEEvT1_T2_T3_T4_jPT5_SL_PNS1_23onesweep_lookback_stateET6_jjj
	.globl	_ZN7rocprim17ROCPRIM_304000_NS6detail25onesweep_iteration_kernelINS1_34wrapped_radix_sort_onesweep_configINS0_14default_configE6__halfN2at4cuda3cub6detail10OpaqueTypeILi8EEEEELb0EPS5_SD_PSB_SE_mNS0_19identity_decomposerEEEvT1_T2_T3_T4_jPT5_SL_PNS1_23onesweep_lookback_stateET6_jjj
	.p2align	8
	.type	_ZN7rocprim17ROCPRIM_304000_NS6detail25onesweep_iteration_kernelINS1_34wrapped_radix_sort_onesweep_configINS0_14default_configE6__halfN2at4cuda3cub6detail10OpaqueTypeILi8EEEEELb0EPS5_SD_PSB_SE_mNS0_19identity_decomposerEEEvT1_T2_T3_T4_jPT5_SL_PNS1_23onesweep_lookback_stateET6_jjj,@function
_ZN7rocprim17ROCPRIM_304000_NS6detail25onesweep_iteration_kernelINS1_34wrapped_radix_sort_onesweep_configINS0_14default_configE6__halfN2at4cuda3cub6detail10OpaqueTypeILi8EEEEELb0EPS5_SD_PSB_SE_mNS0_19identity_decomposerEEEvT1_T2_T3_T4_jPT5_SL_PNS1_23onesweep_lookback_stateET6_jjj: ; @_ZN7rocprim17ROCPRIM_304000_NS6detail25onesweep_iteration_kernelINS1_34wrapped_radix_sort_onesweep_configINS0_14default_configE6__halfN2at4cuda3cub6detail10OpaqueTypeILi8EEEEELb0EPS5_SD_PSB_SE_mNS0_19identity_decomposerEEEvT1_T2_T3_T4_jPT5_SL_PNS1_23onesweep_lookback_stateET6_jjj
; %bb.0:
	s_clause 0x3
	s_load_b128 s[28:31], s[0:1], 0x44
	s_load_b256 s[16:23], s[0:1], 0x0
	s_load_b128 s[24:27], s[0:1], 0x28
	s_load_b64 s[12:13], s[0:1], 0x38
	v_and_b32_e32 v5, 0x3ff, v0
	v_mbcnt_lo_u32_b32 v14, -1, 0
	s_waitcnt lgkmcnt(0)
	s_cmp_ge_u32 s15, s30
	s_cbranch_scc0 .LBB199_62
; %bb.1:
	s_load_b32 s4, s[0:1], 0x20
	v_dual_mov_b32 v6, 0x7fff :: v_dual_lshlrev_b32 v11, 2, v5
	s_lshl_b32 s5, s30, 12
	s_lshl_b32 s30, s15, 12
	s_mov_b32 s31, 0
	s_delay_alu instid0(VALU_DEP_1) | instskip(SKIP_2) | instid1(VALU_DEP_2)
	v_and_b32_e32 v10, 0xf80, v11
	v_lshlrev_b32_e32 v1, 1, v14
	s_lshl_b64 s[2:3], s[30:31], 1
	v_dual_mov_b32 v7, 0x7fff :: v_dual_lshlrev_b32 v2, 1, v10
	v_or_b32_e32 v8, v14, v10
	s_waitcnt lgkmcnt(0)
	s_sub_i32 s34, s4, s5
	s_add_u32 s2, s16, s2
	s_addc_u32 s3, s17, s3
	v_add_co_u32 v1, s2, s2, v1
	s_delay_alu instid0(VALU_DEP_1) | instskip(SKIP_1) | instid1(VALU_DEP_3)
	v_add_co_ci_u32_e64 v3, null, s3, 0, s2
	v_cmp_gt_u32_e32 vcc_lo, s34, v8
	v_add_co_u32 v1, s2, v1, v2
	s_delay_alu instid0(VALU_DEP_1)
	v_add_co_ci_u32_e64 v2, s2, 0, v3, s2
	s_and_saveexec_b32 s2, vcc_lo
	s_cbranch_execz .LBB199_3
; %bb.2:
	global_load_u16 v7, v[1:2], off
.LBB199_3:
	s_or_b32 exec_lo, exec_lo, s2
	v_add_nc_u32_e32 v3, 32, v8
	s_delay_alu instid0(VALU_DEP_1) | instskip(NEXT) | instid1(VALU_DEP_1)
	v_cmp_gt_u32_e64 s2, s34, v3
	s_and_saveexec_b32 s3, s2
	s_cbranch_execz .LBB199_5
; %bb.4:
	global_load_u16 v6, v[1:2], off offset:64
.LBB199_5:
	s_or_b32 exec_lo, exec_lo, s3
	v_dual_mov_b32 v3, 0x7fff :: v_dual_add_nc_u32 v4, 64, v8
	s_delay_alu instid0(VALU_DEP_1) | instskip(SKIP_1) | instid1(VALU_DEP_2)
	v_cmp_gt_u32_e64 s3, s34, v4
	v_mov_b32_e32 v4, 0x7fff
	s_and_saveexec_b32 s4, s3
	s_cbranch_execz .LBB199_7
; %bb.6:
	global_load_u16 v4, v[1:2], off offset:128
.LBB199_7:
	s_or_b32 exec_lo, exec_lo, s4
	v_add_nc_u32_e32 v8, 0x60, v8
	s_delay_alu instid0(VALU_DEP_1) | instskip(NEXT) | instid1(VALU_DEP_1)
	v_cmp_gt_u32_e64 s4, s34, v8
	s_and_saveexec_b32 s5, s4
	s_cbranch_execz .LBB199_9
; %bb.8:
	global_load_u16 v3, v[1:2], off offset:192
.LBB199_9:
	s_or_b32 exec_lo, exec_lo, s5
	s_clause 0x1
	s_load_b32 s5, s[0:1], 0x5c
	s_load_b32 s14, s[0:1], 0x50
	s_add_u32 s6, s0, 0x50
	s_addc_u32 s7, s1, 0
	s_waitcnt lgkmcnt(0)
	s_lshr_b32 s8, s5, 16
	s_cmp_lt_u32 s15, s14
	s_cselect_b32 s5, 12, 18
	s_delay_alu instid0(SALU_CYCLE_1) | instskip(SKIP_3) | instid1(VALU_DEP_1)
	s_add_u32 s6, s6, s5
	s_waitcnt vmcnt(0)
	v_cmp_lt_i16_e64 s5, -1, v7
	s_addc_u32 s7, s7, 0
	v_cndmask_b32_e64 v1, -1, 0xffff8000, s5
	s_delay_alu instid0(VALU_DEP_1) | instskip(NEXT) | instid1(VALU_DEP_1)
	v_xor_b32_e32 v12, v1, v7
	v_cmp_ne_u16_e64 s5, 0x7fff, v12
	s_delay_alu instid0(VALU_DEP_1) | instskip(SKIP_2) | instid1(SALU_CYCLE_1)
	v_cndmask_b32_e64 v1, 0xffff8000, v12, s5
	v_mov_b32_e32 v8, 0
	s_lshl_b32 s5, -1, s29
	s_not_b32 s33, s5
	s_delay_alu instid0(VALU_DEP_2) | instskip(SKIP_2) | instid1(VALU_DEP_1)
	v_and_b32_e32 v1, 0xffff, v1
	global_load_u16 v9, v8, s[6:7]
	v_lshrrev_b32_e32 v1, s28, v1
	v_and_b32_e32 v7, s33, v1
	v_bfe_u32 v1, v0, 10, 10
	s_delay_alu instid0(VALU_DEP_2)
	v_and_b32_e32 v2, 1, v7
	v_lshlrev_b32_e32 v13, 30, v7
	v_lshlrev_b32_e32 v15, 29, v7
	v_lshlrev_b32_e32 v16, 28, v7
	v_lshlrev_b32_e32 v18, 27, v7
	v_add_co_u32 v2, s5, v2, -1
	s_delay_alu instid0(VALU_DEP_1)
	v_cndmask_b32_e64 v17, 0, 1, s5
	v_not_b32_e32 v21, v13
	v_cmp_gt_i32_e64 s6, 0, v13
	v_not_b32_e32 v13, v15
	v_lshlrev_b32_e32 v19, 26, v7
	v_cmp_ne_u32_e64 s5, 0, v17
	v_ashrrev_i32_e32 v21, 31, v21
	v_lshlrev_b32_e32 v20, 25, v7
	v_ashrrev_i32_e32 v13, 31, v13
	v_lshlrev_b32_e32 v17, 24, v7
	v_xor_b32_e32 v2, s5, v2
	v_cmp_gt_i32_e64 s5, 0, v15
	v_not_b32_e32 v15, v16
	v_xor_b32_e32 v21, s6, v21
	v_cmp_gt_i32_e64 s6, 0, v16
	v_and_b32_e32 v2, exec_lo, v2
	v_not_b32_e32 v16, v18
	v_ashrrev_i32_e32 v15, 31, v15
	v_xor_b32_e32 v13, s5, v13
	v_cmp_gt_i32_e64 s5, 0, v18
	v_and_b32_e32 v2, v2, v21
	v_not_b32_e32 v18, v19
	v_ashrrev_i32_e32 v16, 31, v16
	v_xor_b32_e32 v15, s6, v15
	v_cmp_gt_i32_e64 s6, 0, v19
	v_and_b32_e32 v2, v2, v13
	;; [unrolled: 5-line block ×4, first 2 shown]
	v_bfe_u32 v16, v0, 20, 10
	v_ashrrev_i32_e32 v15, 31, v15
	v_xor_b32_e32 v13, s5, v13
	v_mul_u32_u24_e32 v17, 9, v5
	v_and_b32_e32 v2, v2, v18
	v_mad_u32_u24 v16, v16, s8, v1
	v_xor_b32_e32 v18, s6, v15
	v_mul_u32_u24_e32 v7, 33, v7
	v_lshlrev_b32_e32 v15, 2, v17
	v_and_b32_e32 v13, v2, v13
	ds_store_2addr_b32 v15, v8, v8 offset0:32 offset1:33
	ds_store_2addr_b32 v15, v8, v8 offset0:34 offset1:35
	;; [unrolled: 1-line block ×4, first 2 shown]
	ds_store_b32 v15, v8 offset:160
	s_waitcnt vmcnt(0) lgkmcnt(0)
	s_barrier
	buffer_gl0_inv
	; wave barrier
	v_mad_u64_u32 v[1:2], null, v16, v9, v[5:6]
	v_and_b32_e32 v2, v13, v18
	s_delay_alu instid0(VALU_DEP_1) | instskip(NEXT) | instid1(VALU_DEP_3)
	v_mbcnt_lo_u32_b32 v13, v2, 0
	v_lshrrev_b32_e32 v1, 5, v1
	v_cmp_ne_u32_e64 s6, 0, v2
	s_delay_alu instid0(VALU_DEP_3) | instskip(NEXT) | instid1(VALU_DEP_3)
	v_cmp_eq_u32_e64 s5, 0, v13
	v_add_lshl_u32 v16, v1, v7, 2
	s_delay_alu instid0(VALU_DEP_2) | instskip(NEXT) | instid1(SALU_CYCLE_1)
	s_and_b32 s6, s6, s5
	s_and_saveexec_b32 s5, s6
	s_cbranch_execz .LBB199_11
; %bb.10:
	v_bcnt_u32_b32 v2, v2, 0
	ds_store_b32 v16, v2 offset:128
.LBB199_11:
	s_or_b32 exec_lo, exec_lo, s5
	v_cmp_lt_i16_e64 s5, -1, v6
	; wave barrier
	s_delay_alu instid0(VALU_DEP_1) | instskip(NEXT) | instid1(VALU_DEP_1)
	v_cndmask_b32_e64 v2, -1, 0xffff8000, s5
	v_xor_b32_e32 v17, v2, v6
	s_delay_alu instid0(VALU_DEP_1) | instskip(NEXT) | instid1(VALU_DEP_1)
	v_cmp_ne_u16_e64 s5, 0x7fff, v17
	v_cndmask_b32_e64 v2, 0xffff8000, v17, s5
	s_delay_alu instid0(VALU_DEP_1) | instskip(NEXT) | instid1(VALU_DEP_1)
	v_and_b32_e32 v2, 0xffff, v2
	v_lshrrev_b32_e32 v2, s28, v2
	s_delay_alu instid0(VALU_DEP_1) | instskip(NEXT) | instid1(VALU_DEP_1)
	v_and_b32_e32 v2, s33, v2
	v_and_b32_e32 v6, 1, v2
	v_lshlrev_b32_e32 v7, 30, v2
	v_lshlrev_b32_e32 v8, 29, v2
	;; [unrolled: 1-line block ×4, first 2 shown]
	v_add_co_u32 v6, s5, v6, -1
	s_delay_alu instid0(VALU_DEP_1)
	v_cndmask_b32_e64 v18, 0, 1, s5
	v_not_b32_e32 v22, v7
	v_cmp_gt_i32_e64 s6, 0, v7
	v_not_b32_e32 v7, v8
	v_lshlrev_b32_e32 v20, 26, v2
	v_cmp_ne_u32_e64 s5, 0, v18
	v_ashrrev_i32_e32 v22, 31, v22
	v_lshlrev_b32_e32 v21, 25, v2
	v_ashrrev_i32_e32 v7, 31, v7
	v_lshlrev_b32_e32 v18, 24, v2
	v_xor_b32_e32 v6, s5, v6
	v_cmp_gt_i32_e64 s5, 0, v8
	v_not_b32_e32 v8, v9
	v_xor_b32_e32 v22, s6, v22
	v_cmp_gt_i32_e64 s6, 0, v9
	v_and_b32_e32 v6, exec_lo, v6
	v_not_b32_e32 v9, v19
	v_ashrrev_i32_e32 v8, 31, v8
	v_xor_b32_e32 v7, s5, v7
	v_cmp_gt_i32_e64 s5, 0, v19
	v_and_b32_e32 v6, v6, v22
	v_not_b32_e32 v19, v20
	v_ashrrev_i32_e32 v9, 31, v9
	v_xor_b32_e32 v8, s6, v8
	v_cmp_gt_i32_e64 s6, 0, v20
	v_and_b32_e32 v6, v6, v7
	;; [unrolled: 5-line block ×3, first 2 shown]
	v_not_b32_e32 v8, v18
	v_ashrrev_i32_e32 v7, 31, v7
	v_xor_b32_e32 v19, s6, v19
	v_mul_u32_u24_e32 v2, 33, v2
	v_and_b32_e32 v6, v6, v9
	v_cmp_gt_i32_e64 s6, 0, v18
	v_ashrrev_i32_e32 v8, 31, v8
	v_xor_b32_e32 v7, s5, v7
	v_add_lshl_u32 v21, v1, v2, 2
	v_and_b32_e32 v6, v6, v19
	s_delay_alu instid0(VALU_DEP_4) | instskip(SKIP_2) | instid1(VALU_DEP_1)
	v_xor_b32_e32 v2, s6, v8
	ds_load_b32 v18, v21 offset:128
	v_and_b32_e32 v6, v6, v7
	; wave barrier
	v_and_b32_e32 v2, v6, v2
	s_delay_alu instid0(VALU_DEP_1) | instskip(SKIP_1) | instid1(VALU_DEP_2)
	v_mbcnt_lo_u32_b32 v19, v2, 0
	v_cmp_ne_u32_e64 s6, 0, v2
	v_cmp_eq_u32_e64 s5, 0, v19
	s_delay_alu instid0(VALU_DEP_1) | instskip(NEXT) | instid1(SALU_CYCLE_1)
	s_and_b32 s6, s6, s5
	s_and_saveexec_b32 s5, s6
	s_cbranch_execz .LBB199_13
; %bb.12:
	s_waitcnt lgkmcnt(0)
	v_bcnt_u32_b32 v2, v2, v18
	ds_store_b32 v21, v2 offset:128
.LBB199_13:
	s_or_b32 exec_lo, exec_lo, s5
	v_cmp_lt_i16_e64 s5, -1, v4
	; wave barrier
	s_delay_alu instid0(VALU_DEP_1) | instskip(NEXT) | instid1(VALU_DEP_1)
	v_cndmask_b32_e64 v2, -1, 0xffff8000, s5
	v_xor_b32_e32 v20, v2, v4
	s_delay_alu instid0(VALU_DEP_1) | instskip(NEXT) | instid1(VALU_DEP_1)
	v_cmp_ne_u16_e64 s5, 0x7fff, v20
	v_cndmask_b32_e64 v2, 0xffff8000, v20, s5
	s_delay_alu instid0(VALU_DEP_1) | instskip(NEXT) | instid1(VALU_DEP_1)
	v_and_b32_e32 v2, 0xffff, v2
	v_lshrrev_b32_e32 v2, s28, v2
	s_delay_alu instid0(VALU_DEP_1) | instskip(NEXT) | instid1(VALU_DEP_1)
	v_and_b32_e32 v2, s33, v2
	v_and_b32_e32 v4, 1, v2
	v_lshlrev_b32_e32 v6, 30, v2
	v_lshlrev_b32_e32 v7, 29, v2
	;; [unrolled: 1-line block ×4, first 2 shown]
	v_add_co_u32 v4, s5, v4, -1
	s_delay_alu instid0(VALU_DEP_1)
	v_cndmask_b32_e64 v9, 0, 1, s5
	v_not_b32_e32 v25, v6
	v_cmp_gt_i32_e64 s6, 0, v6
	v_not_b32_e32 v6, v7
	v_lshlrev_b32_e32 v23, 26, v2
	v_cmp_ne_u32_e64 s5, 0, v9
	v_ashrrev_i32_e32 v25, 31, v25
	v_lshlrev_b32_e32 v24, 25, v2
	v_ashrrev_i32_e32 v6, 31, v6
	v_lshlrev_b32_e32 v9, 24, v2
	v_xor_b32_e32 v4, s5, v4
	v_cmp_gt_i32_e64 s5, 0, v7
	v_not_b32_e32 v7, v8
	v_xor_b32_e32 v25, s6, v25
	v_cmp_gt_i32_e64 s6, 0, v8
	v_and_b32_e32 v4, exec_lo, v4
	v_not_b32_e32 v8, v22
	v_ashrrev_i32_e32 v7, 31, v7
	v_xor_b32_e32 v6, s5, v6
	v_cmp_gt_i32_e64 s5, 0, v22
	v_and_b32_e32 v4, v4, v25
	v_not_b32_e32 v22, v23
	v_ashrrev_i32_e32 v8, 31, v8
	v_xor_b32_e32 v7, s6, v7
	v_cmp_gt_i32_e64 s6, 0, v23
	v_and_b32_e32 v4, v4, v6
	;; [unrolled: 5-line block ×3, first 2 shown]
	v_not_b32_e32 v7, v9
	v_ashrrev_i32_e32 v6, 31, v6
	v_xor_b32_e32 v22, s6, v22
	v_mul_u32_u24_e32 v2, 33, v2
	v_and_b32_e32 v4, v4, v8
	v_cmp_gt_i32_e64 s6, 0, v9
	v_ashrrev_i32_e32 v7, 31, v7
	v_xor_b32_e32 v6, s5, v6
	s_delay_alu instid0(VALU_DEP_4) | instskip(SKIP_1) | instid1(VALU_DEP_4)
	v_and_b32_e32 v4, v4, v22
	v_add_lshl_u32 v22, v1, v2, 2
	v_xor_b32_e32 v2, s6, v7
	s_delay_alu instid0(VALU_DEP_3) | instskip(SKIP_2) | instid1(VALU_DEP_1)
	v_and_b32_e32 v4, v4, v6
	ds_load_b32 v23, v22 offset:128
	; wave barrier
	v_and_b32_e32 v2, v4, v2
	v_mbcnt_lo_u32_b32 v24, v2, 0
	v_cmp_ne_u32_e64 s6, 0, v2
	s_delay_alu instid0(VALU_DEP_2) | instskip(NEXT) | instid1(VALU_DEP_1)
	v_cmp_eq_u32_e64 s5, 0, v24
	s_and_b32 s6, s6, s5
	s_delay_alu instid0(SALU_CYCLE_1)
	s_and_saveexec_b32 s5, s6
	s_cbranch_execz .LBB199_15
; %bb.14:
	s_waitcnt lgkmcnt(0)
	v_bcnt_u32_b32 v2, v2, v23
	ds_store_b32 v22, v2 offset:128
.LBB199_15:
	s_or_b32 exec_lo, exec_lo, s5
	v_cmp_lt_i16_e64 s5, -1, v3
	; wave barrier
	v_add_nc_u32_e32 v29, 0x80, v15
	s_delay_alu instid0(VALU_DEP_2) | instskip(NEXT) | instid1(VALU_DEP_1)
	v_cndmask_b32_e64 v2, -1, 0xffff8000, s5
	v_xor_b32_e32 v25, v2, v3
	s_delay_alu instid0(VALU_DEP_1) | instskip(NEXT) | instid1(VALU_DEP_1)
	v_cmp_ne_u16_e64 s5, 0x7fff, v25
	v_cndmask_b32_e64 v2, 0xffff8000, v25, s5
	s_delay_alu instid0(VALU_DEP_1) | instskip(NEXT) | instid1(VALU_DEP_1)
	v_and_b32_e32 v2, 0xffff, v2
	v_lshrrev_b32_e32 v2, s28, v2
	s_delay_alu instid0(VALU_DEP_1) | instskip(NEXT) | instid1(VALU_DEP_1)
	v_and_b32_e32 v2, s33, v2
	v_and_b32_e32 v3, 1, v2
	v_lshlrev_b32_e32 v4, 30, v2
	v_lshlrev_b32_e32 v6, 29, v2
	;; [unrolled: 1-line block ×4, first 2 shown]
	v_add_co_u32 v3, s5, v3, -1
	s_delay_alu instid0(VALU_DEP_1)
	v_cndmask_b32_e64 v8, 0, 1, s5
	v_not_b32_e32 v28, v4
	v_cmp_gt_i32_e64 s6, 0, v4
	v_not_b32_e32 v4, v6
	v_lshlrev_b32_e32 v26, 26, v2
	v_cmp_ne_u32_e64 s5, 0, v8
	v_ashrrev_i32_e32 v28, 31, v28
	v_lshlrev_b32_e32 v27, 25, v2
	v_ashrrev_i32_e32 v4, 31, v4
	v_lshlrev_b32_e32 v8, 24, v2
	v_xor_b32_e32 v3, s5, v3
	v_cmp_gt_i32_e64 s5, 0, v6
	v_not_b32_e32 v6, v7
	v_xor_b32_e32 v28, s6, v28
	v_cmp_gt_i32_e64 s6, 0, v7
	v_and_b32_e32 v3, exec_lo, v3
	v_not_b32_e32 v7, v9
	v_ashrrev_i32_e32 v6, 31, v6
	v_xor_b32_e32 v4, s5, v4
	v_cmp_gt_i32_e64 s5, 0, v9
	v_and_b32_e32 v3, v3, v28
	v_not_b32_e32 v9, v26
	v_ashrrev_i32_e32 v7, 31, v7
	v_xor_b32_e32 v6, s6, v6
	v_cmp_gt_i32_e64 s6, 0, v26
	v_and_b32_e32 v3, v3, v4
	;; [unrolled: 5-line block ×3, first 2 shown]
	v_not_b32_e32 v6, v8
	v_ashrrev_i32_e32 v4, 31, v4
	v_xor_b32_e32 v9, s6, v9
	v_mul_u32_u24_e32 v2, 33, v2
	v_and_b32_e32 v3, v3, v7
	v_cmp_gt_i32_e64 s6, 0, v8
	v_ashrrev_i32_e32 v6, 31, v6
	v_xor_b32_e32 v4, s5, v4
	v_add_lshl_u32 v28, v2, v1, 2
	v_and_b32_e32 v3, v3, v9
	s_delay_alu instid0(VALU_DEP_4) | instskip(SKIP_2) | instid1(VALU_DEP_1)
	v_xor_b32_e32 v1, s6, v6
	ds_load_b32 v26, v28 offset:128
	v_and_b32_e32 v2, v3, v4
	; wave barrier
	v_and_b32_e32 v1, v2, v1
	s_delay_alu instid0(VALU_DEP_1) | instskip(SKIP_1) | instid1(VALU_DEP_2)
	v_mbcnt_lo_u32_b32 v27, v1, 0
	v_cmp_ne_u32_e64 s6, 0, v1
	v_cmp_eq_u32_e64 s5, 0, v27
	s_delay_alu instid0(VALU_DEP_1) | instskip(NEXT) | instid1(SALU_CYCLE_1)
	s_and_b32 s6, s6, s5
	s_and_saveexec_b32 s5, s6
	s_cbranch_execz .LBB199_17
; %bb.16:
	s_waitcnt lgkmcnt(0)
	v_bcnt_u32_b32 v1, v1, v26
	ds_store_b32 v28, v1 offset:128
.LBB199_17:
	s_or_b32 exec_lo, exec_lo, s5
	; wave barrier
	s_waitcnt lgkmcnt(0)
	s_barrier
	buffer_gl0_inv
	ds_load_2addr_b32 v[8:9], v15 offset0:32 offset1:33
	ds_load_2addr_b32 v[6:7], v29 offset0:2 offset1:3
	;; [unrolled: 1-line block ×4, first 2 shown]
	ds_load_b32 v30, v29 offset:32
	v_and_b32_e32 v33, 16, v14
	v_and_b32_e32 v34, 31, v5
	s_mov_b32 s11, exec_lo
	s_delay_alu instid0(VALU_DEP_2) | instskip(SKIP_3) | instid1(VALU_DEP_1)
	v_cmp_eq_u32_e64 s9, 0, v33
	s_waitcnt lgkmcnt(3)
	v_add3_u32 v31, v9, v8, v6
	s_waitcnt lgkmcnt(2)
	v_add3_u32 v31, v31, v7, v3
	s_waitcnt lgkmcnt(1)
	s_delay_alu instid0(VALU_DEP_1) | instskip(SKIP_1) | instid1(VALU_DEP_1)
	v_add3_u32 v31, v31, v4, v1
	s_waitcnt lgkmcnt(0)
	v_add3_u32 v30, v31, v2, v30
	v_and_b32_e32 v31, 15, v14
	s_delay_alu instid0(VALU_DEP_2) | instskip(NEXT) | instid1(VALU_DEP_2)
	v_mov_b32_dpp v32, v30 row_shr:1 row_mask:0xf bank_mask:0xf
	v_cmp_eq_u32_e64 s5, 0, v31
	v_cmp_lt_u32_e64 s6, 1, v31
	v_cmp_lt_u32_e64 s7, 3, v31
	;; [unrolled: 1-line block ×3, first 2 shown]
	s_delay_alu instid0(VALU_DEP_4) | instskip(NEXT) | instid1(VALU_DEP_1)
	v_cndmask_b32_e64 v32, v32, 0, s5
	v_add_nc_u32_e32 v30, v32, v30
	s_delay_alu instid0(VALU_DEP_1) | instskip(NEXT) | instid1(VALU_DEP_1)
	v_mov_b32_dpp v32, v30 row_shr:2 row_mask:0xf bank_mask:0xf
	v_cndmask_b32_e64 v32, 0, v32, s6
	s_delay_alu instid0(VALU_DEP_1) | instskip(NEXT) | instid1(VALU_DEP_1)
	v_add_nc_u32_e32 v30, v30, v32
	v_mov_b32_dpp v32, v30 row_shr:4 row_mask:0xf bank_mask:0xf
	s_delay_alu instid0(VALU_DEP_1) | instskip(NEXT) | instid1(VALU_DEP_1)
	v_cndmask_b32_e64 v32, 0, v32, s7
	v_add_nc_u32_e32 v30, v30, v32
	s_delay_alu instid0(VALU_DEP_1) | instskip(NEXT) | instid1(VALU_DEP_1)
	v_mov_b32_dpp v32, v30 row_shr:8 row_mask:0xf bank_mask:0xf
	v_cndmask_b32_e64 v31, 0, v32, s8
	v_bfe_i32 v32, v14, 4, 1
	s_delay_alu instid0(VALU_DEP_2) | instskip(SKIP_4) | instid1(VALU_DEP_2)
	v_add_nc_u32_e32 v30, v30, v31
	ds_swizzle_b32 v31, v30 offset:swizzle(BROADCAST,32,15)
	s_waitcnt lgkmcnt(0)
	v_and_b32_e32 v32, v32, v31
	v_lshrrev_b32_e32 v31, 5, v5
	v_add_nc_u32_e32 v30, v30, v32
	v_cmpx_eq_u32_e32 31, v34
	s_cbranch_execz .LBB199_19
; %bb.18:
	s_delay_alu instid0(VALU_DEP_3)
	v_lshlrev_b32_e32 v32, 2, v31
	ds_store_b32 v32, v30
.LBB199_19:
	s_or_b32 exec_lo, exec_lo, s11
	v_cmp_lt_u32_e64 s10, 31, v5
	s_mov_b32 s35, exec_lo
	s_waitcnt lgkmcnt(0)
	s_barrier
	buffer_gl0_inv
	v_cmpx_gt_u32_e32 32, v5
	s_cbranch_execz .LBB199_21
; %bb.20:
	ds_load_b32 v32, v11
	s_waitcnt lgkmcnt(0)
	v_mov_b32_dpp v33, v32 row_shr:1 row_mask:0xf bank_mask:0xf
	s_delay_alu instid0(VALU_DEP_1) | instskip(NEXT) | instid1(VALU_DEP_1)
	v_cndmask_b32_e64 v33, v33, 0, s5
	v_add_nc_u32_e32 v32, v33, v32
	s_delay_alu instid0(VALU_DEP_1) | instskip(NEXT) | instid1(VALU_DEP_1)
	v_mov_b32_dpp v33, v32 row_shr:2 row_mask:0xf bank_mask:0xf
	v_cndmask_b32_e64 v33, 0, v33, s6
	s_delay_alu instid0(VALU_DEP_1) | instskip(NEXT) | instid1(VALU_DEP_1)
	v_add_nc_u32_e32 v32, v32, v33
	v_mov_b32_dpp v33, v32 row_shr:4 row_mask:0xf bank_mask:0xf
	s_delay_alu instid0(VALU_DEP_1) | instskip(NEXT) | instid1(VALU_DEP_1)
	v_cndmask_b32_e64 v33, 0, v33, s7
	v_add_nc_u32_e32 v32, v32, v33
	s_delay_alu instid0(VALU_DEP_1) | instskip(NEXT) | instid1(VALU_DEP_1)
	v_mov_b32_dpp v33, v32 row_shr:8 row_mask:0xf bank_mask:0xf
	v_cndmask_b32_e64 v33, 0, v33, s8
	s_delay_alu instid0(VALU_DEP_1) | instskip(SKIP_3) | instid1(VALU_DEP_1)
	v_add_nc_u32_e32 v32, v32, v33
	ds_swizzle_b32 v33, v32 offset:swizzle(BROADCAST,32,15)
	s_waitcnt lgkmcnt(0)
	v_cndmask_b32_e64 v33, v33, 0, s9
	v_add_nc_u32_e32 v32, v32, v33
	ds_store_b32 v11, v32
.LBB199_21:
	s_or_b32 exec_lo, exec_lo, s35
	v_mov_b32_e32 v11, 0
	s_waitcnt lgkmcnt(0)
	s_barrier
	buffer_gl0_inv
	s_and_saveexec_b32 s5, s10
	s_cbranch_execz .LBB199_23
; %bb.22:
	v_lshl_add_u32 v11, v31, 2, -4
	ds_load_b32 v11, v11
.LBB199_23:
	s_or_b32 exec_lo, exec_lo, s5
	v_add_nc_u32_e32 v31, -1, v14
	s_waitcnt lgkmcnt(0)
	v_add_nc_u32_e32 v30, v11, v30
	s_delay_alu instid0(VALU_DEP_2) | instskip(NEXT) | instid1(VALU_DEP_1)
	v_cmp_gt_i32_e64 s5, 0, v31
	v_cndmask_b32_e64 v31, v31, v14, s5
	v_cmp_eq_u32_e64 s5, 0, v14
	s_delay_alu instid0(VALU_DEP_2) | instskip(SKIP_4) | instid1(VALU_DEP_1)
	v_lshlrev_b32_e32 v31, 2, v31
	ds_bpermute_b32 v30, v31, v30
	s_waitcnt lgkmcnt(0)
	v_cndmask_b32_e64 v11, v30, v11, s5
	v_cmp_ne_u32_e64 s5, 0, v5
	v_cndmask_b32_e64 v11, 0, v11, s5
	v_cmp_gt_u32_e64 s5, 0x100, v5
	s_delay_alu instid0(VALU_DEP_2) | instskip(NEXT) | instid1(VALU_DEP_1)
	v_add_nc_u32_e32 v8, v11, v8
	v_add_nc_u32_e32 v9, v8, v9
	s_delay_alu instid0(VALU_DEP_1) | instskip(NEXT) | instid1(VALU_DEP_1)
	v_add_nc_u32_e32 v6, v9, v6
	v_add_nc_u32_e32 v7, v6, v7
	s_delay_alu instid0(VALU_DEP_1) | instskip(NEXT) | instid1(VALU_DEP_1)
	v_add_nc_u32_e32 v3, v7, v3
	v_add_nc_u32_e32 v4, v3, v4
	s_delay_alu instid0(VALU_DEP_1) | instskip(NEXT) | instid1(VALU_DEP_1)
	v_add_nc_u32_e32 v1, v4, v1
	v_add_nc_u32_e32 v2, v1, v2
	ds_store_2addr_b32 v15, v11, v8 offset0:32 offset1:33
	ds_store_2addr_b32 v29, v9, v6 offset0:2 offset1:3
	;; [unrolled: 1-line block ×4, first 2 shown]
	ds_store_b32 v29, v2 offset:32
	s_waitcnt lgkmcnt(0)
	s_barrier
	buffer_gl0_inv
	ds_load_b32 v1, v16 offset:128
	ds_load_b32 v2, v21 offset:128
	;; [unrolled: 1-line block ×4, first 2 shown]
                                        ; implicit-def: $vgpr15
                                        ; implicit-def: $vgpr16
	s_and_saveexec_b32 s7, s5
	s_cbranch_execz .LBB199_27
; %bb.24:
	v_mul_u32_u24_e32 v6, 33, v5
	s_mov_b32 s8, exec_lo
	s_delay_alu instid0(VALU_DEP_1)
	v_dual_mov_b32 v6, 0x1000 :: v_dual_lshlrev_b32 v7, 2, v6
	ds_load_b32 v15, v7 offset:128
	v_cmpx_ne_u32_e32 0xff, v5
	s_cbranch_execz .LBB199_26
; %bb.25:
	ds_load_b32 v6, v7 offset:260
.LBB199_26:
	s_or_b32 exec_lo, exec_lo, s8
	s_waitcnt lgkmcnt(0)
	v_sub_nc_u32_e32 v16, v6, v15
.LBB199_27:
	s_or_b32 exec_lo, exec_lo, s7
	s_waitcnt lgkmcnt(3)
	v_add_nc_u32_e32 v22, v1, v13
	s_waitcnt lgkmcnt(2)
	v_add3_u32 v21, v19, v18, v2
	s_waitcnt lgkmcnt(1)
	v_add3_u32 v19, v24, v23, v3
	s_waitcnt lgkmcnt(0)
	v_add3_u32 v18, v27, v26, v4
	v_lshlrev_b32_e32 v1, 1, v22
	v_lshlrev_b32_e32 v2, 1, v21
	;; [unrolled: 1-line block ×3, first 2 shown]
	s_delay_alu instid0(VALU_DEP_4)
	v_lshlrev_b32_e32 v4, 1, v18
	s_barrier
	buffer_gl0_inv
	ds_store_b16 v1, v12 offset:2048
	ds_store_b16 v2, v17 offset:2048
	;; [unrolled: 1-line block ×4, first 2 shown]
	s_waitcnt lgkmcnt(0)
	s_barrier
	buffer_gl0_inv
	s_and_saveexec_b32 s7, s5
	s_cbranch_execz .LBB199_37
; %bb.28:
	v_lshl_or_b32 v3, s15, 8, v5
	v_mov_b32_e32 v4, 0
	v_mov_b32_e32 v8, 0
	s_mov_b32 s8, 0
	s_mov_b32 s9, s15
	s_delay_alu instid0(VALU_DEP_2) | instskip(SKIP_1) | instid1(VALU_DEP_2)
	v_lshlrev_b64 v[1:2], 2, v[3:4]
	v_or_b32_e32 v3, 2.0, v16
	v_add_co_u32 v1, s6, s12, v1
	s_delay_alu instid0(VALU_DEP_1)
	v_add_co_ci_u32_e64 v2, s6, s13, v2, s6
                                        ; implicit-def: $sgpr6
	global_store_b32 v[1:2], v3, off
	s_branch .LBB199_30
	.p2align	6
.LBB199_29:                             ;   in Loop: Header=BB199_30 Depth=1
	s_or_b32 exec_lo, exec_lo, s10
	v_and_b32_e32 v6, 0x3fffffff, v9
	v_cmp_eq_u32_e64 s6, 0x80000000, v3
	s_delay_alu instid0(VALU_DEP_2) | instskip(NEXT) | instid1(VALU_DEP_2)
	v_add_nc_u32_e32 v8, v6, v8
	s_and_b32 s10, exec_lo, s6
	s_delay_alu instid0(SALU_CYCLE_1) | instskip(NEXT) | instid1(SALU_CYCLE_1)
	s_or_b32 s8, s10, s8
	s_and_not1_b32 exec_lo, exec_lo, s8
	s_cbranch_execz .LBB199_36
.LBB199_30:                             ; =>This Loop Header: Depth=1
                                        ;     Child Loop BB199_33 Depth 2
	s_or_b32 s6, s6, exec_lo
	s_cmp_eq_u32 s9, 0
	s_cbranch_scc1 .LBB199_35
; %bb.31:                               ;   in Loop: Header=BB199_30 Depth=1
	s_add_i32 s9, s9, -1
	s_mov_b32 s10, exec_lo
	v_lshl_or_b32 v3, s9, 8, v5
	s_delay_alu instid0(VALU_DEP_1) | instskip(NEXT) | instid1(VALU_DEP_1)
	v_lshlrev_b64 v[6:7], 2, v[3:4]
	v_add_co_u32 v6, s6, s12, v6
	s_delay_alu instid0(VALU_DEP_1) | instskip(SKIP_3) | instid1(VALU_DEP_1)
	v_add_co_ci_u32_e64 v7, s6, s13, v7, s6
	global_load_b32 v9, v[6:7], off glc
	s_waitcnt vmcnt(0)
	v_and_b32_e32 v3, -2.0, v9
	v_cmpx_eq_u32_e32 0, v3
	s_cbranch_execz .LBB199_29
; %bb.32:                               ;   in Loop: Header=BB199_30 Depth=1
	s_mov_b32 s11, 0
.LBB199_33:                             ;   Parent Loop BB199_30 Depth=1
                                        ; =>  This Inner Loop Header: Depth=2
	global_load_b32 v9, v[6:7], off glc
	s_waitcnt vmcnt(0)
	v_and_b32_e32 v3, -2.0, v9
	s_delay_alu instid0(VALU_DEP_1) | instskip(NEXT) | instid1(VALU_DEP_1)
	v_cmp_ne_u32_e64 s6, 0, v3
	s_or_b32 s11, s6, s11
	s_delay_alu instid0(SALU_CYCLE_1)
	s_and_not1_b32 exec_lo, exec_lo, s11
	s_cbranch_execnz .LBB199_33
; %bb.34:                               ;   in Loop: Header=BB199_30 Depth=1
	s_or_b32 exec_lo, exec_lo, s11
	s_branch .LBB199_29
.LBB199_35:                             ;   in Loop: Header=BB199_30 Depth=1
                                        ; implicit-def: $sgpr9
	s_and_b32 s10, exec_lo, s6
	s_delay_alu instid0(SALU_CYCLE_1) | instskip(NEXT) | instid1(SALU_CYCLE_1)
	s_or_b32 s8, s10, s8
	s_and_not1_b32 exec_lo, exec_lo, s8
	s_cbranch_execnz .LBB199_30
.LBB199_36:
	s_or_b32 exec_lo, exec_lo, s8
	v_add_nc_u32_e32 v3, v8, v16
	v_lshlrev_b32_e32 v4, 3, v5
	s_delay_alu instid0(VALU_DEP_2) | instskip(SKIP_3) | instid1(VALU_DEP_1)
	v_or_b32_e32 v3, 0x80000000, v3
	global_store_b32 v[1:2], v3, off
	global_load_b64 v[1:2], v4, s[24:25]
	v_sub_co_u32 v3, s6, v8, v15
	v_sub_co_ci_u32_e64 v6, null, 0, 0, s6
	s_waitcnt vmcnt(0)
	s_delay_alu instid0(VALU_DEP_2) | instskip(NEXT) | instid1(VALU_DEP_1)
	v_add_co_u32 v1, s6, v3, v1
	v_add_co_ci_u32_e64 v2, s6, v6, v2, s6
	ds_store_b64 v4, v[1:2]
.LBB199_37:
	s_or_b32 exec_lo, exec_lo, s7
	v_cmp_gt_u32_e64 s6, s34, v5
	v_lshlrev_b32_e32 v24, 1, v5
	s_waitcnt lgkmcnt(0)
	s_waitcnt_vscnt null, 0x0
	s_barrier
	buffer_gl0_inv
	s_and_saveexec_b32 s8, s6
	s_cbranch_execz .LBB199_39
; %bb.38:
	ds_load_u16 v3, v24 offset:2048
	s_waitcnt lgkmcnt(0)
	v_cmp_ne_u16_e64 s7, 0x7fff, v3
	s_delay_alu instid0(VALU_DEP_1) | instskip(SKIP_1) | instid1(VALU_DEP_2)
	v_cndmask_b32_e64 v1, 0xffff8000, v3, s7
	v_cmp_lt_i16_e64 s7, -1, v3
	v_and_b32_e32 v1, 0xffff, v1
	s_delay_alu instid0(VALU_DEP_2) | instskip(NEXT) | instid1(VALU_DEP_2)
	v_cndmask_b32_e64 v4, 0xffff8000, -1, s7
	v_lshrrev_b32_e32 v1, s28, v1
	s_delay_alu instid0(VALU_DEP_2) | instskip(NEXT) | instid1(VALU_DEP_2)
	v_xor_b32_e32 v3, v4, v3
	v_and_b32_e32 v1, s33, v1
	s_delay_alu instid0(VALU_DEP_1) | instskip(SKIP_3) | instid1(VALU_DEP_1)
	v_lshlrev_b32_e32 v1, 3, v1
	ds_load_b64 v[1:2], v1
	s_waitcnt lgkmcnt(0)
	v_lshlrev_b64 v[1:2], 1, v[1:2]
	v_add_co_u32 v1, s7, s18, v1
	s_delay_alu instid0(VALU_DEP_1) | instskip(NEXT) | instid1(VALU_DEP_2)
	v_add_co_ci_u32_e64 v2, s7, s19, v2, s7
	v_add_co_u32 v1, s7, v1, v24
	s_delay_alu instid0(VALU_DEP_1)
	v_add_co_ci_u32_e64 v2, s7, 0, v2, s7
	global_store_b16 v[1:2], v3, off
.LBB199_39:
	s_or_b32 exec_lo, exec_lo, s8
	v_or_b32_e32 v17, 0x400, v5
	s_delay_alu instid0(VALU_DEP_1) | instskip(NEXT) | instid1(VALU_DEP_1)
	v_cmp_gt_u32_e64 s7, s34, v17
	s_and_saveexec_b32 s9, s7
	s_cbranch_execz .LBB199_41
; %bb.40:
	ds_load_u16 v3, v24 offset:4096
	s_waitcnt lgkmcnt(0)
	v_cmp_ne_u16_e64 s8, 0x7fff, v3
	s_delay_alu instid0(VALU_DEP_1) | instskip(SKIP_1) | instid1(VALU_DEP_2)
	v_cndmask_b32_e64 v1, 0xffff8000, v3, s8
	v_cmp_lt_i16_e64 s8, -1, v3
	v_and_b32_e32 v1, 0xffff, v1
	s_delay_alu instid0(VALU_DEP_2) | instskip(NEXT) | instid1(VALU_DEP_2)
	v_cndmask_b32_e64 v4, 0xffff8000, -1, s8
	v_lshrrev_b32_e32 v1, s28, v1
	s_delay_alu instid0(VALU_DEP_2) | instskip(NEXT) | instid1(VALU_DEP_2)
	v_xor_b32_e32 v3, v4, v3
	v_and_b32_e32 v1, s33, v1
	s_delay_alu instid0(VALU_DEP_1) | instskip(SKIP_3) | instid1(VALU_DEP_1)
	v_lshlrev_b32_e32 v1, 3, v1
	ds_load_b64 v[1:2], v1
	s_waitcnt lgkmcnt(0)
	v_lshlrev_b64 v[1:2], 1, v[1:2]
	v_add_co_u32 v1, s8, s18, v1
	s_delay_alu instid0(VALU_DEP_1) | instskip(NEXT) | instid1(VALU_DEP_2)
	v_add_co_ci_u32_e64 v2, s8, s19, v2, s8
	v_add_co_u32 v1, s8, v1, v24
	s_delay_alu instid0(VALU_DEP_1)
	v_add_co_ci_u32_e64 v2, s8, 0, v2, s8
	global_store_b16 v[1:2], v3, off offset:2048
.LBB199_41:
	s_or_b32 exec_lo, exec_lo, s9
	v_or_b32_e32 v20, 0x800, v5
	s_delay_alu instid0(VALU_DEP_1) | instskip(NEXT) | instid1(VALU_DEP_1)
	v_cmp_gt_u32_e64 s8, s34, v20
	s_and_saveexec_b32 s10, s8
	s_cbranch_execz .LBB199_43
; %bb.42:
	ds_load_u16 v3, v24 offset:6144
	v_lshlrev_b32_e32 v4, 1, v20
	s_waitcnt lgkmcnt(0)
	v_cmp_ne_u16_e64 s9, 0x7fff, v3
	s_delay_alu instid0(VALU_DEP_1) | instskip(SKIP_1) | instid1(VALU_DEP_2)
	v_cndmask_b32_e64 v1, 0xffff8000, v3, s9
	v_cmp_lt_i16_e64 s9, -1, v3
	v_and_b32_e32 v1, 0xffff, v1
	s_delay_alu instid0(VALU_DEP_2) | instskip(NEXT) | instid1(VALU_DEP_2)
	v_cndmask_b32_e64 v6, 0xffff8000, -1, s9
	v_lshrrev_b32_e32 v1, s28, v1
	s_delay_alu instid0(VALU_DEP_2) | instskip(NEXT) | instid1(VALU_DEP_2)
	v_xor_b32_e32 v3, v6, v3
	v_and_b32_e32 v1, s33, v1
	s_delay_alu instid0(VALU_DEP_1) | instskip(SKIP_3) | instid1(VALU_DEP_1)
	v_lshlrev_b32_e32 v1, 3, v1
	ds_load_b64 v[1:2], v1
	s_waitcnt lgkmcnt(0)
	v_lshlrev_b64 v[1:2], 1, v[1:2]
	v_add_co_u32 v1, s9, s18, v1
	s_delay_alu instid0(VALU_DEP_1) | instskip(NEXT) | instid1(VALU_DEP_2)
	v_add_co_ci_u32_e64 v2, s9, s19, v2, s9
	v_add_co_u32 v1, s9, v1, v4
	s_delay_alu instid0(VALU_DEP_1)
	v_add_co_ci_u32_e64 v2, s9, 0, v2, s9
	global_store_b16 v[1:2], v3, off
.LBB199_43:
	s_or_b32 exec_lo, exec_lo, s10
	v_or_b32_e32 v23, 0xc00, v5
	s_delay_alu instid0(VALU_DEP_1) | instskip(NEXT) | instid1(VALU_DEP_1)
	v_cmp_gt_u32_e64 s9, s34, v23
	s_and_saveexec_b32 s11, s9
	s_cbranch_execz .LBB199_45
; %bb.44:
	ds_load_u16 v3, v24 offset:8192
	v_lshlrev_b32_e32 v4, 1, v23
	s_waitcnt lgkmcnt(0)
	v_cmp_ne_u16_e64 s10, 0x7fff, v3
	s_delay_alu instid0(VALU_DEP_1) | instskip(SKIP_1) | instid1(VALU_DEP_2)
	v_cndmask_b32_e64 v1, 0xffff8000, v3, s10
	v_cmp_lt_i16_e64 s10, -1, v3
	v_and_b32_e32 v1, 0xffff, v1
	s_delay_alu instid0(VALU_DEP_2) | instskip(NEXT) | instid1(VALU_DEP_2)
	v_cndmask_b32_e64 v6, 0xffff8000, -1, s10
	v_lshrrev_b32_e32 v1, s28, v1
	s_delay_alu instid0(VALU_DEP_2) | instskip(NEXT) | instid1(VALU_DEP_2)
	v_xor_b32_e32 v3, v6, v3
	v_and_b32_e32 v1, s33, v1
	s_delay_alu instid0(VALU_DEP_1) | instskip(SKIP_3) | instid1(VALU_DEP_1)
	v_lshlrev_b32_e32 v1, 3, v1
	ds_load_b64 v[1:2], v1
	s_waitcnt lgkmcnt(0)
	v_lshlrev_b64 v[1:2], 1, v[1:2]
	v_add_co_u32 v1, s10, s18, v1
	s_delay_alu instid0(VALU_DEP_1) | instskip(NEXT) | instid1(VALU_DEP_2)
	v_add_co_ci_u32_e64 v2, s10, s19, v2, s10
	v_add_co_u32 v1, s10, v1, v4
	s_delay_alu instid0(VALU_DEP_1)
	v_add_co_ci_u32_e64 v2, s10, 0, v2, s10
	global_store_b16 v[1:2], v3, off
.LBB199_45:
	s_or_b32 exec_lo, exec_lo, s11
	v_lshlrev_b32_e32 v1, 3, v14
	s_lshl_b64 s[10:11], s[30:31], 3
	v_lshlrev_b32_e32 v2, 3, v10
	s_add_u32 s10, s20, s10
	s_addc_u32 s11, s21, s11
	v_add_co_u32 v1, s10, s10, v1
	s_delay_alu instid0(VALU_DEP_1) | instskip(NEXT) | instid1(VALU_DEP_2)
	v_add_co_ci_u32_e64 v3, null, s11, 0, s10
                                        ; implicit-def: $vgpr6_vgpr7
	v_add_co_u32 v1, s10, v1, v2
	s_delay_alu instid0(VALU_DEP_1) | instskip(SKIP_1) | instid1(SALU_CYCLE_1)
	v_add_co_ci_u32_e64 v2, s10, 0, v3, s10
	s_and_saveexec_b32 s10, vcc_lo
	s_xor_b32 s10, exec_lo, s10
	s_cbranch_execnz .LBB199_99
; %bb.46:
	s_or_b32 exec_lo, exec_lo, s10
                                        ; implicit-def: $vgpr8_vgpr9
	s_and_saveexec_b32 s10, s2
	s_cbranch_execnz .LBB199_100
.LBB199_47:
	s_or_b32 exec_lo, exec_lo, s10
                                        ; implicit-def: $vgpr10_vgpr11
	s_and_saveexec_b32 s2, s3
	s_cbranch_execnz .LBB199_101
.LBB199_48:
	s_or_b32 exec_lo, exec_lo, s2
                                        ; implicit-def: $vgpr12_vgpr13
	s_and_saveexec_b32 s2, s4
	s_cbranch_execnz .LBB199_102
.LBB199_49:
	s_or_b32 exec_lo, exec_lo, s2
                                        ; implicit-def: $vgpr1_vgpr2_vgpr3_vgpr4
	s_and_saveexec_b32 s2, s6
	s_cbranch_execnz .LBB199_103
.LBB199_50:
	s_or_b32 exec_lo, exec_lo, s2
	s_and_saveexec_b32 s2, s7
	s_cbranch_execnz .LBB199_104
.LBB199_51:
	s_or_b32 exec_lo, exec_lo, s2
	s_and_saveexec_b32 s2, s8
	s_cbranch_execnz .LBB199_105
.LBB199_52:
	s_or_b32 exec_lo, exec_lo, s2
	s_and_saveexec_b32 s2, s9
	s_cbranch_execz .LBB199_54
.LBB199_53:
	ds_load_u16 v4, v24 offset:8192
	s_waitcnt lgkmcnt(0)
	v_cmp_ne_u16_e32 vcc_lo, 0x7fff, v4
	v_cndmask_b32_e32 v4, 0xffff8000, v4, vcc_lo
	s_delay_alu instid0(VALU_DEP_1) | instskip(NEXT) | instid1(VALU_DEP_1)
	v_and_b32_e32 v4, 0xffff, v4
	v_lshrrev_b32_e32 v4, s28, v4
	s_delay_alu instid0(VALU_DEP_1)
	v_and_b32_e32 v4, s33, v4
.LBB199_54:
	s_or_b32 exec_lo, exec_lo, s2
	v_lshlrev_b32_e32 v22, 3, v22
	v_lshlrev_b32_e32 v21, 3, v21
	;; [unrolled: 1-line block ×3, first 2 shown]
	s_waitcnt vmcnt(0)
	s_waitcnt_vscnt null, 0x0
	s_barrier
	buffer_gl0_inv
	v_lshlrev_b32_e32 v18, 3, v18
	ds_store_b64 v22, v[6:7] offset:2048
	ds_store_b64 v21, v[8:9] offset:2048
	;; [unrolled: 1-line block ×3, first 2 shown]
	v_lshlrev_b32_e32 v6, 3, v5
	ds_store_b64 v18, v[12:13] offset:2048
	s_waitcnt lgkmcnt(0)
	s_barrier
	buffer_gl0_inv
	s_and_saveexec_b32 s2, s6
	s_cbranch_execnz .LBB199_106
; %bb.55:
	s_or_b32 exec_lo, exec_lo, s2
	s_and_saveexec_b32 s2, s7
	s_cbranch_execnz .LBB199_107
.LBB199_56:
	s_or_b32 exec_lo, exec_lo, s2
	s_and_saveexec_b32 s2, s8
	s_cbranch_execnz .LBB199_108
.LBB199_57:
	s_or_b32 exec_lo, exec_lo, s2
	s_and_saveexec_b32 s2, s9
	s_cbranch_execz .LBB199_59
.LBB199_58:
	v_lshlrev_b32_e32 v1, 3, v4
	ds_load_b64 v[1:2], v1
	ds_load_b64 v[3:4], v6 offset:26624
	v_lshlrev_b32_e32 v6, 3, v23
	s_waitcnt lgkmcnt(1)
	v_lshlrev_b64 v[1:2], 3, v[1:2]
	s_delay_alu instid0(VALU_DEP_1) | instskip(NEXT) | instid1(VALU_DEP_2)
	v_add_co_u32 v1, vcc_lo, s22, v1
	v_add_co_ci_u32_e32 v2, vcc_lo, s23, v2, vcc_lo
	s_delay_alu instid0(VALU_DEP_2) | instskip(NEXT) | instid1(VALU_DEP_2)
	v_add_co_u32 v1, vcc_lo, v1, v6
	v_add_co_ci_u32_e32 v2, vcc_lo, 0, v2, vcc_lo
	s_waitcnt lgkmcnt(0)
	global_store_b64 v[1:2], v[3:4], off
.LBB199_59:
	s_or_b32 exec_lo, exec_lo, s2
	s_add_i32 s14, s14, -1
	s_mov_b32 s2, 0
	s_cmp_eq_u32 s15, s14
	s_mov_b32 s8, 0
	s_cselect_b32 s3, -1, 0
                                        ; implicit-def: $vgpr2_vgpr3
	s_delay_alu instid0(SALU_CYCLE_1) | instskip(NEXT) | instid1(SALU_CYCLE_1)
	s_and_b32 s3, s5, s3
	s_and_saveexec_b32 s4, s3
	s_delay_alu instid0(SALU_CYCLE_1)
	s_xor_b32 s3, exec_lo, s4
; %bb.60:
	v_add_co_u32 v2, s4, v15, v16
	v_mov_b32_e32 v6, 0
	v_add_co_ci_u32_e64 v3, null, 0, 0, s4
	s_mov_b32 s8, exec_lo
; %bb.61:
	s_or_b32 exec_lo, exec_lo, s3
	s_delay_alu instid0(SALU_CYCLE_1)
	s_and_b32 vcc_lo, exec_lo, s2
	s_cbranch_vccnz .LBB199_63
	s_branch .LBB199_96
.LBB199_62:
	s_mov_b32 s8, 0
                                        ; implicit-def: $vgpr2_vgpr3
	s_cbranch_execz .LBB199_96
.LBB199_63:
	v_lshlrev_b32_e32 v11, 2, v5
	s_lshl_b32 s6, s15, 12
	s_mov_b32 s7, 0
	v_lshlrev_b32_e32 v1, 1, v14
	s_lshl_b64 s[2:3], s[6:7], 1
	v_dual_mov_b32 v9, 0 :: v_dual_and_b32 v4, 0xf80, v11
	s_add_u32 s2, s16, s2
	s_addc_u32 s3, s17, s3
	v_add_co_u32 v1, s2, s2, v1
	s_delay_alu instid0(VALU_DEP_2) | instskip(SKIP_1) | instid1(VALU_DEP_2)
	v_lshlrev_b32_e32 v2, 1, v4
	v_add_co_ci_u32_e64 v3, null, s3, 0, s2
	v_add_co_u32 v6, vcc_lo, v1, v2
	s_delay_alu instid0(VALU_DEP_2)
	v_add_co_ci_u32_e32 v7, vcc_lo, 0, v3, vcc_lo
	global_load_u16 v8, v[6:7], off
	s_clause 0x1
	s_load_b32 s2, s[0:1], 0x5c
	s_load_b32 s9, s[0:1], 0x50
	s_add_u32 s0, s0, 0x50
	s_addc_u32 s1, s1, 0
	s_waitcnt lgkmcnt(0)
	s_lshr_b32 s2, s2, 16
	s_cmp_lt_u32 s15, s9
	s_cselect_b32 s3, 12, 18
	s_delay_alu instid0(SALU_CYCLE_1)
	s_add_u32 s0, s0, s3
	s_addc_u32 s1, s1, 0
	global_load_u16 v12, v9, s[0:1]
	s_clause 0x2
	global_load_u16 v3, v[6:7], off offset:64
	global_load_u16 v2, v[6:7], off offset:128
	;; [unrolled: 1-line block ×3, first 2 shown]
	s_lshl_b32 s0, -1, s29
	s_delay_alu instid0(SALU_CYCLE_1) | instskip(SKIP_3) | instid1(VALU_DEP_1)
	s_not_b32 s10, s0
	s_waitcnt vmcnt(4)
	v_cmp_lt_i16_e32 vcc_lo, -1, v8
	v_cndmask_b32_e64 v6, -1, 0xffff8000, vcc_lo
	v_xor_b32_e32 v10, v6, v8
	s_delay_alu instid0(VALU_DEP_1) | instskip(SKIP_1) | instid1(VALU_DEP_1)
	v_cmp_ne_u16_e32 vcc_lo, 0x7fff, v10
	v_cndmask_b32_e32 v6, 0xffff8000, v10, vcc_lo
	v_and_b32_e32 v6, 0xffff, v6
	s_delay_alu instid0(VALU_DEP_1) | instskip(NEXT) | instid1(VALU_DEP_1)
	v_lshrrev_b32_e32 v6, s28, v6
	v_and_b32_e32 v13, s10, v6
	v_bfe_u32 v6, v0, 10, 10
	v_bfe_u32 v0, v0, 20, 10
	s_delay_alu instid0(VALU_DEP_3)
	v_and_b32_e32 v7, 1, v13
	v_lshlrev_b32_e32 v8, 30, v13
	v_lshlrev_b32_e32 v15, 29, v13
	;; [unrolled: 1-line block ×4, first 2 shown]
	v_add_co_u32 v7, s0, v7, -1
	s_delay_alu instid0(VALU_DEP_1)
	v_cndmask_b32_e64 v17, 0, 1, s0
	v_not_b32_e32 v21, v8
	v_cmp_gt_i32_e64 s0, 0, v8
	v_not_b32_e32 v8, v15
	v_lshlrev_b32_e32 v19, 26, v13
	v_cmp_ne_u32_e32 vcc_lo, 0, v17
	v_ashrrev_i32_e32 v21, 31, v21
	v_lshlrev_b32_e32 v20, 25, v13
	v_ashrrev_i32_e32 v8, 31, v8
	v_lshlrev_b32_e32 v17, 24, v13
	v_xor_b32_e32 v7, vcc_lo, v7
	v_cmp_gt_i32_e32 vcc_lo, 0, v15
	v_not_b32_e32 v15, v16
	v_xor_b32_e32 v21, s0, v21
	v_cmp_gt_i32_e64 s0, 0, v16
	v_and_b32_e32 v7, exec_lo, v7
	v_not_b32_e32 v16, v18
	v_ashrrev_i32_e32 v15, 31, v15
	v_xor_b32_e32 v8, vcc_lo, v8
	v_cmp_gt_i32_e32 vcc_lo, 0, v18
	v_and_b32_e32 v7, v7, v21
	v_not_b32_e32 v18, v19
	v_ashrrev_i32_e32 v16, 31, v16
	v_xor_b32_e32 v15, s0, v15
	v_cmp_gt_i32_e64 s0, 0, v19
	v_and_b32_e32 v7, v7, v8
	v_not_b32_e32 v8, v20
	v_ashrrev_i32_e32 v18, 31, v18
	v_xor_b32_e32 v16, vcc_lo, v16
	v_cmp_gt_i32_e32 vcc_lo, 0, v20
	v_and_b32_e32 v7, v7, v15
	v_not_b32_e32 v15, v17
	v_ashrrev_i32_e32 v8, 31, v8
	v_xor_b32_e32 v18, s0, v18
	v_cmp_gt_i32_e64 s0, 0, v17
	v_and_b32_e32 v7, v7, v16
	v_ashrrev_i32_e32 v15, 31, v15
	v_xor_b32_e32 v8, vcc_lo, v8
	v_mad_u32_u24 v0, v0, s2, v6
	v_mul_u32_u24_e32 v16, 9, v5
	v_and_b32_e32 v7, v7, v18
	v_xor_b32_e32 v6, s0, v15
	s_delay_alu instid0(VALU_DEP_3) | instskip(NEXT) | instid1(VALU_DEP_3)
	v_lshlrev_b32_e32 v15, 2, v16
	v_and_b32_e32 v17, v7, v8
	s_waitcnt vmcnt(3)
	s_delay_alu instid0(VALU_DEP_3)
	v_mad_u64_u32 v[7:8], null, v0, v12, v[5:6]
	ds_store_2addr_b32 v15, v9, v9 offset0:32 offset1:33
	ds_store_2addr_b32 v15, v9, v9 offset0:34 offset1:35
	;; [unrolled: 1-line block ×4, first 2 shown]
	v_and_b32_e32 v6, v17, v6
	ds_store_b32 v15, v9 offset:160
	s_waitcnt vmcnt(0) lgkmcnt(0)
	s_waitcnt_vscnt null, 0x0
	s_barrier
	v_lshrrev_b32_e32 v0, 5, v7
	v_mbcnt_lo_u32_b32 v12, v6, 0
	v_mul_u32_u24_e32 v7, 33, v13
	v_cmp_ne_u32_e64 s0, 0, v6
	buffer_gl0_inv
	v_cmp_eq_u32_e32 vcc_lo, 0, v12
	v_add_lshl_u32 v16, v0, v7, 2
	; wave barrier
	s_and_b32 s1, s0, vcc_lo
	s_delay_alu instid0(SALU_CYCLE_1)
	s_and_saveexec_b32 s0, s1
	s_cbranch_execz .LBB199_65
; %bb.64:
	v_bcnt_u32_b32 v6, v6, 0
	ds_store_b32 v16, v6 offset:128
.LBB199_65:
	s_or_b32 exec_lo, exec_lo, s0
	v_cmp_lt_i16_e32 vcc_lo, -1, v3
	; wave barrier
	v_cndmask_b32_e64 v6, -1, 0xffff8000, vcc_lo
	s_delay_alu instid0(VALU_DEP_1) | instskip(NEXT) | instid1(VALU_DEP_1)
	v_xor_b32_e32 v13, v6, v3
	v_cmp_ne_u16_e32 vcc_lo, 0x7fff, v13
	v_cndmask_b32_e32 v3, 0xffff8000, v13, vcc_lo
	s_delay_alu instid0(VALU_DEP_1) | instskip(NEXT) | instid1(VALU_DEP_1)
	v_and_b32_e32 v3, 0xffff, v3
	v_lshrrev_b32_e32 v3, s28, v3
	s_delay_alu instid0(VALU_DEP_1) | instskip(NEXT) | instid1(VALU_DEP_1)
	v_and_b32_e32 v3, s10, v3
	v_and_b32_e32 v6, 1, v3
	v_lshlrev_b32_e32 v7, 30, v3
	v_lshlrev_b32_e32 v8, 29, v3
	;; [unrolled: 1-line block ×4, first 2 shown]
	v_add_co_u32 v6, s0, v6, -1
	s_delay_alu instid0(VALU_DEP_1)
	v_cndmask_b32_e64 v17, 0, 1, s0
	v_not_b32_e32 v21, v7
	v_cmp_gt_i32_e64 s0, 0, v7
	v_not_b32_e32 v7, v8
	v_lshlrev_b32_e32 v19, 26, v3
	v_cmp_ne_u32_e32 vcc_lo, 0, v17
	v_ashrrev_i32_e32 v21, 31, v21
	v_lshlrev_b32_e32 v20, 25, v3
	v_ashrrev_i32_e32 v7, 31, v7
	v_lshlrev_b32_e32 v17, 24, v3
	v_xor_b32_e32 v6, vcc_lo, v6
	v_cmp_gt_i32_e32 vcc_lo, 0, v8
	v_not_b32_e32 v8, v9
	v_xor_b32_e32 v21, s0, v21
	v_cmp_gt_i32_e64 s0, 0, v9
	v_and_b32_e32 v6, exec_lo, v6
	v_not_b32_e32 v9, v18
	v_ashrrev_i32_e32 v8, 31, v8
	v_xor_b32_e32 v7, vcc_lo, v7
	v_cmp_gt_i32_e32 vcc_lo, 0, v18
	v_and_b32_e32 v6, v6, v21
	v_not_b32_e32 v18, v19
	v_ashrrev_i32_e32 v9, 31, v9
	v_xor_b32_e32 v8, s0, v8
	v_cmp_gt_i32_e64 s0, 0, v19
	v_and_b32_e32 v6, v6, v7
	v_not_b32_e32 v7, v20
	v_ashrrev_i32_e32 v18, 31, v18
	v_xor_b32_e32 v9, vcc_lo, v9
	v_cmp_gt_i32_e32 vcc_lo, 0, v20
	v_and_b32_e32 v6, v6, v8
	v_not_b32_e32 v8, v17
	v_ashrrev_i32_e32 v7, 31, v7
	v_xor_b32_e32 v18, s0, v18
	v_mul_u32_u24_e32 v3, 33, v3
	v_and_b32_e32 v6, v6, v9
	v_cmp_gt_i32_e64 s0, 0, v17
	v_ashrrev_i32_e32 v8, 31, v8
	v_xor_b32_e32 v7, vcc_lo, v7
	v_add_lshl_u32 v20, v0, v3, 2
	v_and_b32_e32 v6, v6, v18
	s_delay_alu instid0(VALU_DEP_4) | instskip(SKIP_2) | instid1(VALU_DEP_1)
	v_xor_b32_e32 v3, s0, v8
	ds_load_b32 v17, v20 offset:128
	v_and_b32_e32 v6, v6, v7
	; wave barrier
	v_and_b32_e32 v3, v6, v3
	s_delay_alu instid0(VALU_DEP_1) | instskip(SKIP_1) | instid1(VALU_DEP_2)
	v_mbcnt_lo_u32_b32 v18, v3, 0
	v_cmp_ne_u32_e64 s0, 0, v3
	v_cmp_eq_u32_e32 vcc_lo, 0, v18
	s_delay_alu instid0(VALU_DEP_2) | instskip(NEXT) | instid1(SALU_CYCLE_1)
	s_and_b32 s1, s0, vcc_lo
	s_and_saveexec_b32 s0, s1
	s_cbranch_execz .LBB199_67
; %bb.66:
	s_waitcnt lgkmcnt(0)
	v_bcnt_u32_b32 v3, v3, v17
	ds_store_b32 v20, v3 offset:128
.LBB199_67:
	s_or_b32 exec_lo, exec_lo, s0
	v_cmp_lt_i16_e32 vcc_lo, -1, v2
	; wave barrier
	v_cndmask_b32_e64 v3, -1, 0xffff8000, vcc_lo
	s_delay_alu instid0(VALU_DEP_1) | instskip(NEXT) | instid1(VALU_DEP_1)
	v_xor_b32_e32 v19, v3, v2
	v_cmp_ne_u16_e32 vcc_lo, 0x7fff, v19
	v_cndmask_b32_e32 v2, 0xffff8000, v19, vcc_lo
	s_delay_alu instid0(VALU_DEP_1) | instskip(NEXT) | instid1(VALU_DEP_1)
	v_and_b32_e32 v2, 0xffff, v2
	v_lshrrev_b32_e32 v2, s28, v2
	s_delay_alu instid0(VALU_DEP_1) | instskip(NEXT) | instid1(VALU_DEP_1)
	v_and_b32_e32 v2, s10, v2
	v_and_b32_e32 v3, 1, v2
	v_lshlrev_b32_e32 v6, 30, v2
	v_lshlrev_b32_e32 v7, 29, v2
	v_lshlrev_b32_e32 v8, 28, v2
	v_lshlrev_b32_e32 v21, 27, v2
	v_add_co_u32 v3, s0, v3, -1
	s_delay_alu instid0(VALU_DEP_1)
	v_cndmask_b32_e64 v9, 0, 1, s0
	v_not_b32_e32 v24, v6
	v_cmp_gt_i32_e64 s0, 0, v6
	v_not_b32_e32 v6, v7
	v_lshlrev_b32_e32 v22, 26, v2
	v_cmp_ne_u32_e32 vcc_lo, 0, v9
	v_ashrrev_i32_e32 v24, 31, v24
	v_lshlrev_b32_e32 v23, 25, v2
	v_ashrrev_i32_e32 v6, 31, v6
	v_lshlrev_b32_e32 v9, 24, v2
	v_xor_b32_e32 v3, vcc_lo, v3
	v_cmp_gt_i32_e32 vcc_lo, 0, v7
	v_not_b32_e32 v7, v8
	v_xor_b32_e32 v24, s0, v24
	v_cmp_gt_i32_e64 s0, 0, v8
	v_and_b32_e32 v3, exec_lo, v3
	v_not_b32_e32 v8, v21
	v_ashrrev_i32_e32 v7, 31, v7
	v_xor_b32_e32 v6, vcc_lo, v6
	v_cmp_gt_i32_e32 vcc_lo, 0, v21
	v_and_b32_e32 v3, v3, v24
	v_not_b32_e32 v21, v22
	v_ashrrev_i32_e32 v8, 31, v8
	v_xor_b32_e32 v7, s0, v7
	v_cmp_gt_i32_e64 s0, 0, v22
	v_and_b32_e32 v3, v3, v6
	v_not_b32_e32 v6, v23
	v_ashrrev_i32_e32 v21, 31, v21
	v_xor_b32_e32 v8, vcc_lo, v8
	v_cmp_gt_i32_e32 vcc_lo, 0, v23
	v_and_b32_e32 v3, v3, v7
	v_not_b32_e32 v7, v9
	v_ashrrev_i32_e32 v6, 31, v6
	v_xor_b32_e32 v21, s0, v21
	v_mul_u32_u24_e32 v2, 33, v2
	v_and_b32_e32 v3, v3, v8
	v_cmp_gt_i32_e64 s0, 0, v9
	v_ashrrev_i32_e32 v7, 31, v7
	v_xor_b32_e32 v6, vcc_lo, v6
	v_add_lshl_u32 v24, v2, v0, 2
	v_and_b32_e32 v3, v3, v21
	s_delay_alu instid0(VALU_DEP_4) | instskip(SKIP_2) | instid1(VALU_DEP_1)
	v_xor_b32_e32 v2, s0, v7
	ds_load_b32 v21, v24 offset:128
	v_and_b32_e32 v3, v3, v6
	; wave barrier
	v_and_b32_e32 v2, v3, v2
	s_delay_alu instid0(VALU_DEP_1) | instskip(SKIP_1) | instid1(VALU_DEP_2)
	v_mbcnt_lo_u32_b32 v22, v2, 0
	v_cmp_ne_u32_e64 s0, 0, v2
	v_cmp_eq_u32_e32 vcc_lo, 0, v22
	s_delay_alu instid0(VALU_DEP_2) | instskip(NEXT) | instid1(SALU_CYCLE_1)
	s_and_b32 s1, s0, vcc_lo
	s_and_saveexec_b32 s0, s1
	s_cbranch_execz .LBB199_69
; %bb.68:
	s_waitcnt lgkmcnt(0)
	v_bcnt_u32_b32 v2, v2, v21
	ds_store_b32 v24, v2 offset:128
.LBB199_69:
	s_or_b32 exec_lo, exec_lo, s0
	v_cmp_lt_i16_e32 vcc_lo, -1, v1
	; wave barrier
	v_add_nc_u32_e32 v28, 0x80, v15
	v_cndmask_b32_e64 v2, -1, 0xffff8000, vcc_lo
	s_delay_alu instid0(VALU_DEP_1) | instskip(NEXT) | instid1(VALU_DEP_1)
	v_xor_b32_e32 v23, v2, v1
	v_cmp_ne_u16_e32 vcc_lo, 0x7fff, v23
	v_cndmask_b32_e32 v1, 0xffff8000, v23, vcc_lo
	s_delay_alu instid0(VALU_DEP_1) | instskip(NEXT) | instid1(VALU_DEP_1)
	v_and_b32_e32 v1, 0xffff, v1
	v_lshrrev_b32_e32 v1, s28, v1
	s_delay_alu instid0(VALU_DEP_1) | instskip(NEXT) | instid1(VALU_DEP_1)
	v_and_b32_e32 v1, s10, v1
	v_and_b32_e32 v2, 1, v1
	v_lshlrev_b32_e32 v3, 30, v1
	v_lshlrev_b32_e32 v6, 29, v1
	v_lshlrev_b32_e32 v7, 28, v1
	v_lshlrev_b32_e32 v9, 27, v1
	v_add_co_u32 v2, s0, v2, -1
	s_delay_alu instid0(VALU_DEP_1)
	v_cndmask_b32_e64 v8, 0, 1, s0
	v_not_b32_e32 v27, v3
	v_cmp_gt_i32_e64 s0, 0, v3
	v_not_b32_e32 v3, v6
	v_lshlrev_b32_e32 v25, 26, v1
	v_cmp_ne_u32_e32 vcc_lo, 0, v8
	v_ashrrev_i32_e32 v27, 31, v27
	v_lshlrev_b32_e32 v26, 25, v1
	v_ashrrev_i32_e32 v3, 31, v3
	v_lshlrev_b32_e32 v8, 24, v1
	v_xor_b32_e32 v2, vcc_lo, v2
	v_cmp_gt_i32_e32 vcc_lo, 0, v6
	v_not_b32_e32 v6, v7
	v_xor_b32_e32 v27, s0, v27
	v_cmp_gt_i32_e64 s0, 0, v7
	v_and_b32_e32 v2, exec_lo, v2
	v_not_b32_e32 v7, v9
	v_ashrrev_i32_e32 v6, 31, v6
	v_xor_b32_e32 v3, vcc_lo, v3
	v_cmp_gt_i32_e32 vcc_lo, 0, v9
	v_and_b32_e32 v2, v2, v27
	v_not_b32_e32 v9, v25
	v_ashrrev_i32_e32 v7, 31, v7
	v_xor_b32_e32 v6, s0, v6
	v_cmp_gt_i32_e64 s0, 0, v25
	v_and_b32_e32 v2, v2, v3
	v_not_b32_e32 v3, v26
	v_ashrrev_i32_e32 v9, 31, v9
	v_xor_b32_e32 v7, vcc_lo, v7
	v_cmp_gt_i32_e32 vcc_lo, 0, v26
	v_and_b32_e32 v2, v2, v6
	v_not_b32_e32 v6, v8
	v_ashrrev_i32_e32 v3, 31, v3
	v_xor_b32_e32 v9, s0, v9
	v_mul_u32_u24_e32 v1, 33, v1
	v_and_b32_e32 v2, v2, v7
	v_cmp_gt_i32_e64 s0, 0, v8
	v_ashrrev_i32_e32 v6, 31, v6
	v_xor_b32_e32 v3, vcc_lo, v3
	v_add_lshl_u32 v27, v1, v0, 2
	v_and_b32_e32 v2, v2, v9
	s_delay_alu instid0(VALU_DEP_4) | instskip(SKIP_2) | instid1(VALU_DEP_1)
	v_xor_b32_e32 v0, s0, v6
	ds_load_b32 v25, v27 offset:128
	v_and_b32_e32 v1, v2, v3
	; wave barrier
	v_and_b32_e32 v0, v1, v0
	s_delay_alu instid0(VALU_DEP_1) | instskip(SKIP_1) | instid1(VALU_DEP_2)
	v_mbcnt_lo_u32_b32 v26, v0, 0
	v_cmp_ne_u32_e64 s0, 0, v0
	v_cmp_eq_u32_e32 vcc_lo, 0, v26
	s_delay_alu instid0(VALU_DEP_2) | instskip(NEXT) | instid1(SALU_CYCLE_1)
	s_and_b32 s1, s0, vcc_lo
	s_and_saveexec_b32 s0, s1
	s_cbranch_execz .LBB199_71
; %bb.70:
	s_waitcnt lgkmcnt(0)
	v_bcnt_u32_b32 v0, v0, v25
	ds_store_b32 v27, v0 offset:128
.LBB199_71:
	s_or_b32 exec_lo, exec_lo, s0
	; wave barrier
	s_waitcnt lgkmcnt(0)
	s_barrier
	buffer_gl0_inv
	ds_load_2addr_b32 v[8:9], v15 offset0:32 offset1:33
	ds_load_2addr_b32 v[6:7], v28 offset0:2 offset1:3
	;; [unrolled: 1-line block ×4, first 2 shown]
	ds_load_b32 v29, v28 offset:32
	v_and_b32_e32 v32, 16, v14
	v_and_b32_e32 v33, 31, v5
	s_mov_b32 s5, exec_lo
	s_delay_alu instid0(VALU_DEP_2) | instskip(SKIP_3) | instid1(VALU_DEP_1)
	v_cmp_eq_u32_e64 s3, 0, v32
	s_waitcnt lgkmcnt(3)
	v_add3_u32 v30, v9, v8, v6
	s_waitcnt lgkmcnt(2)
	v_add3_u32 v30, v30, v7, v2
	s_waitcnt lgkmcnt(1)
	s_delay_alu instid0(VALU_DEP_1) | instskip(SKIP_1) | instid1(VALU_DEP_1)
	v_add3_u32 v30, v30, v3, v0
	s_waitcnt lgkmcnt(0)
	v_add3_u32 v29, v30, v1, v29
	v_and_b32_e32 v30, 15, v14
	s_delay_alu instid0(VALU_DEP_2) | instskip(NEXT) | instid1(VALU_DEP_2)
	v_mov_b32_dpp v31, v29 row_shr:1 row_mask:0xf bank_mask:0xf
	v_cmp_eq_u32_e32 vcc_lo, 0, v30
	v_cmp_lt_u32_e64 s0, 1, v30
	v_cmp_lt_u32_e64 s1, 3, v30
	;; [unrolled: 1-line block ×3, first 2 shown]
	v_cndmask_b32_e64 v31, v31, 0, vcc_lo
	s_delay_alu instid0(VALU_DEP_1) | instskip(NEXT) | instid1(VALU_DEP_1)
	v_add_nc_u32_e32 v29, v31, v29
	v_mov_b32_dpp v31, v29 row_shr:2 row_mask:0xf bank_mask:0xf
	s_delay_alu instid0(VALU_DEP_1) | instskip(NEXT) | instid1(VALU_DEP_1)
	v_cndmask_b32_e64 v31, 0, v31, s0
	v_add_nc_u32_e32 v29, v29, v31
	s_delay_alu instid0(VALU_DEP_1) | instskip(NEXT) | instid1(VALU_DEP_1)
	v_mov_b32_dpp v31, v29 row_shr:4 row_mask:0xf bank_mask:0xf
	v_cndmask_b32_e64 v31, 0, v31, s1
	s_delay_alu instid0(VALU_DEP_1) | instskip(NEXT) | instid1(VALU_DEP_1)
	v_add_nc_u32_e32 v29, v29, v31
	v_mov_b32_dpp v31, v29 row_shr:8 row_mask:0xf bank_mask:0xf
	s_delay_alu instid0(VALU_DEP_1) | instskip(SKIP_1) | instid1(VALU_DEP_2)
	v_cndmask_b32_e64 v30, 0, v31, s2
	v_bfe_i32 v31, v14, 4, 1
	v_add_nc_u32_e32 v29, v29, v30
	ds_swizzle_b32 v30, v29 offset:swizzle(BROADCAST,32,15)
	s_waitcnt lgkmcnt(0)
	v_and_b32_e32 v31, v31, v30
	v_lshrrev_b32_e32 v30, 5, v5
	s_delay_alu instid0(VALU_DEP_2)
	v_add_nc_u32_e32 v29, v29, v31
	v_cmpx_eq_u32_e32 31, v33
	s_cbranch_execz .LBB199_73
; %bb.72:
	s_delay_alu instid0(VALU_DEP_3)
	v_lshlrev_b32_e32 v31, 2, v30
	ds_store_b32 v31, v29
.LBB199_73:
	s_or_b32 exec_lo, exec_lo, s5
	v_cmp_lt_u32_e64 s4, 31, v5
	s_mov_b32 s11, exec_lo
	s_waitcnt lgkmcnt(0)
	s_barrier
	buffer_gl0_inv
	v_cmpx_gt_u32_e32 32, v5
	s_cbranch_execz .LBB199_75
; %bb.74:
	ds_load_b32 v31, v11
	s_waitcnt lgkmcnt(0)
	v_mov_b32_dpp v32, v31 row_shr:1 row_mask:0xf bank_mask:0xf
	s_delay_alu instid0(VALU_DEP_1) | instskip(NEXT) | instid1(VALU_DEP_1)
	v_cndmask_b32_e64 v32, v32, 0, vcc_lo
	v_add_nc_u32_e32 v31, v32, v31
	s_delay_alu instid0(VALU_DEP_1) | instskip(NEXT) | instid1(VALU_DEP_1)
	v_mov_b32_dpp v32, v31 row_shr:2 row_mask:0xf bank_mask:0xf
	v_cndmask_b32_e64 v32, 0, v32, s0
	s_delay_alu instid0(VALU_DEP_1) | instskip(NEXT) | instid1(VALU_DEP_1)
	v_add_nc_u32_e32 v31, v31, v32
	v_mov_b32_dpp v32, v31 row_shr:4 row_mask:0xf bank_mask:0xf
	s_delay_alu instid0(VALU_DEP_1) | instskip(NEXT) | instid1(VALU_DEP_1)
	v_cndmask_b32_e64 v32, 0, v32, s1
	v_add_nc_u32_e32 v31, v31, v32
	s_delay_alu instid0(VALU_DEP_1) | instskip(NEXT) | instid1(VALU_DEP_1)
	v_mov_b32_dpp v32, v31 row_shr:8 row_mask:0xf bank_mask:0xf
	v_cndmask_b32_e64 v32, 0, v32, s2
	s_delay_alu instid0(VALU_DEP_1) | instskip(SKIP_3) | instid1(VALU_DEP_1)
	v_add_nc_u32_e32 v31, v31, v32
	ds_swizzle_b32 v32, v31 offset:swizzle(BROADCAST,32,15)
	s_waitcnt lgkmcnt(0)
	v_cndmask_b32_e64 v32, v32, 0, s3
	v_add_nc_u32_e32 v31, v31, v32
	ds_store_b32 v11, v31
.LBB199_75:
	s_or_b32 exec_lo, exec_lo, s11
	v_mov_b32_e32 v11, 0
	s_waitcnt lgkmcnt(0)
	s_barrier
	buffer_gl0_inv
	s_and_saveexec_b32 s0, s4
	s_cbranch_execz .LBB199_77
; %bb.76:
	v_lshl_add_u32 v11, v30, 2, -4
	ds_load_b32 v11, v11
.LBB199_77:
	s_or_b32 exec_lo, exec_lo, s0
	v_add_nc_u32_e32 v30, -1, v14
	v_cmp_lt_u32_e64 s0, 0xff, v5
	s_waitcnt lgkmcnt(0)
	v_add_nc_u32_e32 v29, v11, v29
	s_delay_alu instid0(VALU_DEP_3) | instskip(SKIP_2) | instid1(VALU_DEP_2)
	v_cmp_gt_i32_e32 vcc_lo, 0, v30
	v_cndmask_b32_e32 v30, v30, v14, vcc_lo
	v_cmp_eq_u32_e32 vcc_lo, 0, v14
	v_lshlrev_b32_e32 v30, 2, v30
	ds_bpermute_b32 v29, v30, v29
	s_waitcnt lgkmcnt(0)
	v_cndmask_b32_e32 v11, v29, v11, vcc_lo
	v_cmp_ne_u32_e32 vcc_lo, 0, v5
	s_delay_alu instid0(VALU_DEP_2) | instskip(SKIP_1) | instid1(VALU_DEP_2)
	v_cndmask_b32_e32 v11, 0, v11, vcc_lo
	v_cmp_gt_u32_e32 vcc_lo, 0x100, v5
	v_add_nc_u32_e32 v8, v11, v8
	s_delay_alu instid0(VALU_DEP_1) | instskip(NEXT) | instid1(VALU_DEP_1)
	v_add_nc_u32_e32 v9, v8, v9
	v_add_nc_u32_e32 v6, v9, v6
	s_delay_alu instid0(VALU_DEP_1) | instskip(NEXT) | instid1(VALU_DEP_1)
	v_add_nc_u32_e32 v7, v6, v7
	;; [unrolled: 3-line block ×3, first 2 shown]
	v_add_nc_u32_e32 v0, v3, v0
	s_delay_alu instid0(VALU_DEP_1)
	v_add_nc_u32_e32 v1, v0, v1
	ds_store_2addr_b32 v15, v11, v8 offset0:32 offset1:33
	ds_store_2addr_b32 v28, v9, v6 offset0:2 offset1:3
	;; [unrolled: 1-line block ×4, first 2 shown]
	ds_store_b32 v28, v1 offset:32
	v_mov_b32_e32 v0, 0
	s_waitcnt lgkmcnt(0)
	s_barrier
	buffer_gl0_inv
	ds_load_b32 v2, v16 offset:128
	ds_load_b32 v3, v20 offset:128
	;; [unrolled: 1-line block ×4, first 2 shown]
	v_mov_b32_e32 v1, 0
                                        ; implicit-def: $vgpr11
	s_and_saveexec_b32 s2, vcc_lo
	s_cbranch_execz .LBB199_81
; %bb.78:
	v_mul_u32_u24_e32 v0, 33, v5
	s_mov_b32 s3, exec_lo
	s_delay_alu instid0(VALU_DEP_1)
	v_dual_mov_b32 v1, 0x1000 :: v_dual_lshlrev_b32 v8, 2, v0
	ds_load_b32 v0, v8 offset:128
	v_cmpx_ne_u32_e32 0xff, v5
	s_cbranch_execz .LBB199_80
; %bb.79:
	ds_load_b32 v1, v8 offset:260
.LBB199_80:
	s_or_b32 exec_lo, exec_lo, s3
	s_waitcnt lgkmcnt(0)
	v_sub_nc_u32_e32 v11, v1, v0
	v_mov_b32_e32 v1, 0
.LBB199_81:
	s_or_b32 exec_lo, exec_lo, s2
	s_waitcnt lgkmcnt(3)
	v_add_nc_u32_e32 v20, v2, v12
	s_waitcnt lgkmcnt(1)
	v_add3_u32 v15, v22, v21, v6
	v_add3_u32 v16, v18, v17, v3
	s_waitcnt lgkmcnt(0)
	v_add3_u32 v12, v26, v25, v7
	v_lshlrev_b32_e32 v2, 1, v20
	v_lshlrev_b32_e32 v6, 1, v15
	;; [unrolled: 1-line block ×3, first 2 shown]
	s_delay_alu instid0(VALU_DEP_4)
	v_lshlrev_b32_e32 v7, 1, v12
	s_barrier
	buffer_gl0_inv
	ds_store_b16 v2, v10 offset:2048
	ds_store_b16 v3, v13 offset:2048
	;; [unrolled: 1-line block ×4, first 2 shown]
	s_waitcnt lgkmcnt(0)
	s_barrier
	buffer_gl0_inv
	s_and_saveexec_b32 s1, s0
	s_delay_alu instid0(SALU_CYCLE_1)
	s_xor_b32 s0, exec_lo, s1
; %bb.82:
	v_mov_b32_e32 v6, 0
; %bb.83:
	s_and_not1_saveexec_b32 s1, s0
	s_cbranch_execz .LBB199_93
; %bb.84:
	v_lshl_or_b32 v6, s15, 8, v5
	v_dual_mov_b32 v7, 0 :: v_dual_mov_b32 v10, 0
	s_mov_b32 s2, 0
	s_mov_b32 s3, s15
	s_delay_alu instid0(VALU_DEP_1) | instskip(SKIP_1) | instid1(VALU_DEP_2)
	v_lshlrev_b64 v[2:3], 2, v[6:7]
	v_or_b32_e32 v6, 2.0, v11
	v_add_co_u32 v2, s0, s12, v2
	s_delay_alu instid0(VALU_DEP_1)
	v_add_co_ci_u32_e64 v3, s0, s13, v3, s0
                                        ; implicit-def: $sgpr0
	global_store_b32 v[2:3], v6, off
	s_branch .LBB199_87
	.p2align	6
.LBB199_85:                             ;   in Loop: Header=BB199_87 Depth=1
	s_or_b32 exec_lo, exec_lo, s5
.LBB199_86:                             ;   in Loop: Header=BB199_87 Depth=1
	s_delay_alu instid0(SALU_CYCLE_1) | instskip(SKIP_2) | instid1(VALU_DEP_2)
	s_or_b32 exec_lo, exec_lo, s4
	v_and_b32_e32 v8, 0x3fffffff, v13
	v_cmp_eq_u32_e64 s0, 0x80000000, v6
	v_add_nc_u32_e32 v10, v8, v10
	s_delay_alu instid0(VALU_DEP_2) | instskip(NEXT) | instid1(SALU_CYCLE_1)
	s_and_b32 s4, exec_lo, s0
	s_or_b32 s2, s4, s2
	s_delay_alu instid0(SALU_CYCLE_1)
	s_and_not1_b32 exec_lo, exec_lo, s2
	s_cbranch_execz .LBB199_92
.LBB199_87:                             ; =>This Loop Header: Depth=1
                                        ;     Child Loop BB199_90 Depth 2
	s_or_b32 s0, s0, exec_lo
	s_cmp_eq_u32 s3, 0
	s_cbranch_scc1 .LBB199_91
; %bb.88:                               ;   in Loop: Header=BB199_87 Depth=1
	s_add_i32 s3, s3, -1
	s_mov_b32 s4, exec_lo
	v_lshl_or_b32 v6, s3, 8, v5
	s_delay_alu instid0(VALU_DEP_1) | instskip(NEXT) | instid1(VALU_DEP_1)
	v_lshlrev_b64 v[8:9], 2, v[6:7]
	v_add_co_u32 v8, s0, s12, v8
	s_delay_alu instid0(VALU_DEP_1) | instskip(SKIP_3) | instid1(VALU_DEP_1)
	v_add_co_ci_u32_e64 v9, s0, s13, v9, s0
	global_load_b32 v13, v[8:9], off glc
	s_waitcnt vmcnt(0)
	v_and_b32_e32 v6, -2.0, v13
	v_cmpx_eq_u32_e32 0, v6
	s_cbranch_execz .LBB199_86
; %bb.89:                               ;   in Loop: Header=BB199_87 Depth=1
	s_mov_b32 s5, 0
.LBB199_90:                             ;   Parent Loop BB199_87 Depth=1
                                        ; =>  This Inner Loop Header: Depth=2
	global_load_b32 v13, v[8:9], off glc
	s_waitcnt vmcnt(0)
	v_and_b32_e32 v6, -2.0, v13
	s_delay_alu instid0(VALU_DEP_1) | instskip(NEXT) | instid1(VALU_DEP_1)
	v_cmp_ne_u32_e64 s0, 0, v6
	s_or_b32 s5, s0, s5
	s_delay_alu instid0(SALU_CYCLE_1)
	s_and_not1_b32 exec_lo, exec_lo, s5
	s_cbranch_execnz .LBB199_90
	s_branch .LBB199_85
.LBB199_91:                             ;   in Loop: Header=BB199_87 Depth=1
                                        ; implicit-def: $sgpr3
	s_and_b32 s4, exec_lo, s0
	s_delay_alu instid0(SALU_CYCLE_1) | instskip(NEXT) | instid1(SALU_CYCLE_1)
	s_or_b32 s2, s4, s2
	s_and_not1_b32 exec_lo, exec_lo, s2
	s_cbranch_execnz .LBB199_87
.LBB199_92:
	s_or_b32 exec_lo, exec_lo, s2
	v_add_nc_u32_e32 v6, v10, v11
	v_lshlrev_b32_e32 v7, 3, v5
	s_delay_alu instid0(VALU_DEP_2) | instskip(SKIP_3) | instid1(VALU_DEP_1)
	v_or_b32_e32 v6, 0x80000000, v6
	global_store_b32 v[2:3], v6, off
	global_load_b64 v[2:3], v7, s[24:25]
	v_sub_co_u32 v6, s0, v10, v0
	v_sub_co_ci_u32_e64 v8, s0, 0, v1, s0
	s_waitcnt vmcnt(0)
	s_delay_alu instid0(VALU_DEP_2) | instskip(SKIP_1) | instid1(VALU_DEP_3)
	v_add_co_u32 v2, s0, v6, v2
	v_mov_b32_e32 v6, 0
	v_add_co_ci_u32_e64 v3, s0, v8, v3, s0
	ds_store_b64 v7, v[2:3]
.LBB199_93:
	s_or_b32 exec_lo, exec_lo, s1
	v_lshlrev_b32_e32 v19, 1, v5
	s_waitcnt lgkmcnt(0)
	s_waitcnt_vscnt null, 0x0
	s_barrier
	buffer_gl0_inv
	v_lshlrev_b32_e32 v21, 1, v5
	ds_load_u16 v13, v19 offset:8192
	ds_load_u16 v22, v21 offset:2048
	;; [unrolled: 1-line block ×3, first 2 shown]
	v_lshlrev_b32_e32 v14, 3, v14
	s_lshl_b64 s[2:3], s[6:7], 3
	v_lshlrev_b64 v[17:18], 1, v[5:6]
	s_add_u32 s1, s20, s2
	s_addc_u32 s2, s21, s3
	v_or_b32_e32 v29, 0xc00, v5
	v_or_b32_e32 v28, 0x800, v5
	v_lshlrev_b32_e32 v4, 3, v4
	v_lshlrev_b32_e32 v16, 3, v16
	;; [unrolled: 1-line block ×6, first 2 shown]
	s_add_i32 s9, s9, -1
	s_delay_alu instid0(SALU_CYCLE_1) | instskip(SKIP_2) | instid1(VALU_DEP_1)
	s_cmp_eq_u32 s15, s9
	s_waitcnt lgkmcnt(2)
	v_cmp_ne_u16_e64 s0, 0x7fff, v13
	v_cndmask_b32_e64 v2, 0xffff8000, v13, s0
	s_waitcnt lgkmcnt(1)
	v_cmp_ne_u16_e64 s0, 0x7fff, v22
	s_delay_alu instid0(VALU_DEP_2) | instskip(NEXT) | instid1(VALU_DEP_2)
	v_and_b32_e32 v2, 0xffff, v2
	v_cndmask_b32_e64 v3, 0xffff8000, v22, s0
	s_waitcnt lgkmcnt(0)
	v_cmp_ne_u16_e64 s0, 0x7fff, v23
	s_delay_alu instid0(VALU_DEP_3) | instskip(NEXT) | instid1(VALU_DEP_3)
	v_lshrrev_b32_e32 v2, s28, v2
	v_and_b32_e32 v3, 0xffff, v3
	s_delay_alu instid0(VALU_DEP_3) | instskip(NEXT) | instid1(VALU_DEP_3)
	v_cndmask_b32_e64 v7, 0xffff8000, v23, s0
	v_and_b32_e32 v2, s10, v2
	s_delay_alu instid0(VALU_DEP_3) | instskip(NEXT) | instid1(VALU_DEP_3)
	v_lshrrev_b32_e32 v8, s28, v3
	v_and_b32_e32 v7, 0xffff, v7
	s_delay_alu instid0(VALU_DEP_3) | instskip(NEXT) | instid1(VALU_DEP_3)
	v_lshlrev_b32_e32 v24, 3, v2
	v_and_b32_e32 v8, s10, v8
	s_delay_alu instid0(VALU_DEP_3) | instskip(SKIP_4) | instid1(VALU_DEP_1)
	v_lshrrev_b32_e32 v7, s28, v7
	ds_load_b64 v[2:3], v24
	ds_load_u16 v25, v19 offset:6144
	v_lshlrev_b32_e32 v27, 3, v8
	v_and_b32_e32 v7, s10, v7
	v_lshlrev_b32_e32 v26, 3, v7
	ds_load_b64 v[7:8], v26
	ds_load_b64 v[9:10], v27
	s_waitcnt lgkmcnt(3)
	v_lshlrev_b64 v[2:3], 1, v[2:3]
	s_waitcnt lgkmcnt(2)
	v_cmp_ne_u16_e64 s0, 0x7fff, v25
	s_delay_alu instid0(VALU_DEP_1) | instskip(SKIP_1) | instid1(VALU_DEP_2)
	v_cndmask_b32_e64 v30, 0xffff8000, v25, s0
	v_cmp_lt_i16_e64 s0, -1, v22
	v_and_b32_e32 v30, 0xffff, v30
	s_delay_alu instid0(VALU_DEP_2)
	v_cndmask_b32_e64 v33, 0xffff8000, -1, s0
	v_cmp_lt_i16_e64 s0, -1, v23
	s_waitcnt lgkmcnt(0)
	v_lshlrev_b64 v[9:10], 1, v[9:10]
	v_lshlrev_b64 v[7:8], 1, v[7:8]
	v_lshrrev_b32_e32 v30, s28, v30
	v_xor_b32_e32 v22, v33, v22
	v_cndmask_b32_e64 v34, 0xffff8000, -1, s0
	v_cmp_lt_i16_e64 s0, -1, v13
	s_delay_alu instid0(VALU_DEP_4) | instskip(NEXT) | instid1(VALU_DEP_3)
	v_and_b32_e32 v30, s10, v30
	v_xor_b32_e32 v23, v34, v23
	s_delay_alu instid0(VALU_DEP_3) | instskip(SKIP_1) | instid1(VALU_DEP_4)
	v_cndmask_b32_e64 v35, 0xffff8000, -1, s0
	v_add_co_u32 v36, s0, s1, v14
	v_lshlrev_b32_e32 v30, 3, v30
	v_add_co_ci_u32_e64 v37, null, s2, 0, s0
	s_delay_alu instid0(VALU_DEP_4) | instskip(SKIP_3) | instid1(SALU_CYCLE_1)
	v_xor_b32_e32 v33, v35, v13
	v_cmp_lt_i16_e64 s0, -1, v25
	ds_load_b64 v[13:14], v30
	s_cselect_b32 s1, -1, 0
	s_and_b32 s1, vcc_lo, s1
	v_cndmask_b32_e64 v34, 0xffff8000, -1, s0
	v_add_co_u32 v9, s0, s18, v9
	s_delay_alu instid0(VALU_DEP_1) | instskip(NEXT) | instid1(VALU_DEP_3)
	v_add_co_ci_u32_e64 v10, s0, s19, v10, s0
	v_xor_b32_e32 v25, v34, v25
	v_add_co_u32 v34, s0, s18, v7
	s_delay_alu instid0(VALU_DEP_1) | instskip(SKIP_1) | instid1(VALU_DEP_1)
	v_add_co_ci_u32_e64 v35, s0, s19, v8, s0
	v_add_co_u32 v38, s0, s18, v2
	v_add_co_ci_u32_e64 v39, s0, s19, v3, s0
	v_add_co_u32 v2, s0, v9, v17
	s_waitcnt lgkmcnt(0)
	v_lshlrev_b64 v[7:8], 1, v[13:14]
	v_add_co_ci_u32_e64 v3, s0, v10, v18, s0
	v_add_co_u32 v9, s0, v34, v17
	s_delay_alu instid0(VALU_DEP_1) | instskip(NEXT) | instid1(VALU_DEP_4)
	v_add_co_ci_u32_e64 v10, s0, v35, v18, s0
	v_add_co_u32 v13, s0, s18, v7
	s_delay_alu instid0(VALU_DEP_1) | instskip(SKIP_1) | instid1(VALU_DEP_1)
	v_add_co_ci_u32_e64 v14, s0, s19, v8, s0
	v_add_co_u32 v7, s0, v38, v32
	v_add_co_ci_u32_e64 v8, s0, 0, v39, s0
	s_delay_alu instid0(VALU_DEP_4) | instskip(NEXT) | instid1(VALU_DEP_1)
	v_add_co_u32 v13, s0, v13, v31
	v_add_co_ci_u32_e64 v14, s0, 0, v14, s0
	v_add_co_u32 v17, s0, v36, v4
	s_delay_alu instid0(VALU_DEP_1)
	v_add_co_ci_u32_e64 v18, s0, 0, v37, s0
	s_clause 0x3
	global_store_b16 v[2:3], v22, off
	global_store_b16 v[9:10], v23, off offset:2048
	global_store_b16 v[13:14], v25, off
	global_store_b16 v[7:8], v33, off
	s_clause 0x3
	global_load_b64 v[2:3], v[17:18], off
	global_load_b64 v[7:8], v[17:18], off offset:256
	global_load_b64 v[9:10], v[17:18], off offset:512
	;; [unrolled: 1-line block ×3, first 2 shown]
	v_lshlrev_b32_e32 v4, 3, v20
	s_waitcnt vmcnt(0)
	s_waitcnt_vscnt null, 0x0
	s_barrier
	buffer_gl0_inv
	v_mad_i32_i24 v20, v5, 6, v21
	v_lshlrev_b32_e32 v25, 3, v28
	ds_store_b64 v4, v[2:3] offset:2048
	ds_store_b64 v16, v[7:8] offset:2048
	;; [unrolled: 1-line block ×4, first 2 shown]
	s_waitcnt lgkmcnt(0)
	s_barrier
	buffer_gl0_inv
	ds_load_b64 v[2:3], v27
	ds_load_b64 v[12:13], v26
	;; [unrolled: 1-line block ×4, first 2 shown]
	v_or_b32_e32 v4, 0x800, v19
	v_lshlrev_b64 v[18:19], 3, v[5:6]
	v_lshl_or_b32 v24, v5, 3, 0x2000
	v_lshlrev_b32_e32 v26, 3, v29
	s_delay_alu instid0(VALU_DEP_4)
	v_mad_u32_u24 v4, v5, 6, v4
	ds_load_2addr_stride64_b64 v[7:10], v4 offset0:16 offset1:32
	ds_load_b64 v[20:21], v20 offset:2048
	ds_load_b64 v[22:23], v4 offset:24576
	s_waitcnt lgkmcnt(6)
	v_lshlrev_b64 v[2:3], 3, v[2:3]
	s_waitcnt lgkmcnt(5)
	v_lshlrev_b64 v[12:13], 3, v[12:13]
	;; [unrolled: 2-line block ×4, first 2 shown]
	v_add_co_u32 v2, s0, s22, v2
	s_delay_alu instid0(VALU_DEP_1) | instskip(SKIP_1) | instid1(VALU_DEP_1)
	v_add_co_ci_u32_e64 v3, s0, s23, v3, s0
	v_add_co_u32 v4, s0, s22, v12
	v_add_co_ci_u32_e64 v13, s0, s23, v13, s0
	v_add_co_u32 v14, s0, s22, v14
	s_delay_alu instid0(VALU_DEP_1) | instskip(SKIP_1) | instid1(VALU_DEP_1)
	v_add_co_ci_u32_e64 v15, s0, s23, v15, s0
	v_add_co_u32 v16, s0, s22, v16
	v_add_co_ci_u32_e64 v17, s0, s23, v17, s0
	;; [unrolled: 5-line block ×4, first 2 shown]
	s_waitcnt lgkmcnt(1)
	s_clause 0x2
	global_store_b64 v[2:3], v[20:21], off
	global_store_b64 v[12:13], v[7:8], off
	;; [unrolled: 1-line block ×3, first 2 shown]
	s_waitcnt lgkmcnt(0)
	global_store_b64 v[16:17], v[22:23], off
                                        ; implicit-def: $vgpr2_vgpr3
	s_and_saveexec_b32 s0, s1
; %bb.94:
	v_add_co_u32 v2, vcc_lo, v0, v11
	v_add_co_ci_u32_e32 v3, vcc_lo, 0, v1, vcc_lo
	s_or_b32 s8, s8, exec_lo
; %bb.95:
	s_or_b32 exec_lo, exec_lo, s0
.LBB199_96:
	s_and_saveexec_b32 s0, s8
	s_cbranch_execnz .LBB199_98
; %bb.97:
	s_nop 0
	s_sendmsg sendmsg(MSG_DEALLOC_VGPRS)
	s_endpgm
.LBB199_98:
	v_lshlrev_b32_e32 v0, 3, v5
	v_lshlrev_b64 v[4:5], 3, v[5:6]
	ds_load_b64 v[0:1], v0
	v_add_co_u32 v4, vcc_lo, s26, v4
	v_add_co_ci_u32_e32 v5, vcc_lo, s27, v5, vcc_lo
	s_waitcnt lgkmcnt(0)
	v_add_co_u32 v0, vcc_lo, v0, v2
	v_add_co_ci_u32_e32 v1, vcc_lo, v1, v3, vcc_lo
	global_store_b64 v[4:5], v[0:1], off
	s_nop 0
	s_sendmsg sendmsg(MSG_DEALLOC_VGPRS)
	s_endpgm
.LBB199_99:
	global_load_b64 v[6:7], v[1:2], off
	s_or_b32 exec_lo, exec_lo, s10
                                        ; implicit-def: $vgpr8_vgpr9
	s_and_saveexec_b32 s10, s2
	s_cbranch_execz .LBB199_47
.LBB199_100:
	global_load_b64 v[8:9], v[1:2], off offset:256
	s_or_b32 exec_lo, exec_lo, s10
                                        ; implicit-def: $vgpr10_vgpr11
	s_and_saveexec_b32 s2, s3
	s_cbranch_execz .LBB199_48
.LBB199_101:
	global_load_b64 v[10:11], v[1:2], off offset:512
	s_or_b32 exec_lo, exec_lo, s2
                                        ; implicit-def: $vgpr12_vgpr13
	s_and_saveexec_b32 s2, s4
	s_cbranch_execz .LBB199_49
.LBB199_102:
	global_load_b64 v[12:13], v[1:2], off offset:768
	s_or_b32 exec_lo, exec_lo, s2
                                        ; implicit-def: $vgpr1_vgpr2_vgpr3_vgpr4
	s_and_saveexec_b32 s2, s6
	s_cbranch_execz .LBB199_50
.LBB199_103:
	ds_load_u16 v1, v24 offset:2048
	s_waitcnt lgkmcnt(0)
	v_cmp_ne_u16_e32 vcc_lo, 0x7fff, v1
	v_cndmask_b32_e32 v1, 0xffff8000, v1, vcc_lo
	s_delay_alu instid0(VALU_DEP_1) | instskip(NEXT) | instid1(VALU_DEP_1)
	v_and_b32_e32 v1, 0xffff, v1
	v_lshrrev_b32_e32 v1, s28, v1
	s_delay_alu instid0(VALU_DEP_1)
	v_and_b32_e32 v1, s33, v1
	s_or_b32 exec_lo, exec_lo, s2
	s_and_saveexec_b32 s2, s7
	s_cbranch_execz .LBB199_51
.LBB199_104:
	ds_load_u16 v2, v24 offset:4096
	s_waitcnt lgkmcnt(0)
	v_cmp_ne_u16_e32 vcc_lo, 0x7fff, v2
	v_cndmask_b32_e32 v2, 0xffff8000, v2, vcc_lo
	s_delay_alu instid0(VALU_DEP_1) | instskip(NEXT) | instid1(VALU_DEP_1)
	v_and_b32_e32 v2, 0xffff, v2
	v_lshrrev_b32_e32 v2, s28, v2
	s_delay_alu instid0(VALU_DEP_1)
	v_and_b32_e32 v2, s33, v2
	s_or_b32 exec_lo, exec_lo, s2
	s_and_saveexec_b32 s2, s8
	s_cbranch_execz .LBB199_52
.LBB199_105:
	ds_load_u16 v3, v24 offset:6144
	s_waitcnt lgkmcnt(0)
	v_cmp_ne_u16_e32 vcc_lo, 0x7fff, v3
	v_cndmask_b32_e32 v3, 0xffff8000, v3, vcc_lo
	s_delay_alu instid0(VALU_DEP_1) | instskip(NEXT) | instid1(VALU_DEP_1)
	v_and_b32_e32 v3, 0xffff, v3
	v_lshrrev_b32_e32 v3, s28, v3
	s_delay_alu instid0(VALU_DEP_1)
	v_and_b32_e32 v3, s33, v3
	s_or_b32 exec_lo, exec_lo, s2
	s_and_saveexec_b32 s2, s9
	s_cbranch_execnz .LBB199_53
	s_branch .LBB199_54
.LBB199_106:
	v_lshlrev_b32_e32 v1, 3, v1
	ds_load_b64 v[7:8], v1
	ds_load_b64 v[9:10], v6 offset:2048
	s_waitcnt lgkmcnt(1)
	v_lshlrev_b64 v[7:8], 3, v[7:8]
	s_delay_alu instid0(VALU_DEP_1) | instskip(NEXT) | instid1(VALU_DEP_2)
	v_add_co_u32 v1, vcc_lo, s22, v7
	v_add_co_ci_u32_e32 v8, vcc_lo, s23, v8, vcc_lo
	s_delay_alu instid0(VALU_DEP_2) | instskip(NEXT) | instid1(VALU_DEP_2)
	v_add_co_u32 v7, vcc_lo, v1, v6
	v_add_co_ci_u32_e32 v8, vcc_lo, 0, v8, vcc_lo
	s_waitcnt lgkmcnt(0)
	global_store_b64 v[7:8], v[9:10], off
	s_or_b32 exec_lo, exec_lo, s2
	s_and_saveexec_b32 s2, s7
	s_cbranch_execz .LBB199_56
.LBB199_107:
	v_lshlrev_b32_e32 v1, 3, v2
	v_lshlrev_b32_e32 v9, 3, v17
	ds_load_b64 v[1:2], v1
	ds_load_b64 v[7:8], v6 offset:10240
	s_waitcnt lgkmcnt(1)
	v_lshlrev_b64 v[1:2], 3, v[1:2]
	s_delay_alu instid0(VALU_DEP_1) | instskip(NEXT) | instid1(VALU_DEP_2)
	v_add_co_u32 v1, vcc_lo, s22, v1
	v_add_co_ci_u32_e32 v2, vcc_lo, s23, v2, vcc_lo
	s_delay_alu instid0(VALU_DEP_2) | instskip(NEXT) | instid1(VALU_DEP_2)
	v_add_co_u32 v1, vcc_lo, v1, v9
	v_add_co_ci_u32_e32 v2, vcc_lo, 0, v2, vcc_lo
	s_waitcnt lgkmcnt(0)
	global_store_b64 v[1:2], v[7:8], off
	s_or_b32 exec_lo, exec_lo, s2
	s_and_saveexec_b32 s2, s8
	s_cbranch_execz .LBB199_57
.LBB199_108:
	v_lshlrev_b32_e32 v1, 3, v3
	v_lshlrev_b32_e32 v3, 3, v20
	ds_load_b64 v[1:2], v1
	ds_load_b64 v[7:8], v6 offset:18432
	s_waitcnt lgkmcnt(1)
	v_lshlrev_b64 v[1:2], 3, v[1:2]
	s_delay_alu instid0(VALU_DEP_1) | instskip(NEXT) | instid1(VALU_DEP_2)
	v_add_co_u32 v1, vcc_lo, s22, v1
	v_add_co_ci_u32_e32 v2, vcc_lo, s23, v2, vcc_lo
	s_delay_alu instid0(VALU_DEP_2) | instskip(NEXT) | instid1(VALU_DEP_2)
	v_add_co_u32 v1, vcc_lo, v1, v3
	v_add_co_ci_u32_e32 v2, vcc_lo, 0, v2, vcc_lo
	s_waitcnt lgkmcnt(0)
	global_store_b64 v[1:2], v[7:8], off
	s_or_b32 exec_lo, exec_lo, s2
	s_and_saveexec_b32 s2, s9
	s_cbranch_execnz .LBB199_58
	s_branch .LBB199_59
	.section	.rodata,"a",@progbits
	.p2align	6, 0x0
	.amdhsa_kernel _ZN7rocprim17ROCPRIM_304000_NS6detail25onesweep_iteration_kernelINS1_34wrapped_radix_sort_onesweep_configINS0_14default_configE6__halfN2at4cuda3cub6detail10OpaqueTypeILi8EEEEELb0EPS5_SD_PSB_SE_mNS0_19identity_decomposerEEEvT1_T2_T3_T4_jPT5_SL_PNS1_23onesweep_lookback_stateET6_jjj
		.amdhsa_group_segment_fixed_size 36992
		.amdhsa_private_segment_fixed_size 0
		.amdhsa_kernarg_size 336
		.amdhsa_user_sgpr_count 15
		.amdhsa_user_sgpr_dispatch_ptr 0
		.amdhsa_user_sgpr_queue_ptr 0
		.amdhsa_user_sgpr_kernarg_segment_ptr 1
		.amdhsa_user_sgpr_dispatch_id 0
		.amdhsa_user_sgpr_private_segment_size 0
		.amdhsa_wavefront_size32 1
		.amdhsa_uses_dynamic_stack 0
		.amdhsa_enable_private_segment 0
		.amdhsa_system_sgpr_workgroup_id_x 1
		.amdhsa_system_sgpr_workgroup_id_y 0
		.amdhsa_system_sgpr_workgroup_id_z 0
		.amdhsa_system_sgpr_workgroup_info 0
		.amdhsa_system_vgpr_workitem_id 2
		.amdhsa_next_free_vgpr 40
		.amdhsa_next_free_sgpr 36
		.amdhsa_reserve_vcc 1
		.amdhsa_float_round_mode_32 0
		.amdhsa_float_round_mode_16_64 0
		.amdhsa_float_denorm_mode_32 3
		.amdhsa_float_denorm_mode_16_64 3
		.amdhsa_dx10_clamp 1
		.amdhsa_ieee_mode 1
		.amdhsa_fp16_overflow 0
		.amdhsa_workgroup_processor_mode 1
		.amdhsa_memory_ordered 1
		.amdhsa_forward_progress 0
		.amdhsa_shared_vgpr_count 0
		.amdhsa_exception_fp_ieee_invalid_op 0
		.amdhsa_exception_fp_denorm_src 0
		.amdhsa_exception_fp_ieee_div_zero 0
		.amdhsa_exception_fp_ieee_overflow 0
		.amdhsa_exception_fp_ieee_underflow 0
		.amdhsa_exception_fp_ieee_inexact 0
		.amdhsa_exception_int_div_zero 0
	.end_amdhsa_kernel
	.section	.text._ZN7rocprim17ROCPRIM_304000_NS6detail25onesweep_iteration_kernelINS1_34wrapped_radix_sort_onesweep_configINS0_14default_configE6__halfN2at4cuda3cub6detail10OpaqueTypeILi8EEEEELb0EPS5_SD_PSB_SE_mNS0_19identity_decomposerEEEvT1_T2_T3_T4_jPT5_SL_PNS1_23onesweep_lookback_stateET6_jjj,"axG",@progbits,_ZN7rocprim17ROCPRIM_304000_NS6detail25onesweep_iteration_kernelINS1_34wrapped_radix_sort_onesweep_configINS0_14default_configE6__halfN2at4cuda3cub6detail10OpaqueTypeILi8EEEEELb0EPS5_SD_PSB_SE_mNS0_19identity_decomposerEEEvT1_T2_T3_T4_jPT5_SL_PNS1_23onesweep_lookback_stateET6_jjj,comdat
.Lfunc_end199:
	.size	_ZN7rocprim17ROCPRIM_304000_NS6detail25onesweep_iteration_kernelINS1_34wrapped_radix_sort_onesweep_configINS0_14default_configE6__halfN2at4cuda3cub6detail10OpaqueTypeILi8EEEEELb0EPS5_SD_PSB_SE_mNS0_19identity_decomposerEEEvT1_T2_T3_T4_jPT5_SL_PNS1_23onesweep_lookback_stateET6_jjj, .Lfunc_end199-_ZN7rocprim17ROCPRIM_304000_NS6detail25onesweep_iteration_kernelINS1_34wrapped_radix_sort_onesweep_configINS0_14default_configE6__halfN2at4cuda3cub6detail10OpaqueTypeILi8EEEEELb0EPS5_SD_PSB_SE_mNS0_19identity_decomposerEEEvT1_T2_T3_T4_jPT5_SL_PNS1_23onesweep_lookback_stateET6_jjj
                                        ; -- End function
	.section	.AMDGPU.csdata,"",@progbits
; Kernel info:
; codeLenInByte = 9952
; NumSgprs: 38
; NumVgprs: 40
; ScratchSize: 0
; MemoryBound: 0
; FloatMode: 240
; IeeeMode: 1
; LDSByteSize: 36992 bytes/workgroup (compile time only)
; SGPRBlocks: 4
; VGPRBlocks: 4
; NumSGPRsForWavesPerEU: 38
; NumVGPRsForWavesPerEU: 40
; Occupancy: 16
; WaveLimiterHint : 1
; COMPUTE_PGM_RSRC2:SCRATCH_EN: 0
; COMPUTE_PGM_RSRC2:USER_SGPR: 15
; COMPUTE_PGM_RSRC2:TRAP_HANDLER: 0
; COMPUTE_PGM_RSRC2:TGID_X_EN: 1
; COMPUTE_PGM_RSRC2:TGID_Y_EN: 0
; COMPUTE_PGM_RSRC2:TGID_Z_EN: 0
; COMPUTE_PGM_RSRC2:TIDIG_COMP_CNT: 2
	.text
	.p2alignl 7, 3214868480
	.fill 96, 4, 3214868480
	.type	__hip_cuid_49e122aff5f74e32,@object ; @__hip_cuid_49e122aff5f74e32
	.section	.bss,"aw",@nobits
	.globl	__hip_cuid_49e122aff5f74e32
__hip_cuid_49e122aff5f74e32:
	.byte	0                               ; 0x0
	.size	__hip_cuid_49e122aff5f74e32, 1

	.ident	"AMD clang version 19.0.0git (https://github.com/RadeonOpenCompute/llvm-project roc-6.4.0 25133 c7fe45cf4b819c5991fe208aaa96edf142730f1d)"
	.section	".note.GNU-stack","",@progbits
	.addrsig
	.addrsig_sym __hip_cuid_49e122aff5f74e32
	.amdgpu_metadata
---
amdhsa.kernels:
  - .args:
      - .address_space:  global
        .offset:         0
        .size:           8
        .value_kind:     global_buffer
      - .address_space:  global
        .offset:         8
        .size:           8
        .value_kind:     global_buffer
      - .address_space:  global
        .offset:         16
        .size:           8
        .value_kind:     global_buffer
      - .address_space:  global
        .offset:         24
        .size:           8
        .value_kind:     global_buffer
      - .offset:         32
        .size:           4
        .value_kind:     by_value
      - .offset:         36
        .size:           1
        .value_kind:     by_value
      - .offset:         40
        .size:           4
        .value_kind:     by_value
      - .offset:         44
        .size:           4
        .value_kind:     by_value
      - .offset:         48
        .size:           4
        .value_kind:     hidden_block_count_x
      - .offset:         52
        .size:           4
        .value_kind:     hidden_block_count_y
      - .offset:         56
        .size:           4
        .value_kind:     hidden_block_count_z
      - .offset:         60
        .size:           2
        .value_kind:     hidden_group_size_x
      - .offset:         62
        .size:           2
        .value_kind:     hidden_group_size_y
      - .offset:         64
        .size:           2
        .value_kind:     hidden_group_size_z
      - .offset:         66
        .size:           2
        .value_kind:     hidden_remainder_x
      - .offset:         68
        .size:           2
        .value_kind:     hidden_remainder_y
      - .offset:         70
        .size:           2
        .value_kind:     hidden_remainder_z
      - .offset:         88
        .size:           8
        .value_kind:     hidden_global_offset_x
      - .offset:         96
        .size:           8
        .value_kind:     hidden_global_offset_y
      - .offset:         104
        .size:           8
        .value_kind:     hidden_global_offset_z
      - .offset:         112
        .size:           2
        .value_kind:     hidden_grid_dims
    .group_segment_fixed_size: 8224
    .kernarg_segment_align: 8
    .kernarg_segment_size: 304
    .language:       OpenCL C
    .language_version:
      - 2
      - 0
    .max_flat_workgroup_size: 256
    .name:           _ZN7rocprim17ROCPRIM_304000_NS6detail28radix_sort_block_sort_kernelINS1_36wrapped_radix_sort_block_sort_configINS0_13kernel_configILj256ELj4ELj4294967295EEEhN2at4cuda3cub6detail10OpaqueTypeILi8EEEEELb1EPKhPhPKSB_PSB_NS0_19identity_decomposerEEEvT1_T2_T3_T4_jT5_jj
    .private_segment_fixed_size: 0
    .sgpr_count:     32
    .sgpr_spill_count: 0
    .symbol:         _ZN7rocprim17ROCPRIM_304000_NS6detail28radix_sort_block_sort_kernelINS1_36wrapped_radix_sort_block_sort_configINS0_13kernel_configILj256ELj4ELj4294967295EEEhN2at4cuda3cub6detail10OpaqueTypeILi8EEEEELb1EPKhPhPKSB_PSB_NS0_19identity_decomposerEEEvT1_T2_T3_T4_jT5_jj.kd
    .uniform_work_group_size: 1
    .uses_dynamic_stack: false
    .vgpr_count:     51
    .vgpr_spill_count: 0
    .wavefront_size: 32
    .workgroup_processor_mode: 1
  - .args:           []
    .group_segment_fixed_size: 0
    .kernarg_segment_align: 4
    .kernarg_segment_size: 0
    .language:       OpenCL C
    .language_version:
      - 2
      - 0
    .max_flat_workgroup_size: 1024
    .name:           _ZN7rocprim17ROCPRIM_304000_NS6detail39device_merge_sort_compile_time_verifierINS1_36wrapped_merge_sort_block_sort_configINS1_28merge_sort_block_sort_configILj256ELj4ELNS0_20block_sort_algorithmE0EEEhN2at4cuda3cub6detail10OpaqueTypeILi8EEEEENS1_37wrapped_merge_sort_block_merge_configINS0_14default_configEhSC_EEEEvv
    .private_segment_fixed_size: 0
    .sgpr_count:     0
    .sgpr_spill_count: 0
    .symbol:         _ZN7rocprim17ROCPRIM_304000_NS6detail39device_merge_sort_compile_time_verifierINS1_36wrapped_merge_sort_block_sort_configINS1_28merge_sort_block_sort_configILj256ELj4ELNS0_20block_sort_algorithmE0EEEhN2at4cuda3cub6detail10OpaqueTypeILi8EEEEENS1_37wrapped_merge_sort_block_merge_configINS0_14default_configEhSC_EEEEvv.kd
    .uniform_work_group_size: 1
    .uses_dynamic_stack: false
    .vgpr_count:     0
    .vgpr_spill_count: 0
    .wavefront_size: 32
    .workgroup_processor_mode: 1
  - .args:
      - .address_space:  global
        .offset:         0
        .size:           8
        .value_kind:     global_buffer
      - .offset:         8
        .size:           4
        .value_kind:     by_value
      - .offset:         12
        .size:           4
        .value_kind:     by_value
      - .address_space:  global
        .offset:         16
        .size:           8
        .value_kind:     global_buffer
      - .offset:         24
        .size:           1
        .value_kind:     by_value
      - .offset:         28
        .size:           4
        .value_kind:     by_value
    .group_segment_fixed_size: 0
    .kernarg_segment_align: 8
    .kernarg_segment_size: 32
    .language:       OpenCL C
    .language_version:
      - 2
      - 0
    .max_flat_workgroup_size: 128
    .name:           _ZN7rocprim17ROCPRIM_304000_NS6detail45device_block_merge_mergepath_partition_kernelINS1_37wrapped_merge_sort_block_merge_configINS0_14default_configEhN2at4cuda3cub6detail10OpaqueTypeILi8EEEEEPhjNS1_19radix_merge_compareILb1ELb0EhNS0_19identity_decomposerEEEEEvT0_T1_jPSH_T2_SH_
    .private_segment_fixed_size: 0
    .sgpr_count:     18
    .sgpr_spill_count: 0
    .symbol:         _ZN7rocprim17ROCPRIM_304000_NS6detail45device_block_merge_mergepath_partition_kernelINS1_37wrapped_merge_sort_block_merge_configINS0_14default_configEhN2at4cuda3cub6detail10OpaqueTypeILi8EEEEEPhjNS1_19radix_merge_compareILb1ELb0EhNS0_19identity_decomposerEEEEEvT0_T1_jPSH_T2_SH_.kd
    .uniform_work_group_size: 1
    .uses_dynamic_stack: false
    .vgpr_count:     14
    .vgpr_spill_count: 0
    .wavefront_size: 32
    .workgroup_processor_mode: 1
  - .args:
      - .address_space:  global
        .offset:         0
        .size:           8
        .value_kind:     global_buffer
      - .address_space:  global
        .offset:         8
        .size:           8
        .value_kind:     global_buffer
      - .address_space:  global
        .offset:         16
        .size:           8
        .value_kind:     global_buffer
      - .address_space:  global
        .offset:         24
        .size:           8
        .value_kind:     global_buffer
      - .offset:         32
        .size:           4
        .value_kind:     by_value
      - .offset:         36
        .size:           4
        .value_kind:     by_value
      - .offset:         40
        .size:           4
        .value_kind:     by_value
      - .offset:         44
        .size:           1
        .value_kind:     by_value
      - .address_space:  global
        .offset:         48
        .size:           8
        .value_kind:     global_buffer
      - .address_space:  global
        .offset:         56
        .size:           8
        .value_kind:     global_buffer
      - .offset:         64
        .size:           4
        .value_kind:     hidden_block_count_x
      - .offset:         68
        .size:           4
        .value_kind:     hidden_block_count_y
      - .offset:         72
        .size:           4
        .value_kind:     hidden_block_count_z
      - .offset:         76
        .size:           2
        .value_kind:     hidden_group_size_x
      - .offset:         78
        .size:           2
        .value_kind:     hidden_group_size_y
      - .offset:         80
        .size:           2
        .value_kind:     hidden_group_size_z
      - .offset:         82
        .size:           2
        .value_kind:     hidden_remainder_x
      - .offset:         84
        .size:           2
        .value_kind:     hidden_remainder_y
      - .offset:         86
        .size:           2
        .value_kind:     hidden_remainder_z
      - .offset:         104
        .size:           8
        .value_kind:     hidden_global_offset_x
      - .offset:         112
        .size:           8
        .value_kind:     hidden_global_offset_y
      - .offset:         120
        .size:           8
        .value_kind:     hidden_global_offset_z
      - .offset:         128
        .size:           2
        .value_kind:     hidden_grid_dims
    .group_segment_fixed_size: 8208
    .kernarg_segment_align: 8
    .kernarg_segment_size: 320
    .language:       OpenCL C
    .language_version:
      - 2
      - 0
    .max_flat_workgroup_size: 512
    .name:           _ZN7rocprim17ROCPRIM_304000_NS6detail35device_block_merge_mergepath_kernelINS1_37wrapped_merge_sort_block_merge_configINS0_14default_configEhN2at4cuda3cub6detail10OpaqueTypeILi8EEEEEPhSC_PSA_SD_jNS1_19radix_merge_compareILb1ELb0EhNS0_19identity_decomposerEEEEEvT0_T1_T2_T3_T4_SL_jT5_PKSL_NS1_7vsmem_tE
    .private_segment_fixed_size: 0
    .sgpr_count:     29
    .sgpr_spill_count: 0
    .symbol:         _ZN7rocprim17ROCPRIM_304000_NS6detail35device_block_merge_mergepath_kernelINS1_37wrapped_merge_sort_block_merge_configINS0_14default_configEhN2at4cuda3cub6detail10OpaqueTypeILi8EEEEEPhSC_PSA_SD_jNS1_19radix_merge_compareILb1ELb0EhNS0_19identity_decomposerEEEEEvT0_T1_T2_T3_T4_SL_jT5_PKSL_NS1_7vsmem_tE.kd
    .uniform_work_group_size: 1
    .uses_dynamic_stack: false
    .vgpr_count:     16
    .vgpr_spill_count: 0
    .wavefront_size: 32
    .workgroup_processor_mode: 1
  - .args:
      - .address_space:  global
        .offset:         0
        .size:           8
        .value_kind:     global_buffer
      - .address_space:  global
        .offset:         8
        .size:           8
        .value_kind:     global_buffer
      - .address_space:  global
        .offset:         16
        .size:           8
        .value_kind:     global_buffer
      - .address_space:  global
        .offset:         24
        .size:           8
        .value_kind:     global_buffer
      - .offset:         32
        .size:           4
        .value_kind:     by_value
      - .offset:         36
        .size:           4
        .value_kind:     by_value
      - .offset:         40
        .size:           1
        .value_kind:     by_value
    .group_segment_fixed_size: 0
    .kernarg_segment_align: 8
    .kernarg_segment_size: 44
    .language:       OpenCL C
    .language_version:
      - 2
      - 0
    .max_flat_workgroup_size: 256
    .name:           _ZN7rocprim17ROCPRIM_304000_NS6detail33device_block_merge_oddeven_kernelINS1_37wrapped_merge_sort_block_merge_configINS0_14default_configEhN2at4cuda3cub6detail10OpaqueTypeILi8EEEEEPhSC_PSA_SD_jNS1_19radix_merge_compareILb1ELb0EhNS0_19identity_decomposerEEEEEvT0_T1_T2_T3_T4_SL_T5_
    .private_segment_fixed_size: 0
    .sgpr_count:     22
    .sgpr_spill_count: 0
    .symbol:         _ZN7rocprim17ROCPRIM_304000_NS6detail33device_block_merge_oddeven_kernelINS1_37wrapped_merge_sort_block_merge_configINS0_14default_configEhN2at4cuda3cub6detail10OpaqueTypeILi8EEEEEPhSC_PSA_SD_jNS1_19radix_merge_compareILb1ELb0EhNS0_19identity_decomposerEEEEEvT0_T1_T2_T3_T4_SL_T5_.kd
    .uniform_work_group_size: 1
    .uses_dynamic_stack: false
    .vgpr_count:     10
    .vgpr_spill_count: 0
    .wavefront_size: 32
    .workgroup_processor_mode: 1
  - .args:
      - .address_space:  global
        .offset:         0
        .size:           8
        .value_kind:     global_buffer
      - .offset:         8
        .size:           8
        .value_kind:     by_value
      - .address_space:  global
        .offset:         16
        .size:           8
        .value_kind:     global_buffer
      - .offset:         24
        .size:           1
        .value_kind:     by_value
      - .offset:         32
        .size:           4
        .value_kind:     hidden_block_count_x
      - .offset:         36
        .size:           4
        .value_kind:     hidden_block_count_y
      - .offset:         40
        .size:           4
        .value_kind:     hidden_block_count_z
      - .offset:         44
        .size:           2
        .value_kind:     hidden_group_size_x
      - .offset:         46
        .size:           2
        .value_kind:     hidden_group_size_y
      - .offset:         48
        .size:           2
        .value_kind:     hidden_group_size_z
      - .offset:         50
        .size:           2
        .value_kind:     hidden_remainder_x
      - .offset:         52
        .size:           2
        .value_kind:     hidden_remainder_y
      - .offset:         54
        .size:           2
        .value_kind:     hidden_remainder_z
      - .offset:         72
        .size:           8
        .value_kind:     hidden_global_offset_x
      - .offset:         80
        .size:           8
        .value_kind:     hidden_global_offset_y
      - .offset:         88
        .size:           8
        .value_kind:     hidden_global_offset_z
      - .offset:         96
        .size:           2
        .value_kind:     hidden_grid_dims
    .group_segment_fixed_size: 0
    .kernarg_segment_align: 8
    .kernarg_segment_size: 288
    .language:       OpenCL C
    .language_version:
      - 2
      - 0
    .max_flat_workgroup_size: 1024
    .name:           _ZN7rocprim17ROCPRIM_304000_NS6detail16transform_kernelINS1_24wrapped_transform_configINS0_14default_configEhEEhPhS6_NS0_8identityIhEEEEvT1_mT2_T3_
    .private_segment_fixed_size: 0
    .sgpr_count:     18
    .sgpr_spill_count: 0
    .symbol:         _ZN7rocprim17ROCPRIM_304000_NS6detail16transform_kernelINS1_24wrapped_transform_configINS0_14default_configEhEEhPhS6_NS0_8identityIhEEEEvT1_mT2_T3_.kd
    .uniform_work_group_size: 1
    .uses_dynamic_stack: false
    .vgpr_count:     9
    .vgpr_spill_count: 0
    .wavefront_size: 32
    .workgroup_processor_mode: 1
  - .args:
      - .address_space:  global
        .offset:         0
        .size:           8
        .value_kind:     global_buffer
      - .offset:         8
        .size:           8
        .value_kind:     by_value
      - .address_space:  global
        .offset:         16
        .size:           8
        .value_kind:     global_buffer
      - .offset:         24
        .size:           1
        .value_kind:     by_value
      - .offset:         32
        .size:           4
        .value_kind:     hidden_block_count_x
      - .offset:         36
        .size:           4
        .value_kind:     hidden_block_count_y
      - .offset:         40
        .size:           4
        .value_kind:     hidden_block_count_z
      - .offset:         44
        .size:           2
        .value_kind:     hidden_group_size_x
      - .offset:         46
        .size:           2
        .value_kind:     hidden_group_size_y
      - .offset:         48
        .size:           2
        .value_kind:     hidden_group_size_z
      - .offset:         50
        .size:           2
        .value_kind:     hidden_remainder_x
      - .offset:         52
        .size:           2
        .value_kind:     hidden_remainder_y
      - .offset:         54
        .size:           2
        .value_kind:     hidden_remainder_z
      - .offset:         72
        .size:           8
        .value_kind:     hidden_global_offset_x
      - .offset:         80
        .size:           8
        .value_kind:     hidden_global_offset_y
      - .offset:         88
        .size:           8
        .value_kind:     hidden_global_offset_z
      - .offset:         96
        .size:           2
        .value_kind:     hidden_grid_dims
    .group_segment_fixed_size: 0
    .kernarg_segment_align: 8
    .kernarg_segment_size: 288
    .language:       OpenCL C
    .language_version:
      - 2
      - 0
    .max_flat_workgroup_size: 512
    .name:           _ZN7rocprim17ROCPRIM_304000_NS6detail16transform_kernelINS1_24wrapped_transform_configINS0_14default_configEN2at4cuda3cub6detail10OpaqueTypeILi8EEEEESA_PSA_SC_NS0_8identityISA_EEEEvT1_mT2_T3_
    .private_segment_fixed_size: 0
    .sgpr_count:     18
    .sgpr_spill_count: 0
    .symbol:         _ZN7rocprim17ROCPRIM_304000_NS6detail16transform_kernelINS1_24wrapped_transform_configINS0_14default_configEN2at4cuda3cub6detail10OpaqueTypeILi8EEEEESA_PSA_SC_NS0_8identityISA_EEEEvT1_mT2_T3_.kd
    .uniform_work_group_size: 1
    .uses_dynamic_stack: false
    .vgpr_count:     5
    .vgpr_spill_count: 0
    .wavefront_size: 32
    .workgroup_processor_mode: 1
  - .args:
      - .address_space:  global
        .offset:         0
        .size:           8
        .value_kind:     global_buffer
      - .offset:         8
        .size:           4
        .value_kind:     by_value
      - .offset:         12
        .size:           4
        .value_kind:     by_value
      - .address_space:  global
        .offset:         16
        .size:           8
        .value_kind:     global_buffer
      - .offset:         24
        .size:           1
        .value_kind:     by_value
      - .offset:         28
        .size:           4
        .value_kind:     by_value
    .group_segment_fixed_size: 0
    .kernarg_segment_align: 8
    .kernarg_segment_size: 32
    .language:       OpenCL C
    .language_version:
      - 2
      - 0
    .max_flat_workgroup_size: 128
    .name:           _ZN7rocprim17ROCPRIM_304000_NS6detail45device_block_merge_mergepath_partition_kernelINS1_37wrapped_merge_sort_block_merge_configINS0_14default_configEhN2at4cuda3cub6detail10OpaqueTypeILi8EEEEEPhjNS1_19radix_merge_compareILb1ELb1EhNS0_19identity_decomposerEEEEEvT0_T1_jPSH_T2_SH_
    .private_segment_fixed_size: 0
    .sgpr_count:     18
    .sgpr_spill_count: 0
    .symbol:         _ZN7rocprim17ROCPRIM_304000_NS6detail45device_block_merge_mergepath_partition_kernelINS1_37wrapped_merge_sort_block_merge_configINS0_14default_configEhN2at4cuda3cub6detail10OpaqueTypeILi8EEEEEPhjNS1_19radix_merge_compareILb1ELb1EhNS0_19identity_decomposerEEEEEvT0_T1_jPSH_T2_SH_.kd
    .uniform_work_group_size: 1
    .uses_dynamic_stack: false
    .vgpr_count:     14
    .vgpr_spill_count: 0
    .wavefront_size: 32
    .workgroup_processor_mode: 1
  - .args:
      - .address_space:  global
        .offset:         0
        .size:           8
        .value_kind:     global_buffer
      - .address_space:  global
        .offset:         8
        .size:           8
        .value_kind:     global_buffer
      - .address_space:  global
        .offset:         16
        .size:           8
        .value_kind:     global_buffer
      - .address_space:  global
        .offset:         24
        .size:           8
        .value_kind:     global_buffer
      - .offset:         32
        .size:           4
        .value_kind:     by_value
      - .offset:         36
        .size:           4
        .value_kind:     by_value
      - .offset:         40
        .size:           4
        .value_kind:     by_value
      - .offset:         44
        .size:           1
        .value_kind:     by_value
      - .address_space:  global
        .offset:         48
        .size:           8
        .value_kind:     global_buffer
      - .address_space:  global
        .offset:         56
        .size:           8
        .value_kind:     global_buffer
      - .offset:         64
        .size:           4
        .value_kind:     hidden_block_count_x
      - .offset:         68
        .size:           4
        .value_kind:     hidden_block_count_y
      - .offset:         72
        .size:           4
        .value_kind:     hidden_block_count_z
      - .offset:         76
        .size:           2
        .value_kind:     hidden_group_size_x
      - .offset:         78
        .size:           2
        .value_kind:     hidden_group_size_y
      - .offset:         80
        .size:           2
        .value_kind:     hidden_group_size_z
      - .offset:         82
        .size:           2
        .value_kind:     hidden_remainder_x
      - .offset:         84
        .size:           2
        .value_kind:     hidden_remainder_y
      - .offset:         86
        .size:           2
        .value_kind:     hidden_remainder_z
      - .offset:         104
        .size:           8
        .value_kind:     hidden_global_offset_x
      - .offset:         112
        .size:           8
        .value_kind:     hidden_global_offset_y
      - .offset:         120
        .size:           8
        .value_kind:     hidden_global_offset_z
      - .offset:         128
        .size:           2
        .value_kind:     hidden_grid_dims
    .group_segment_fixed_size: 8208
    .kernarg_segment_align: 8
    .kernarg_segment_size: 320
    .language:       OpenCL C
    .language_version:
      - 2
      - 0
    .max_flat_workgroup_size: 512
    .name:           _ZN7rocprim17ROCPRIM_304000_NS6detail35device_block_merge_mergepath_kernelINS1_37wrapped_merge_sort_block_merge_configINS0_14default_configEhN2at4cuda3cub6detail10OpaqueTypeILi8EEEEEPhSC_PSA_SD_jNS1_19radix_merge_compareILb1ELb1EhNS0_19identity_decomposerEEEEEvT0_T1_T2_T3_T4_SL_jT5_PKSL_NS1_7vsmem_tE
    .private_segment_fixed_size: 0
    .sgpr_count:     29
    .sgpr_spill_count: 0
    .symbol:         _ZN7rocprim17ROCPRIM_304000_NS6detail35device_block_merge_mergepath_kernelINS1_37wrapped_merge_sort_block_merge_configINS0_14default_configEhN2at4cuda3cub6detail10OpaqueTypeILi8EEEEEPhSC_PSA_SD_jNS1_19radix_merge_compareILb1ELb1EhNS0_19identity_decomposerEEEEEvT0_T1_T2_T3_T4_SL_jT5_PKSL_NS1_7vsmem_tE.kd
    .uniform_work_group_size: 1
    .uses_dynamic_stack: false
    .vgpr_count:     16
    .vgpr_spill_count: 0
    .wavefront_size: 32
    .workgroup_processor_mode: 1
  - .args:
      - .address_space:  global
        .offset:         0
        .size:           8
        .value_kind:     global_buffer
      - .address_space:  global
        .offset:         8
        .size:           8
        .value_kind:     global_buffer
      - .address_space:  global
        .offset:         16
        .size:           8
        .value_kind:     global_buffer
      - .address_space:  global
        .offset:         24
        .size:           8
        .value_kind:     global_buffer
      - .offset:         32
        .size:           4
        .value_kind:     by_value
      - .offset:         36
        .size:           4
        .value_kind:     by_value
      - .offset:         40
        .size:           1
        .value_kind:     by_value
    .group_segment_fixed_size: 0
    .kernarg_segment_align: 8
    .kernarg_segment_size: 44
    .language:       OpenCL C
    .language_version:
      - 2
      - 0
    .max_flat_workgroup_size: 256
    .name:           _ZN7rocprim17ROCPRIM_304000_NS6detail33device_block_merge_oddeven_kernelINS1_37wrapped_merge_sort_block_merge_configINS0_14default_configEhN2at4cuda3cub6detail10OpaqueTypeILi8EEEEEPhSC_PSA_SD_jNS1_19radix_merge_compareILb1ELb1EhNS0_19identity_decomposerEEEEEvT0_T1_T2_T3_T4_SL_T5_
    .private_segment_fixed_size: 0
    .sgpr_count:     24
    .sgpr_spill_count: 0
    .symbol:         _ZN7rocprim17ROCPRIM_304000_NS6detail33device_block_merge_oddeven_kernelINS1_37wrapped_merge_sort_block_merge_configINS0_14default_configEhN2at4cuda3cub6detail10OpaqueTypeILi8EEEEEPhSC_PSA_SD_jNS1_19radix_merge_compareILb1ELb1EhNS0_19identity_decomposerEEEEEvT0_T1_T2_T3_T4_SL_T5_.kd
    .uniform_work_group_size: 1
    .uses_dynamic_stack: false
    .vgpr_count:     11
    .vgpr_spill_count: 0
    .wavefront_size: 32
    .workgroup_processor_mode: 1
  - .args:
      - .address_space:  global
        .offset:         0
        .size:           8
        .value_kind:     global_buffer
      - .address_space:  global
        .offset:         8
        .size:           8
        .value_kind:     global_buffer
      - .offset:         16
        .size:           8
        .value_kind:     by_value
      - .offset:         24
        .size:           8
        .value_kind:     by_value
      - .offset:         32
        .size:           1
        .value_kind:     by_value
      - .offset:         36
        .size:           4
        .value_kind:     by_value
      - .offset:         40
        .size:           4
        .value_kind:     by_value
    .group_segment_fixed_size: 4096
    .kernarg_segment_align: 8
    .kernarg_segment_size: 44
    .language:       OpenCL C
    .language_version:
      - 2
      - 0
    .max_flat_workgroup_size: 256
    .name:           _ZN7rocprim17ROCPRIM_304000_NS6detail26onesweep_histograms_kernelINS1_34wrapped_radix_sort_onesweep_configINS0_14default_configEhN2at4cuda3cub6detail10OpaqueTypeILi8EEEEELb1EPKhmNS0_19identity_decomposerEEEvT1_PT2_SG_SG_T3_jj
    .private_segment_fixed_size: 0
    .sgpr_count:     36
    .sgpr_spill_count: 0
    .symbol:         _ZN7rocprim17ROCPRIM_304000_NS6detail26onesweep_histograms_kernelINS1_34wrapped_radix_sort_onesweep_configINS0_14default_configEhN2at4cuda3cub6detail10OpaqueTypeILi8EEEEELb1EPKhmNS0_19identity_decomposerEEEvT1_PT2_SG_SG_T3_jj.kd
    .uniform_work_group_size: 1
    .uses_dynamic_stack: false
    .vgpr_count:     35
    .vgpr_spill_count: 0
    .wavefront_size: 32
    .workgroup_processor_mode: 1
  - .args:
      - .address_space:  global
        .offset:         0
        .size:           8
        .value_kind:     global_buffer
    .group_segment_fixed_size: 64
    .kernarg_segment_align: 8
    .kernarg_segment_size: 8
    .language:       OpenCL C
    .language_version:
      - 2
      - 0
    .max_flat_workgroup_size: 256
    .name:           _ZN7rocprim17ROCPRIM_304000_NS6detail31onesweep_scan_histograms_kernelINS1_34wrapped_radix_sort_onesweep_configINS0_14default_configEhN2at4cuda3cub6detail10OpaqueTypeILi8EEEEEmEEvPT0_
    .private_segment_fixed_size: 0
    .sgpr_count:     18
    .sgpr_spill_count: 0
    .symbol:         _ZN7rocprim17ROCPRIM_304000_NS6detail31onesweep_scan_histograms_kernelINS1_34wrapped_radix_sort_onesweep_configINS0_14default_configEhN2at4cuda3cub6detail10OpaqueTypeILi8EEEEEmEEvPT0_.kd
    .uniform_work_group_size: 1
    .uses_dynamic_stack: false
    .vgpr_count:     12
    .vgpr_spill_count: 0
    .wavefront_size: 32
    .workgroup_processor_mode: 1
  - .args:
      - .address_space:  global
        .offset:         0
        .size:           8
        .value_kind:     global_buffer
      - .offset:         8
        .size:           8
        .value_kind:     by_value
      - .address_space:  global
        .offset:         16
        .size:           8
        .value_kind:     global_buffer
      - .offset:         24
        .size:           1
        .value_kind:     by_value
      - .offset:         32
        .size:           4
        .value_kind:     hidden_block_count_x
      - .offset:         36
        .size:           4
        .value_kind:     hidden_block_count_y
      - .offset:         40
        .size:           4
        .value_kind:     hidden_block_count_z
      - .offset:         44
        .size:           2
        .value_kind:     hidden_group_size_x
      - .offset:         46
        .size:           2
        .value_kind:     hidden_group_size_y
      - .offset:         48
        .size:           2
        .value_kind:     hidden_group_size_z
      - .offset:         50
        .size:           2
        .value_kind:     hidden_remainder_x
      - .offset:         52
        .size:           2
        .value_kind:     hidden_remainder_y
      - .offset:         54
        .size:           2
        .value_kind:     hidden_remainder_z
      - .offset:         72
        .size:           8
        .value_kind:     hidden_global_offset_x
      - .offset:         80
        .size:           8
        .value_kind:     hidden_global_offset_y
      - .offset:         88
        .size:           8
        .value_kind:     hidden_global_offset_z
      - .offset:         96
        .size:           2
        .value_kind:     hidden_grid_dims
    .group_segment_fixed_size: 0
    .kernarg_segment_align: 8
    .kernarg_segment_size: 288
    .language:       OpenCL C
    .language_version:
      - 2
      - 0
    .max_flat_workgroup_size: 1024
    .name:           _ZN7rocprim17ROCPRIM_304000_NS6detail16transform_kernelINS1_24wrapped_transform_configINS0_14default_configEhEEhPKhPhNS0_8identityIhEEEEvT1_mT2_T3_
    .private_segment_fixed_size: 0
    .sgpr_count:     18
    .sgpr_spill_count: 0
    .symbol:         _ZN7rocprim17ROCPRIM_304000_NS6detail16transform_kernelINS1_24wrapped_transform_configINS0_14default_configEhEEhPKhPhNS0_8identityIhEEEEvT1_mT2_T3_.kd
    .uniform_work_group_size: 1
    .uses_dynamic_stack: false
    .vgpr_count:     9
    .vgpr_spill_count: 0
    .wavefront_size: 32
    .workgroup_processor_mode: 1
  - .args:
      - .address_space:  global
        .offset:         0
        .size:           8
        .value_kind:     global_buffer
      - .offset:         8
        .size:           8
        .value_kind:     by_value
      - .address_space:  global
        .offset:         16
        .size:           8
        .value_kind:     global_buffer
      - .offset:         24
        .size:           1
        .value_kind:     by_value
      - .offset:         32
        .size:           4
        .value_kind:     hidden_block_count_x
      - .offset:         36
        .size:           4
        .value_kind:     hidden_block_count_y
      - .offset:         40
        .size:           4
        .value_kind:     hidden_block_count_z
      - .offset:         44
        .size:           2
        .value_kind:     hidden_group_size_x
      - .offset:         46
        .size:           2
        .value_kind:     hidden_group_size_y
      - .offset:         48
        .size:           2
        .value_kind:     hidden_group_size_z
      - .offset:         50
        .size:           2
        .value_kind:     hidden_remainder_x
      - .offset:         52
        .size:           2
        .value_kind:     hidden_remainder_y
      - .offset:         54
        .size:           2
        .value_kind:     hidden_remainder_z
      - .offset:         72
        .size:           8
        .value_kind:     hidden_global_offset_x
      - .offset:         80
        .size:           8
        .value_kind:     hidden_global_offset_y
      - .offset:         88
        .size:           8
        .value_kind:     hidden_global_offset_z
      - .offset:         96
        .size:           2
        .value_kind:     hidden_grid_dims
    .group_segment_fixed_size: 0
    .kernarg_segment_align: 8
    .kernarg_segment_size: 288
    .language:       OpenCL C
    .language_version:
      - 2
      - 0
    .max_flat_workgroup_size: 512
    .name:           _ZN7rocprim17ROCPRIM_304000_NS6detail16transform_kernelINS1_24wrapped_transform_configINS0_14default_configEN2at4cuda3cub6detail10OpaqueTypeILi8EEEEESA_PKSA_PSA_NS0_8identityISA_EEEEvT1_mT2_T3_
    .private_segment_fixed_size: 0
    .sgpr_count:     18
    .sgpr_spill_count: 0
    .symbol:         _ZN7rocprim17ROCPRIM_304000_NS6detail16transform_kernelINS1_24wrapped_transform_configINS0_14default_configEN2at4cuda3cub6detail10OpaqueTypeILi8EEEEESA_PKSA_PSA_NS0_8identityISA_EEEEvT1_mT2_T3_.kd
    .uniform_work_group_size: 1
    .uses_dynamic_stack: false
    .vgpr_count:     5
    .vgpr_spill_count: 0
    .wavefront_size: 32
    .workgroup_processor_mode: 1
  - .args:
      - .address_space:  global
        .offset:         0
        .size:           8
        .value_kind:     global_buffer
      - .address_space:  global
        .offset:         8
        .size:           8
        .value_kind:     global_buffer
      - .address_space:  global
        .offset:         16
        .size:           8
        .value_kind:     global_buffer
      - .address_space:  global
        .offset:         24
        .size:           8
        .value_kind:     global_buffer
      - .offset:         32
        .size:           4
        .value_kind:     by_value
      - .address_space:  global
        .offset:         40
        .size:           8
        .value_kind:     global_buffer
      - .address_space:  global
        .offset:         48
        .size:           8
        .value_kind:     global_buffer
      - .address_space:  global
        .offset:         56
        .size:           8
        .value_kind:     global_buffer
      - .offset:         64
        .size:           1
        .value_kind:     by_value
      - .offset:         68
        .size:           4
        .value_kind:     by_value
      - .offset:         72
        .size:           4
        .value_kind:     by_value
      - .offset:         76
        .size:           4
        .value_kind:     by_value
      - .offset:         80
        .size:           4
        .value_kind:     hidden_block_count_x
      - .offset:         84
        .size:           4
        .value_kind:     hidden_block_count_y
      - .offset:         88
        .size:           4
        .value_kind:     hidden_block_count_z
      - .offset:         92
        .size:           2
        .value_kind:     hidden_group_size_x
      - .offset:         94
        .size:           2
        .value_kind:     hidden_group_size_y
      - .offset:         96
        .size:           2
        .value_kind:     hidden_group_size_z
      - .offset:         98
        .size:           2
        .value_kind:     hidden_remainder_x
      - .offset:         100
        .size:           2
        .value_kind:     hidden_remainder_y
      - .offset:         102
        .size:           2
        .value_kind:     hidden_remainder_z
      - .offset:         120
        .size:           8
        .value_kind:     hidden_global_offset_x
      - .offset:         128
        .size:           8
        .value_kind:     hidden_global_offset_y
      - .offset:         136
        .size:           8
        .value_kind:     hidden_global_offset_z
      - .offset:         144
        .size:           2
        .value_kind:     hidden_grid_dims
    .group_segment_fixed_size: 47104
    .kernarg_segment_align: 8
    .kernarg_segment_size: 336
    .language:       OpenCL C
    .language_version:
      - 2
      - 0
    .max_flat_workgroup_size: 256
    .name:           _ZN7rocprim17ROCPRIM_304000_NS6detail25onesweep_iteration_kernelINS1_34wrapped_radix_sort_onesweep_configINS0_14default_configEhN2at4cuda3cub6detail10OpaqueTypeILi8EEEEELb1EPKhPhPKSA_PSA_mNS0_19identity_decomposerEEEvT1_T2_T3_T4_jPT5_SO_PNS1_23onesweep_lookback_stateET6_jjj
    .private_segment_fixed_size: 0
    .sgpr_count:     74
    .sgpr_spill_count: 0
    .symbol:         _ZN7rocprim17ROCPRIM_304000_NS6detail25onesweep_iteration_kernelINS1_34wrapped_radix_sort_onesweep_configINS0_14default_configEhN2at4cuda3cub6detail10OpaqueTypeILi8EEEEELb1EPKhPhPKSA_PSA_mNS0_19identity_decomposerEEEvT1_T2_T3_T4_jPT5_SO_PNS1_23onesweep_lookback_stateET6_jjj.kd
    .uniform_work_group_size: 1
    .uses_dynamic_stack: false
    .vgpr_count:     128
    .vgpr_spill_count: 0
    .wavefront_size: 32
    .workgroup_processor_mode: 1
  - .args:
      - .address_space:  global
        .offset:         0
        .size:           8
        .value_kind:     global_buffer
      - .address_space:  global
        .offset:         8
        .size:           8
        .value_kind:     global_buffer
      - .address_space:  global
        .offset:         16
        .size:           8
        .value_kind:     global_buffer
      - .address_space:  global
        .offset:         24
        .size:           8
        .value_kind:     global_buffer
      - .offset:         32
        .size:           4
        .value_kind:     by_value
      - .address_space:  global
        .offset:         40
        .size:           8
        .value_kind:     global_buffer
      - .address_space:  global
        .offset:         48
        .size:           8
        .value_kind:     global_buffer
      - .address_space:  global
        .offset:         56
        .size:           8
        .value_kind:     global_buffer
      - .offset:         64
        .size:           1
        .value_kind:     by_value
      - .offset:         68
        .size:           4
        .value_kind:     by_value
      - .offset:         72
        .size:           4
        .value_kind:     by_value
      - .offset:         76
        .size:           4
        .value_kind:     by_value
      - .offset:         80
        .size:           4
        .value_kind:     hidden_block_count_x
      - .offset:         84
        .size:           4
        .value_kind:     hidden_block_count_y
      - .offset:         88
        .size:           4
        .value_kind:     hidden_block_count_z
      - .offset:         92
        .size:           2
        .value_kind:     hidden_group_size_x
      - .offset:         94
        .size:           2
        .value_kind:     hidden_group_size_y
      - .offset:         96
        .size:           2
        .value_kind:     hidden_group_size_z
      - .offset:         98
        .size:           2
        .value_kind:     hidden_remainder_x
      - .offset:         100
        .size:           2
        .value_kind:     hidden_remainder_y
      - .offset:         102
        .size:           2
        .value_kind:     hidden_remainder_z
      - .offset:         120
        .size:           8
        .value_kind:     hidden_global_offset_x
      - .offset:         128
        .size:           8
        .value_kind:     hidden_global_offset_y
      - .offset:         136
        .size:           8
        .value_kind:     hidden_global_offset_z
      - .offset:         144
        .size:           2
        .value_kind:     hidden_grid_dims
    .group_segment_fixed_size: 47104
    .kernarg_segment_align: 8
    .kernarg_segment_size: 336
    .language:       OpenCL C
    .language_version:
      - 2
      - 0
    .max_flat_workgroup_size: 256
    .name:           _ZN7rocprim17ROCPRIM_304000_NS6detail25onesweep_iteration_kernelINS1_34wrapped_radix_sort_onesweep_configINS0_14default_configEhN2at4cuda3cub6detail10OpaqueTypeILi8EEEEELb1EPhSC_PSA_SD_mNS0_19identity_decomposerEEEvT1_T2_T3_T4_jPT5_SK_PNS1_23onesweep_lookback_stateET6_jjj
    .private_segment_fixed_size: 0
    .sgpr_count:     74
    .sgpr_spill_count: 0
    .symbol:         _ZN7rocprim17ROCPRIM_304000_NS6detail25onesweep_iteration_kernelINS1_34wrapped_radix_sort_onesweep_configINS0_14default_configEhN2at4cuda3cub6detail10OpaqueTypeILi8EEEEELb1EPhSC_PSA_SD_mNS0_19identity_decomposerEEEvT1_T2_T3_T4_jPT5_SK_PNS1_23onesweep_lookback_stateET6_jjj.kd
    .uniform_work_group_size: 1
    .uses_dynamic_stack: false
    .vgpr_count:     128
    .vgpr_spill_count: 0
    .wavefront_size: 32
    .workgroup_processor_mode: 1
  - .args:
      - .address_space:  global
        .offset:         0
        .size:           8
        .value_kind:     global_buffer
      - .address_space:  global
        .offset:         8
        .size:           8
        .value_kind:     global_buffer
      - .address_space:  global
        .offset:         16
        .size:           8
        .value_kind:     global_buffer
      - .address_space:  global
        .offset:         24
        .size:           8
        .value_kind:     global_buffer
      - .offset:         32
        .size:           4
        .value_kind:     by_value
      - .offset:         36
        .size:           1
        .value_kind:     by_value
      - .offset:         40
        .size:           4
        .value_kind:     by_value
      - .offset:         44
        .size:           4
        .value_kind:     by_value
      - .offset:         48
        .size:           4
        .value_kind:     hidden_block_count_x
      - .offset:         52
        .size:           4
        .value_kind:     hidden_block_count_y
      - .offset:         56
        .size:           4
        .value_kind:     hidden_block_count_z
      - .offset:         60
        .size:           2
        .value_kind:     hidden_group_size_x
      - .offset:         62
        .size:           2
        .value_kind:     hidden_group_size_y
      - .offset:         64
        .size:           2
        .value_kind:     hidden_group_size_z
      - .offset:         66
        .size:           2
        .value_kind:     hidden_remainder_x
      - .offset:         68
        .size:           2
        .value_kind:     hidden_remainder_y
      - .offset:         70
        .size:           2
        .value_kind:     hidden_remainder_z
      - .offset:         88
        .size:           8
        .value_kind:     hidden_global_offset_x
      - .offset:         96
        .size:           8
        .value_kind:     hidden_global_offset_y
      - .offset:         104
        .size:           8
        .value_kind:     hidden_global_offset_z
      - .offset:         112
        .size:           2
        .value_kind:     hidden_grid_dims
    .group_segment_fixed_size: 8224
    .kernarg_segment_align: 8
    .kernarg_segment_size: 304
    .language:       OpenCL C
    .language_version:
      - 2
      - 0
    .max_flat_workgroup_size: 256
    .name:           _ZN7rocprim17ROCPRIM_304000_NS6detail28radix_sort_block_sort_kernelINS1_36wrapped_radix_sort_block_sort_configINS0_13kernel_configILj256ELj4ELj4294967295EEEhN2at4cuda3cub6detail10OpaqueTypeILi8EEEEELb0EPKhPhPKSB_PSB_NS0_19identity_decomposerEEEvT1_T2_T3_T4_jT5_jj
    .private_segment_fixed_size: 0
    .sgpr_count:     32
    .sgpr_spill_count: 0
    .symbol:         _ZN7rocprim17ROCPRIM_304000_NS6detail28radix_sort_block_sort_kernelINS1_36wrapped_radix_sort_block_sort_configINS0_13kernel_configILj256ELj4ELj4294967295EEEhN2at4cuda3cub6detail10OpaqueTypeILi8EEEEELb0EPKhPhPKSB_PSB_NS0_19identity_decomposerEEEvT1_T2_T3_T4_jT5_jj.kd
    .uniform_work_group_size: 1
    .uses_dynamic_stack: false
    .vgpr_count:     53
    .vgpr_spill_count: 0
    .wavefront_size: 32
    .workgroup_processor_mode: 1
  - .args:
      - .address_space:  global
        .offset:         0
        .size:           8
        .value_kind:     global_buffer
      - .offset:         8
        .size:           4
        .value_kind:     by_value
      - .offset:         12
        .size:           4
        .value_kind:     by_value
      - .address_space:  global
        .offset:         16
        .size:           8
        .value_kind:     global_buffer
      - .offset:         24
        .size:           1
        .value_kind:     by_value
      - .offset:         28
        .size:           4
        .value_kind:     by_value
    .group_segment_fixed_size: 0
    .kernarg_segment_align: 8
    .kernarg_segment_size: 32
    .language:       OpenCL C
    .language_version:
      - 2
      - 0
    .max_flat_workgroup_size: 128
    .name:           _ZN7rocprim17ROCPRIM_304000_NS6detail45device_block_merge_mergepath_partition_kernelINS1_37wrapped_merge_sort_block_merge_configINS0_14default_configEhN2at4cuda3cub6detail10OpaqueTypeILi8EEEEEPhjNS1_19radix_merge_compareILb0ELb0EhNS0_19identity_decomposerEEEEEvT0_T1_jPSH_T2_SH_
    .private_segment_fixed_size: 0
    .sgpr_count:     18
    .sgpr_spill_count: 0
    .symbol:         _ZN7rocprim17ROCPRIM_304000_NS6detail45device_block_merge_mergepath_partition_kernelINS1_37wrapped_merge_sort_block_merge_configINS0_14default_configEhN2at4cuda3cub6detail10OpaqueTypeILi8EEEEEPhjNS1_19radix_merge_compareILb0ELb0EhNS0_19identity_decomposerEEEEEvT0_T1_jPSH_T2_SH_.kd
    .uniform_work_group_size: 1
    .uses_dynamic_stack: false
    .vgpr_count:     14
    .vgpr_spill_count: 0
    .wavefront_size: 32
    .workgroup_processor_mode: 1
  - .args:
      - .address_space:  global
        .offset:         0
        .size:           8
        .value_kind:     global_buffer
      - .address_space:  global
        .offset:         8
        .size:           8
        .value_kind:     global_buffer
      - .address_space:  global
        .offset:         16
        .size:           8
        .value_kind:     global_buffer
      - .address_space:  global
        .offset:         24
        .size:           8
        .value_kind:     global_buffer
      - .offset:         32
        .size:           4
        .value_kind:     by_value
      - .offset:         36
        .size:           4
        .value_kind:     by_value
      - .offset:         40
        .size:           4
        .value_kind:     by_value
      - .offset:         44
        .size:           1
        .value_kind:     by_value
      - .address_space:  global
        .offset:         48
        .size:           8
        .value_kind:     global_buffer
      - .address_space:  global
        .offset:         56
        .size:           8
        .value_kind:     global_buffer
      - .offset:         64
        .size:           4
        .value_kind:     hidden_block_count_x
      - .offset:         68
        .size:           4
        .value_kind:     hidden_block_count_y
      - .offset:         72
        .size:           4
        .value_kind:     hidden_block_count_z
      - .offset:         76
        .size:           2
        .value_kind:     hidden_group_size_x
      - .offset:         78
        .size:           2
        .value_kind:     hidden_group_size_y
      - .offset:         80
        .size:           2
        .value_kind:     hidden_group_size_z
      - .offset:         82
        .size:           2
        .value_kind:     hidden_remainder_x
      - .offset:         84
        .size:           2
        .value_kind:     hidden_remainder_y
      - .offset:         86
        .size:           2
        .value_kind:     hidden_remainder_z
      - .offset:         104
        .size:           8
        .value_kind:     hidden_global_offset_x
      - .offset:         112
        .size:           8
        .value_kind:     hidden_global_offset_y
      - .offset:         120
        .size:           8
        .value_kind:     hidden_global_offset_z
      - .offset:         128
        .size:           2
        .value_kind:     hidden_grid_dims
    .group_segment_fixed_size: 8208
    .kernarg_segment_align: 8
    .kernarg_segment_size: 320
    .language:       OpenCL C
    .language_version:
      - 2
      - 0
    .max_flat_workgroup_size: 512
    .name:           _ZN7rocprim17ROCPRIM_304000_NS6detail35device_block_merge_mergepath_kernelINS1_37wrapped_merge_sort_block_merge_configINS0_14default_configEhN2at4cuda3cub6detail10OpaqueTypeILi8EEEEEPhSC_PSA_SD_jNS1_19radix_merge_compareILb0ELb0EhNS0_19identity_decomposerEEEEEvT0_T1_T2_T3_T4_SL_jT5_PKSL_NS1_7vsmem_tE
    .private_segment_fixed_size: 0
    .sgpr_count:     29
    .sgpr_spill_count: 0
    .symbol:         _ZN7rocprim17ROCPRIM_304000_NS6detail35device_block_merge_mergepath_kernelINS1_37wrapped_merge_sort_block_merge_configINS0_14default_configEhN2at4cuda3cub6detail10OpaqueTypeILi8EEEEEPhSC_PSA_SD_jNS1_19radix_merge_compareILb0ELb0EhNS0_19identity_decomposerEEEEEvT0_T1_T2_T3_T4_SL_jT5_PKSL_NS1_7vsmem_tE.kd
    .uniform_work_group_size: 1
    .uses_dynamic_stack: false
    .vgpr_count:     16
    .vgpr_spill_count: 0
    .wavefront_size: 32
    .workgroup_processor_mode: 1
  - .args:
      - .address_space:  global
        .offset:         0
        .size:           8
        .value_kind:     global_buffer
      - .address_space:  global
        .offset:         8
        .size:           8
        .value_kind:     global_buffer
      - .address_space:  global
        .offset:         16
        .size:           8
        .value_kind:     global_buffer
      - .address_space:  global
        .offset:         24
        .size:           8
        .value_kind:     global_buffer
      - .offset:         32
        .size:           4
        .value_kind:     by_value
      - .offset:         36
        .size:           4
        .value_kind:     by_value
      - .offset:         40
        .size:           1
        .value_kind:     by_value
    .group_segment_fixed_size: 0
    .kernarg_segment_align: 8
    .kernarg_segment_size: 44
    .language:       OpenCL C
    .language_version:
      - 2
      - 0
    .max_flat_workgroup_size: 256
    .name:           _ZN7rocprim17ROCPRIM_304000_NS6detail33device_block_merge_oddeven_kernelINS1_37wrapped_merge_sort_block_merge_configINS0_14default_configEhN2at4cuda3cub6detail10OpaqueTypeILi8EEEEEPhSC_PSA_SD_jNS1_19radix_merge_compareILb0ELb0EhNS0_19identity_decomposerEEEEEvT0_T1_T2_T3_T4_SL_T5_
    .private_segment_fixed_size: 0
    .sgpr_count:     22
    .sgpr_spill_count: 0
    .symbol:         _ZN7rocprim17ROCPRIM_304000_NS6detail33device_block_merge_oddeven_kernelINS1_37wrapped_merge_sort_block_merge_configINS0_14default_configEhN2at4cuda3cub6detail10OpaqueTypeILi8EEEEEPhSC_PSA_SD_jNS1_19radix_merge_compareILb0ELb0EhNS0_19identity_decomposerEEEEEvT0_T1_T2_T3_T4_SL_T5_.kd
    .uniform_work_group_size: 1
    .uses_dynamic_stack: false
    .vgpr_count:     10
    .vgpr_spill_count: 0
    .wavefront_size: 32
    .workgroup_processor_mode: 1
  - .args:
      - .address_space:  global
        .offset:         0
        .size:           8
        .value_kind:     global_buffer
      - .offset:         8
        .size:           4
        .value_kind:     by_value
      - .offset:         12
        .size:           4
        .value_kind:     by_value
      - .address_space:  global
        .offset:         16
        .size:           8
        .value_kind:     global_buffer
      - .offset:         24
        .size:           1
        .value_kind:     by_value
      - .offset:         28
        .size:           4
        .value_kind:     by_value
    .group_segment_fixed_size: 0
    .kernarg_segment_align: 8
    .kernarg_segment_size: 32
    .language:       OpenCL C
    .language_version:
      - 2
      - 0
    .max_flat_workgroup_size: 128
    .name:           _ZN7rocprim17ROCPRIM_304000_NS6detail45device_block_merge_mergepath_partition_kernelINS1_37wrapped_merge_sort_block_merge_configINS0_14default_configEhN2at4cuda3cub6detail10OpaqueTypeILi8EEEEEPhjNS1_19radix_merge_compareILb0ELb1EhNS0_19identity_decomposerEEEEEvT0_T1_jPSH_T2_SH_
    .private_segment_fixed_size: 0
    .sgpr_count:     18
    .sgpr_spill_count: 0
    .symbol:         _ZN7rocprim17ROCPRIM_304000_NS6detail45device_block_merge_mergepath_partition_kernelINS1_37wrapped_merge_sort_block_merge_configINS0_14default_configEhN2at4cuda3cub6detail10OpaqueTypeILi8EEEEEPhjNS1_19radix_merge_compareILb0ELb1EhNS0_19identity_decomposerEEEEEvT0_T1_jPSH_T2_SH_.kd
    .uniform_work_group_size: 1
    .uses_dynamic_stack: false
    .vgpr_count:     14
    .vgpr_spill_count: 0
    .wavefront_size: 32
    .workgroup_processor_mode: 1
  - .args:
      - .address_space:  global
        .offset:         0
        .size:           8
        .value_kind:     global_buffer
      - .address_space:  global
        .offset:         8
        .size:           8
        .value_kind:     global_buffer
      - .address_space:  global
        .offset:         16
        .size:           8
        .value_kind:     global_buffer
      - .address_space:  global
        .offset:         24
        .size:           8
        .value_kind:     global_buffer
      - .offset:         32
        .size:           4
        .value_kind:     by_value
      - .offset:         36
        .size:           4
        .value_kind:     by_value
      - .offset:         40
        .size:           4
        .value_kind:     by_value
      - .offset:         44
        .size:           1
        .value_kind:     by_value
      - .address_space:  global
        .offset:         48
        .size:           8
        .value_kind:     global_buffer
      - .address_space:  global
        .offset:         56
        .size:           8
        .value_kind:     global_buffer
      - .offset:         64
        .size:           4
        .value_kind:     hidden_block_count_x
      - .offset:         68
        .size:           4
        .value_kind:     hidden_block_count_y
      - .offset:         72
        .size:           4
        .value_kind:     hidden_block_count_z
      - .offset:         76
        .size:           2
        .value_kind:     hidden_group_size_x
      - .offset:         78
        .size:           2
        .value_kind:     hidden_group_size_y
      - .offset:         80
        .size:           2
        .value_kind:     hidden_group_size_z
      - .offset:         82
        .size:           2
        .value_kind:     hidden_remainder_x
      - .offset:         84
        .size:           2
        .value_kind:     hidden_remainder_y
      - .offset:         86
        .size:           2
        .value_kind:     hidden_remainder_z
      - .offset:         104
        .size:           8
        .value_kind:     hidden_global_offset_x
      - .offset:         112
        .size:           8
        .value_kind:     hidden_global_offset_y
      - .offset:         120
        .size:           8
        .value_kind:     hidden_global_offset_z
      - .offset:         128
        .size:           2
        .value_kind:     hidden_grid_dims
    .group_segment_fixed_size: 8208
    .kernarg_segment_align: 8
    .kernarg_segment_size: 320
    .language:       OpenCL C
    .language_version:
      - 2
      - 0
    .max_flat_workgroup_size: 512
    .name:           _ZN7rocprim17ROCPRIM_304000_NS6detail35device_block_merge_mergepath_kernelINS1_37wrapped_merge_sort_block_merge_configINS0_14default_configEhN2at4cuda3cub6detail10OpaqueTypeILi8EEEEEPhSC_PSA_SD_jNS1_19radix_merge_compareILb0ELb1EhNS0_19identity_decomposerEEEEEvT0_T1_T2_T3_T4_SL_jT5_PKSL_NS1_7vsmem_tE
    .private_segment_fixed_size: 0
    .sgpr_count:     29
    .sgpr_spill_count: 0
    .symbol:         _ZN7rocprim17ROCPRIM_304000_NS6detail35device_block_merge_mergepath_kernelINS1_37wrapped_merge_sort_block_merge_configINS0_14default_configEhN2at4cuda3cub6detail10OpaqueTypeILi8EEEEEPhSC_PSA_SD_jNS1_19radix_merge_compareILb0ELb1EhNS0_19identity_decomposerEEEEEvT0_T1_T2_T3_T4_SL_jT5_PKSL_NS1_7vsmem_tE.kd
    .uniform_work_group_size: 1
    .uses_dynamic_stack: false
    .vgpr_count:     16
    .vgpr_spill_count: 0
    .wavefront_size: 32
    .workgroup_processor_mode: 1
  - .args:
      - .address_space:  global
        .offset:         0
        .size:           8
        .value_kind:     global_buffer
      - .address_space:  global
        .offset:         8
        .size:           8
        .value_kind:     global_buffer
      - .address_space:  global
        .offset:         16
        .size:           8
        .value_kind:     global_buffer
      - .address_space:  global
        .offset:         24
        .size:           8
        .value_kind:     global_buffer
      - .offset:         32
        .size:           4
        .value_kind:     by_value
      - .offset:         36
        .size:           4
        .value_kind:     by_value
      - .offset:         40
        .size:           1
        .value_kind:     by_value
    .group_segment_fixed_size: 0
    .kernarg_segment_align: 8
    .kernarg_segment_size: 44
    .language:       OpenCL C
    .language_version:
      - 2
      - 0
    .max_flat_workgroup_size: 256
    .name:           _ZN7rocprim17ROCPRIM_304000_NS6detail33device_block_merge_oddeven_kernelINS1_37wrapped_merge_sort_block_merge_configINS0_14default_configEhN2at4cuda3cub6detail10OpaqueTypeILi8EEEEEPhSC_PSA_SD_jNS1_19radix_merge_compareILb0ELb1EhNS0_19identity_decomposerEEEEEvT0_T1_T2_T3_T4_SL_T5_
    .private_segment_fixed_size: 0
    .sgpr_count:     24
    .sgpr_spill_count: 0
    .symbol:         _ZN7rocprim17ROCPRIM_304000_NS6detail33device_block_merge_oddeven_kernelINS1_37wrapped_merge_sort_block_merge_configINS0_14default_configEhN2at4cuda3cub6detail10OpaqueTypeILi8EEEEEPhSC_PSA_SD_jNS1_19radix_merge_compareILb0ELb1EhNS0_19identity_decomposerEEEEEvT0_T1_T2_T3_T4_SL_T5_.kd
    .uniform_work_group_size: 1
    .uses_dynamic_stack: false
    .vgpr_count:     11
    .vgpr_spill_count: 0
    .wavefront_size: 32
    .workgroup_processor_mode: 1
  - .args:
      - .address_space:  global
        .offset:         0
        .size:           8
        .value_kind:     global_buffer
      - .address_space:  global
        .offset:         8
        .size:           8
        .value_kind:     global_buffer
      - .offset:         16
        .size:           8
        .value_kind:     by_value
      - .offset:         24
        .size:           8
        .value_kind:     by_value
      - .offset:         32
        .size:           1
        .value_kind:     by_value
      - .offset:         36
        .size:           4
        .value_kind:     by_value
      - .offset:         40
        .size:           4
        .value_kind:     by_value
    .group_segment_fixed_size: 4096
    .kernarg_segment_align: 8
    .kernarg_segment_size: 44
    .language:       OpenCL C
    .language_version:
      - 2
      - 0
    .max_flat_workgroup_size: 256
    .name:           _ZN7rocprim17ROCPRIM_304000_NS6detail26onesweep_histograms_kernelINS1_34wrapped_radix_sort_onesweep_configINS0_14default_configEhN2at4cuda3cub6detail10OpaqueTypeILi8EEEEELb0EPKhmNS0_19identity_decomposerEEEvT1_PT2_SG_SG_T3_jj
    .private_segment_fixed_size: 0
    .sgpr_count:     36
    .sgpr_spill_count: 0
    .symbol:         _ZN7rocprim17ROCPRIM_304000_NS6detail26onesweep_histograms_kernelINS1_34wrapped_radix_sort_onesweep_configINS0_14default_configEhN2at4cuda3cub6detail10OpaqueTypeILi8EEEEELb0EPKhmNS0_19identity_decomposerEEEvT1_PT2_SG_SG_T3_jj.kd
    .uniform_work_group_size: 1
    .uses_dynamic_stack: false
    .vgpr_count:     35
    .vgpr_spill_count: 0
    .wavefront_size: 32
    .workgroup_processor_mode: 1
  - .args:
      - .address_space:  global
        .offset:         0
        .size:           8
        .value_kind:     global_buffer
      - .address_space:  global
        .offset:         8
        .size:           8
        .value_kind:     global_buffer
      - .address_space:  global
        .offset:         16
        .size:           8
        .value_kind:     global_buffer
      - .address_space:  global
        .offset:         24
        .size:           8
        .value_kind:     global_buffer
      - .offset:         32
        .size:           4
        .value_kind:     by_value
      - .address_space:  global
        .offset:         40
        .size:           8
        .value_kind:     global_buffer
      - .address_space:  global
        .offset:         48
        .size:           8
        .value_kind:     global_buffer
      - .address_space:  global
        .offset:         56
        .size:           8
        .value_kind:     global_buffer
      - .offset:         64
        .size:           1
        .value_kind:     by_value
      - .offset:         68
        .size:           4
        .value_kind:     by_value
      - .offset:         72
        .size:           4
        .value_kind:     by_value
      - .offset:         76
        .size:           4
        .value_kind:     by_value
      - .offset:         80
        .size:           4
        .value_kind:     hidden_block_count_x
      - .offset:         84
        .size:           4
        .value_kind:     hidden_block_count_y
      - .offset:         88
        .size:           4
        .value_kind:     hidden_block_count_z
      - .offset:         92
        .size:           2
        .value_kind:     hidden_group_size_x
      - .offset:         94
        .size:           2
        .value_kind:     hidden_group_size_y
      - .offset:         96
        .size:           2
        .value_kind:     hidden_group_size_z
      - .offset:         98
        .size:           2
        .value_kind:     hidden_remainder_x
      - .offset:         100
        .size:           2
        .value_kind:     hidden_remainder_y
      - .offset:         102
        .size:           2
        .value_kind:     hidden_remainder_z
      - .offset:         120
        .size:           8
        .value_kind:     hidden_global_offset_x
      - .offset:         128
        .size:           8
        .value_kind:     hidden_global_offset_y
      - .offset:         136
        .size:           8
        .value_kind:     hidden_global_offset_z
      - .offset:         144
        .size:           2
        .value_kind:     hidden_grid_dims
    .group_segment_fixed_size: 47104
    .kernarg_segment_align: 8
    .kernarg_segment_size: 336
    .language:       OpenCL C
    .language_version:
      - 2
      - 0
    .max_flat_workgroup_size: 256
    .name:           _ZN7rocprim17ROCPRIM_304000_NS6detail25onesweep_iteration_kernelINS1_34wrapped_radix_sort_onesweep_configINS0_14default_configEhN2at4cuda3cub6detail10OpaqueTypeILi8EEEEELb0EPKhPhPKSA_PSA_mNS0_19identity_decomposerEEEvT1_T2_T3_T4_jPT5_SO_PNS1_23onesweep_lookback_stateET6_jjj
    .private_segment_fixed_size: 0
    .sgpr_count:     74
    .sgpr_spill_count: 0
    .symbol:         _ZN7rocprim17ROCPRIM_304000_NS6detail25onesweep_iteration_kernelINS1_34wrapped_radix_sort_onesweep_configINS0_14default_configEhN2at4cuda3cub6detail10OpaqueTypeILi8EEEEELb0EPKhPhPKSA_PSA_mNS0_19identity_decomposerEEEvT1_T2_T3_T4_jPT5_SO_PNS1_23onesweep_lookback_stateET6_jjj.kd
    .uniform_work_group_size: 1
    .uses_dynamic_stack: false
    .vgpr_count:     128
    .vgpr_spill_count: 0
    .wavefront_size: 32
    .workgroup_processor_mode: 1
  - .args:
      - .address_space:  global
        .offset:         0
        .size:           8
        .value_kind:     global_buffer
      - .address_space:  global
        .offset:         8
        .size:           8
        .value_kind:     global_buffer
      - .address_space:  global
        .offset:         16
        .size:           8
        .value_kind:     global_buffer
      - .address_space:  global
        .offset:         24
        .size:           8
        .value_kind:     global_buffer
      - .offset:         32
        .size:           4
        .value_kind:     by_value
      - .address_space:  global
        .offset:         40
        .size:           8
        .value_kind:     global_buffer
      - .address_space:  global
        .offset:         48
        .size:           8
        .value_kind:     global_buffer
      - .address_space:  global
        .offset:         56
        .size:           8
        .value_kind:     global_buffer
      - .offset:         64
        .size:           1
        .value_kind:     by_value
      - .offset:         68
        .size:           4
        .value_kind:     by_value
      - .offset:         72
        .size:           4
        .value_kind:     by_value
      - .offset:         76
        .size:           4
        .value_kind:     by_value
      - .offset:         80
        .size:           4
        .value_kind:     hidden_block_count_x
      - .offset:         84
        .size:           4
        .value_kind:     hidden_block_count_y
      - .offset:         88
        .size:           4
        .value_kind:     hidden_block_count_z
      - .offset:         92
        .size:           2
        .value_kind:     hidden_group_size_x
      - .offset:         94
        .size:           2
        .value_kind:     hidden_group_size_y
      - .offset:         96
        .size:           2
        .value_kind:     hidden_group_size_z
      - .offset:         98
        .size:           2
        .value_kind:     hidden_remainder_x
      - .offset:         100
        .size:           2
        .value_kind:     hidden_remainder_y
      - .offset:         102
        .size:           2
        .value_kind:     hidden_remainder_z
      - .offset:         120
        .size:           8
        .value_kind:     hidden_global_offset_x
      - .offset:         128
        .size:           8
        .value_kind:     hidden_global_offset_y
      - .offset:         136
        .size:           8
        .value_kind:     hidden_global_offset_z
      - .offset:         144
        .size:           2
        .value_kind:     hidden_grid_dims
    .group_segment_fixed_size: 47104
    .kernarg_segment_align: 8
    .kernarg_segment_size: 336
    .language:       OpenCL C
    .language_version:
      - 2
      - 0
    .max_flat_workgroup_size: 256
    .name:           _ZN7rocprim17ROCPRIM_304000_NS6detail25onesweep_iteration_kernelINS1_34wrapped_radix_sort_onesweep_configINS0_14default_configEhN2at4cuda3cub6detail10OpaqueTypeILi8EEEEELb0EPhSC_PSA_SD_mNS0_19identity_decomposerEEEvT1_T2_T3_T4_jPT5_SK_PNS1_23onesweep_lookback_stateET6_jjj
    .private_segment_fixed_size: 0
    .sgpr_count:     74
    .sgpr_spill_count: 0
    .symbol:         _ZN7rocprim17ROCPRIM_304000_NS6detail25onesweep_iteration_kernelINS1_34wrapped_radix_sort_onesweep_configINS0_14default_configEhN2at4cuda3cub6detail10OpaqueTypeILi8EEEEELb0EPhSC_PSA_SD_mNS0_19identity_decomposerEEEvT1_T2_T3_T4_jPT5_SK_PNS1_23onesweep_lookback_stateET6_jjj.kd
    .uniform_work_group_size: 1
    .uses_dynamic_stack: false
    .vgpr_count:     128
    .vgpr_spill_count: 0
    .wavefront_size: 32
    .workgroup_processor_mode: 1
  - .args:
      - .address_space:  global
        .offset:         0
        .size:           8
        .value_kind:     global_buffer
      - .address_space:  global
        .offset:         8
        .size:           8
        .value_kind:     global_buffer
      - .address_space:  global
        .offset:         16
        .size:           8
        .value_kind:     global_buffer
      - .address_space:  global
        .offset:         24
        .size:           8
        .value_kind:     global_buffer
      - .offset:         32
        .size:           4
        .value_kind:     by_value
      - .offset:         36
        .size:           1
        .value_kind:     by_value
      - .offset:         40
        .size:           4
        .value_kind:     by_value
      - .offset:         44
        .size:           4
        .value_kind:     by_value
      - .offset:         48
        .size:           4
        .value_kind:     hidden_block_count_x
      - .offset:         52
        .size:           4
        .value_kind:     hidden_block_count_y
      - .offset:         56
        .size:           4
        .value_kind:     hidden_block_count_z
      - .offset:         60
        .size:           2
        .value_kind:     hidden_group_size_x
      - .offset:         62
        .size:           2
        .value_kind:     hidden_group_size_y
      - .offset:         64
        .size:           2
        .value_kind:     hidden_group_size_z
      - .offset:         66
        .size:           2
        .value_kind:     hidden_remainder_x
      - .offset:         68
        .size:           2
        .value_kind:     hidden_remainder_y
      - .offset:         70
        .size:           2
        .value_kind:     hidden_remainder_z
      - .offset:         88
        .size:           8
        .value_kind:     hidden_global_offset_x
      - .offset:         96
        .size:           8
        .value_kind:     hidden_global_offset_y
      - .offset:         104
        .size:           8
        .value_kind:     hidden_global_offset_z
      - .offset:         112
        .size:           2
        .value_kind:     hidden_grid_dims
    .group_segment_fixed_size: 8224
    .kernarg_segment_align: 8
    .kernarg_segment_size: 304
    .language:       OpenCL C
    .language_version:
      - 2
      - 0
    .max_flat_workgroup_size: 256
    .name:           _ZN7rocprim17ROCPRIM_304000_NS6detail28radix_sort_block_sort_kernelINS1_36wrapped_radix_sort_block_sort_configINS0_13kernel_configILj256ELj4ELj4294967295EEEaN2at4cuda3cub6detail10OpaqueTypeILi8EEEEELb1EPKaPaPKSB_PSB_NS0_19identity_decomposerEEEvT1_T2_T3_T4_jT5_jj
    .private_segment_fixed_size: 0
    .sgpr_count:     32
    .sgpr_spill_count: 0
    .symbol:         _ZN7rocprim17ROCPRIM_304000_NS6detail28radix_sort_block_sort_kernelINS1_36wrapped_radix_sort_block_sort_configINS0_13kernel_configILj256ELj4ELj4294967295EEEaN2at4cuda3cub6detail10OpaqueTypeILi8EEEEELb1EPKaPaPKSB_PSB_NS0_19identity_decomposerEEEvT1_T2_T3_T4_jT5_jj.kd
    .uniform_work_group_size: 1
    .uses_dynamic_stack: false
    .vgpr_count:     51
    .vgpr_spill_count: 0
    .wavefront_size: 32
    .workgroup_processor_mode: 1
  - .args:           []
    .group_segment_fixed_size: 0
    .kernarg_segment_align: 4
    .kernarg_segment_size: 0
    .language:       OpenCL C
    .language_version:
      - 2
      - 0
    .max_flat_workgroup_size: 1024
    .name:           _ZN7rocprim17ROCPRIM_304000_NS6detail39device_merge_sort_compile_time_verifierINS1_36wrapped_merge_sort_block_sort_configINS1_28merge_sort_block_sort_configILj256ELj4ELNS0_20block_sort_algorithmE0EEEaN2at4cuda3cub6detail10OpaqueTypeILi8EEEEENS1_37wrapped_merge_sort_block_merge_configINS0_14default_configEaSC_EEEEvv
    .private_segment_fixed_size: 0
    .sgpr_count:     0
    .sgpr_spill_count: 0
    .symbol:         _ZN7rocprim17ROCPRIM_304000_NS6detail39device_merge_sort_compile_time_verifierINS1_36wrapped_merge_sort_block_sort_configINS1_28merge_sort_block_sort_configILj256ELj4ELNS0_20block_sort_algorithmE0EEEaN2at4cuda3cub6detail10OpaqueTypeILi8EEEEENS1_37wrapped_merge_sort_block_merge_configINS0_14default_configEaSC_EEEEvv.kd
    .uniform_work_group_size: 1
    .uses_dynamic_stack: false
    .vgpr_count:     0
    .vgpr_spill_count: 0
    .wavefront_size: 32
    .workgroup_processor_mode: 1
  - .args:
      - .address_space:  global
        .offset:         0
        .size:           8
        .value_kind:     global_buffer
      - .offset:         8
        .size:           4
        .value_kind:     by_value
      - .offset:         12
        .size:           4
        .value_kind:     by_value
      - .address_space:  global
        .offset:         16
        .size:           8
        .value_kind:     global_buffer
      - .offset:         24
        .size:           1
        .value_kind:     by_value
      - .offset:         28
        .size:           4
        .value_kind:     by_value
    .group_segment_fixed_size: 0
    .kernarg_segment_align: 8
    .kernarg_segment_size: 32
    .language:       OpenCL C
    .language_version:
      - 2
      - 0
    .max_flat_workgroup_size: 128
    .name:           _ZN7rocprim17ROCPRIM_304000_NS6detail45device_block_merge_mergepath_partition_kernelINS1_37wrapped_merge_sort_block_merge_configINS0_14default_configEaN2at4cuda3cub6detail10OpaqueTypeILi8EEEEEPajNS1_19radix_merge_compareILb1ELb0EaNS0_19identity_decomposerEEEEEvT0_T1_jPSH_T2_SH_
    .private_segment_fixed_size: 0
    .sgpr_count:     18
    .sgpr_spill_count: 0
    .symbol:         _ZN7rocprim17ROCPRIM_304000_NS6detail45device_block_merge_mergepath_partition_kernelINS1_37wrapped_merge_sort_block_merge_configINS0_14default_configEaN2at4cuda3cub6detail10OpaqueTypeILi8EEEEEPajNS1_19radix_merge_compareILb1ELb0EaNS0_19identity_decomposerEEEEEvT0_T1_jPSH_T2_SH_.kd
    .uniform_work_group_size: 1
    .uses_dynamic_stack: false
    .vgpr_count:     14
    .vgpr_spill_count: 0
    .wavefront_size: 32
    .workgroup_processor_mode: 1
  - .args:
      - .address_space:  global
        .offset:         0
        .size:           8
        .value_kind:     global_buffer
      - .address_space:  global
        .offset:         8
        .size:           8
        .value_kind:     global_buffer
      - .address_space:  global
        .offset:         16
        .size:           8
        .value_kind:     global_buffer
      - .address_space:  global
        .offset:         24
        .size:           8
        .value_kind:     global_buffer
      - .offset:         32
        .size:           4
        .value_kind:     by_value
      - .offset:         36
        .size:           4
        .value_kind:     by_value
      - .offset:         40
        .size:           4
        .value_kind:     by_value
      - .offset:         44
        .size:           1
        .value_kind:     by_value
      - .address_space:  global
        .offset:         48
        .size:           8
        .value_kind:     global_buffer
      - .address_space:  global
        .offset:         56
        .size:           8
        .value_kind:     global_buffer
      - .offset:         64
        .size:           4
        .value_kind:     hidden_block_count_x
      - .offset:         68
        .size:           4
        .value_kind:     hidden_block_count_y
      - .offset:         72
        .size:           4
        .value_kind:     hidden_block_count_z
      - .offset:         76
        .size:           2
        .value_kind:     hidden_group_size_x
      - .offset:         78
        .size:           2
        .value_kind:     hidden_group_size_y
      - .offset:         80
        .size:           2
        .value_kind:     hidden_group_size_z
      - .offset:         82
        .size:           2
        .value_kind:     hidden_remainder_x
      - .offset:         84
        .size:           2
        .value_kind:     hidden_remainder_y
      - .offset:         86
        .size:           2
        .value_kind:     hidden_remainder_z
      - .offset:         104
        .size:           8
        .value_kind:     hidden_global_offset_x
      - .offset:         112
        .size:           8
        .value_kind:     hidden_global_offset_y
      - .offset:         120
        .size:           8
        .value_kind:     hidden_global_offset_z
      - .offset:         128
        .size:           2
        .value_kind:     hidden_grid_dims
    .group_segment_fixed_size: 8208
    .kernarg_segment_align: 8
    .kernarg_segment_size: 320
    .language:       OpenCL C
    .language_version:
      - 2
      - 0
    .max_flat_workgroup_size: 512
    .name:           _ZN7rocprim17ROCPRIM_304000_NS6detail35device_block_merge_mergepath_kernelINS1_37wrapped_merge_sort_block_merge_configINS0_14default_configEaN2at4cuda3cub6detail10OpaqueTypeILi8EEEEEPaSC_PSA_SD_jNS1_19radix_merge_compareILb1ELb0EaNS0_19identity_decomposerEEEEEvT0_T1_T2_T3_T4_SL_jT5_PKSL_NS1_7vsmem_tE
    .private_segment_fixed_size: 0
    .sgpr_count:     29
    .sgpr_spill_count: 0
    .symbol:         _ZN7rocprim17ROCPRIM_304000_NS6detail35device_block_merge_mergepath_kernelINS1_37wrapped_merge_sort_block_merge_configINS0_14default_configEaN2at4cuda3cub6detail10OpaqueTypeILi8EEEEEPaSC_PSA_SD_jNS1_19radix_merge_compareILb1ELb0EaNS0_19identity_decomposerEEEEEvT0_T1_T2_T3_T4_SL_jT5_PKSL_NS1_7vsmem_tE.kd
    .uniform_work_group_size: 1
    .uses_dynamic_stack: false
    .vgpr_count:     16
    .vgpr_spill_count: 0
    .wavefront_size: 32
    .workgroup_processor_mode: 1
  - .args:
      - .address_space:  global
        .offset:         0
        .size:           8
        .value_kind:     global_buffer
      - .address_space:  global
        .offset:         8
        .size:           8
        .value_kind:     global_buffer
      - .address_space:  global
        .offset:         16
        .size:           8
        .value_kind:     global_buffer
      - .address_space:  global
        .offset:         24
        .size:           8
        .value_kind:     global_buffer
      - .offset:         32
        .size:           4
        .value_kind:     by_value
      - .offset:         36
        .size:           4
        .value_kind:     by_value
      - .offset:         40
        .size:           1
        .value_kind:     by_value
    .group_segment_fixed_size: 0
    .kernarg_segment_align: 8
    .kernarg_segment_size: 44
    .language:       OpenCL C
    .language_version:
      - 2
      - 0
    .max_flat_workgroup_size: 256
    .name:           _ZN7rocprim17ROCPRIM_304000_NS6detail33device_block_merge_oddeven_kernelINS1_37wrapped_merge_sort_block_merge_configINS0_14default_configEaN2at4cuda3cub6detail10OpaqueTypeILi8EEEEEPaSC_PSA_SD_jNS1_19radix_merge_compareILb1ELb0EaNS0_19identity_decomposerEEEEEvT0_T1_T2_T3_T4_SL_T5_
    .private_segment_fixed_size: 0
    .sgpr_count:     22
    .sgpr_spill_count: 0
    .symbol:         _ZN7rocprim17ROCPRIM_304000_NS6detail33device_block_merge_oddeven_kernelINS1_37wrapped_merge_sort_block_merge_configINS0_14default_configEaN2at4cuda3cub6detail10OpaqueTypeILi8EEEEEPaSC_PSA_SD_jNS1_19radix_merge_compareILb1ELb0EaNS0_19identity_decomposerEEEEEvT0_T1_T2_T3_T4_SL_T5_.kd
    .uniform_work_group_size: 1
    .uses_dynamic_stack: false
    .vgpr_count:     9
    .vgpr_spill_count: 0
    .wavefront_size: 32
    .workgroup_processor_mode: 1
  - .args:
      - .address_space:  global
        .offset:         0
        .size:           8
        .value_kind:     global_buffer
      - .offset:         8
        .size:           8
        .value_kind:     by_value
      - .address_space:  global
        .offset:         16
        .size:           8
        .value_kind:     global_buffer
      - .offset:         24
        .size:           1
        .value_kind:     by_value
      - .offset:         32
        .size:           4
        .value_kind:     hidden_block_count_x
      - .offset:         36
        .size:           4
        .value_kind:     hidden_block_count_y
      - .offset:         40
        .size:           4
        .value_kind:     hidden_block_count_z
      - .offset:         44
        .size:           2
        .value_kind:     hidden_group_size_x
      - .offset:         46
        .size:           2
        .value_kind:     hidden_group_size_y
      - .offset:         48
        .size:           2
        .value_kind:     hidden_group_size_z
      - .offset:         50
        .size:           2
        .value_kind:     hidden_remainder_x
      - .offset:         52
        .size:           2
        .value_kind:     hidden_remainder_y
      - .offset:         54
        .size:           2
        .value_kind:     hidden_remainder_z
      - .offset:         72
        .size:           8
        .value_kind:     hidden_global_offset_x
      - .offset:         80
        .size:           8
        .value_kind:     hidden_global_offset_y
      - .offset:         88
        .size:           8
        .value_kind:     hidden_global_offset_z
      - .offset:         96
        .size:           2
        .value_kind:     hidden_grid_dims
    .group_segment_fixed_size: 0
    .kernarg_segment_align: 8
    .kernarg_segment_size: 288
    .language:       OpenCL C
    .language_version:
      - 2
      - 0
    .max_flat_workgroup_size: 1024
    .name:           _ZN7rocprim17ROCPRIM_304000_NS6detail16transform_kernelINS1_24wrapped_transform_configINS0_14default_configEaEEaPaS6_NS0_8identityIaEEEEvT1_mT2_T3_
    .private_segment_fixed_size: 0
    .sgpr_count:     18
    .sgpr_spill_count: 0
    .symbol:         _ZN7rocprim17ROCPRIM_304000_NS6detail16transform_kernelINS1_24wrapped_transform_configINS0_14default_configEaEEaPaS6_NS0_8identityIaEEEEvT1_mT2_T3_.kd
    .uniform_work_group_size: 1
    .uses_dynamic_stack: false
    .vgpr_count:     9
    .vgpr_spill_count: 0
    .wavefront_size: 32
    .workgroup_processor_mode: 1
  - .args:
      - .address_space:  global
        .offset:         0
        .size:           8
        .value_kind:     global_buffer
      - .offset:         8
        .size:           4
        .value_kind:     by_value
      - .offset:         12
        .size:           4
        .value_kind:     by_value
      - .address_space:  global
        .offset:         16
        .size:           8
        .value_kind:     global_buffer
      - .offset:         24
        .size:           1
        .value_kind:     by_value
      - .offset:         28
        .size:           4
        .value_kind:     by_value
    .group_segment_fixed_size: 0
    .kernarg_segment_align: 8
    .kernarg_segment_size: 32
    .language:       OpenCL C
    .language_version:
      - 2
      - 0
    .max_flat_workgroup_size: 128
    .name:           _ZN7rocprim17ROCPRIM_304000_NS6detail45device_block_merge_mergepath_partition_kernelINS1_37wrapped_merge_sort_block_merge_configINS0_14default_configEaN2at4cuda3cub6detail10OpaqueTypeILi8EEEEEPajNS1_19radix_merge_compareILb1ELb1EaNS0_19identity_decomposerEEEEEvT0_T1_jPSH_T2_SH_
    .private_segment_fixed_size: 0
    .sgpr_count:     18
    .sgpr_spill_count: 0
    .symbol:         _ZN7rocprim17ROCPRIM_304000_NS6detail45device_block_merge_mergepath_partition_kernelINS1_37wrapped_merge_sort_block_merge_configINS0_14default_configEaN2at4cuda3cub6detail10OpaqueTypeILi8EEEEEPajNS1_19radix_merge_compareILb1ELb1EaNS0_19identity_decomposerEEEEEvT0_T1_jPSH_T2_SH_.kd
    .uniform_work_group_size: 1
    .uses_dynamic_stack: false
    .vgpr_count:     14
    .vgpr_spill_count: 0
    .wavefront_size: 32
    .workgroup_processor_mode: 1
  - .args:
      - .address_space:  global
        .offset:         0
        .size:           8
        .value_kind:     global_buffer
      - .address_space:  global
        .offset:         8
        .size:           8
        .value_kind:     global_buffer
      - .address_space:  global
        .offset:         16
        .size:           8
        .value_kind:     global_buffer
      - .address_space:  global
        .offset:         24
        .size:           8
        .value_kind:     global_buffer
      - .offset:         32
        .size:           4
        .value_kind:     by_value
      - .offset:         36
        .size:           4
        .value_kind:     by_value
      - .offset:         40
        .size:           4
        .value_kind:     by_value
      - .offset:         44
        .size:           1
        .value_kind:     by_value
      - .address_space:  global
        .offset:         48
        .size:           8
        .value_kind:     global_buffer
      - .address_space:  global
        .offset:         56
        .size:           8
        .value_kind:     global_buffer
      - .offset:         64
        .size:           4
        .value_kind:     hidden_block_count_x
      - .offset:         68
        .size:           4
        .value_kind:     hidden_block_count_y
      - .offset:         72
        .size:           4
        .value_kind:     hidden_block_count_z
      - .offset:         76
        .size:           2
        .value_kind:     hidden_group_size_x
      - .offset:         78
        .size:           2
        .value_kind:     hidden_group_size_y
      - .offset:         80
        .size:           2
        .value_kind:     hidden_group_size_z
      - .offset:         82
        .size:           2
        .value_kind:     hidden_remainder_x
      - .offset:         84
        .size:           2
        .value_kind:     hidden_remainder_y
      - .offset:         86
        .size:           2
        .value_kind:     hidden_remainder_z
      - .offset:         104
        .size:           8
        .value_kind:     hidden_global_offset_x
      - .offset:         112
        .size:           8
        .value_kind:     hidden_global_offset_y
      - .offset:         120
        .size:           8
        .value_kind:     hidden_global_offset_z
      - .offset:         128
        .size:           2
        .value_kind:     hidden_grid_dims
    .group_segment_fixed_size: 8208
    .kernarg_segment_align: 8
    .kernarg_segment_size: 320
    .language:       OpenCL C
    .language_version:
      - 2
      - 0
    .max_flat_workgroup_size: 512
    .name:           _ZN7rocprim17ROCPRIM_304000_NS6detail35device_block_merge_mergepath_kernelINS1_37wrapped_merge_sort_block_merge_configINS0_14default_configEaN2at4cuda3cub6detail10OpaqueTypeILi8EEEEEPaSC_PSA_SD_jNS1_19radix_merge_compareILb1ELb1EaNS0_19identity_decomposerEEEEEvT0_T1_T2_T3_T4_SL_jT5_PKSL_NS1_7vsmem_tE
    .private_segment_fixed_size: 0
    .sgpr_count:     29
    .sgpr_spill_count: 0
    .symbol:         _ZN7rocprim17ROCPRIM_304000_NS6detail35device_block_merge_mergepath_kernelINS1_37wrapped_merge_sort_block_merge_configINS0_14default_configEaN2at4cuda3cub6detail10OpaqueTypeILi8EEEEEPaSC_PSA_SD_jNS1_19radix_merge_compareILb1ELb1EaNS0_19identity_decomposerEEEEEvT0_T1_T2_T3_T4_SL_jT5_PKSL_NS1_7vsmem_tE.kd
    .uniform_work_group_size: 1
    .uses_dynamic_stack: false
    .vgpr_count:     16
    .vgpr_spill_count: 0
    .wavefront_size: 32
    .workgroup_processor_mode: 1
  - .args:
      - .address_space:  global
        .offset:         0
        .size:           8
        .value_kind:     global_buffer
      - .address_space:  global
        .offset:         8
        .size:           8
        .value_kind:     global_buffer
      - .address_space:  global
        .offset:         16
        .size:           8
        .value_kind:     global_buffer
      - .address_space:  global
        .offset:         24
        .size:           8
        .value_kind:     global_buffer
      - .offset:         32
        .size:           4
        .value_kind:     by_value
      - .offset:         36
        .size:           4
        .value_kind:     by_value
      - .offset:         40
        .size:           1
        .value_kind:     by_value
    .group_segment_fixed_size: 0
    .kernarg_segment_align: 8
    .kernarg_segment_size: 44
    .language:       OpenCL C
    .language_version:
      - 2
      - 0
    .max_flat_workgroup_size: 256
    .name:           _ZN7rocprim17ROCPRIM_304000_NS6detail33device_block_merge_oddeven_kernelINS1_37wrapped_merge_sort_block_merge_configINS0_14default_configEaN2at4cuda3cub6detail10OpaqueTypeILi8EEEEEPaSC_PSA_SD_jNS1_19radix_merge_compareILb1ELb1EaNS0_19identity_decomposerEEEEEvT0_T1_T2_T3_T4_SL_T5_
    .private_segment_fixed_size: 0
    .sgpr_count:     24
    .sgpr_spill_count: 0
    .symbol:         _ZN7rocprim17ROCPRIM_304000_NS6detail33device_block_merge_oddeven_kernelINS1_37wrapped_merge_sort_block_merge_configINS0_14default_configEaN2at4cuda3cub6detail10OpaqueTypeILi8EEEEEPaSC_PSA_SD_jNS1_19radix_merge_compareILb1ELb1EaNS0_19identity_decomposerEEEEEvT0_T1_T2_T3_T4_SL_T5_.kd
    .uniform_work_group_size: 1
    .uses_dynamic_stack: false
    .vgpr_count:     10
    .vgpr_spill_count: 0
    .wavefront_size: 32
    .workgroup_processor_mode: 1
  - .args:
      - .address_space:  global
        .offset:         0
        .size:           8
        .value_kind:     global_buffer
      - .address_space:  global
        .offset:         8
        .size:           8
        .value_kind:     global_buffer
      - .offset:         16
        .size:           8
        .value_kind:     by_value
      - .offset:         24
        .size:           8
        .value_kind:     by_value
      - .offset:         32
        .size:           1
        .value_kind:     by_value
      - .offset:         36
        .size:           4
        .value_kind:     by_value
      - .offset:         40
        .size:           4
        .value_kind:     by_value
    .group_segment_fixed_size: 4096
    .kernarg_segment_align: 8
    .kernarg_segment_size: 44
    .language:       OpenCL C
    .language_version:
      - 2
      - 0
    .max_flat_workgroup_size: 256
    .name:           _ZN7rocprim17ROCPRIM_304000_NS6detail26onesweep_histograms_kernelINS1_34wrapped_radix_sort_onesweep_configINS0_14default_configEaN2at4cuda3cub6detail10OpaqueTypeILi8EEEEELb1EPKamNS0_19identity_decomposerEEEvT1_PT2_SG_SG_T3_jj
    .private_segment_fixed_size: 0
    .sgpr_count:     36
    .sgpr_spill_count: 0
    .symbol:         _ZN7rocprim17ROCPRIM_304000_NS6detail26onesweep_histograms_kernelINS1_34wrapped_radix_sort_onesweep_configINS0_14default_configEaN2at4cuda3cub6detail10OpaqueTypeILi8EEEEELb1EPKamNS0_19identity_decomposerEEEvT1_PT2_SG_SG_T3_jj.kd
    .uniform_work_group_size: 1
    .uses_dynamic_stack: false
    .vgpr_count:     35
    .vgpr_spill_count: 0
    .wavefront_size: 32
    .workgroup_processor_mode: 1
  - .args:
      - .address_space:  global
        .offset:         0
        .size:           8
        .value_kind:     global_buffer
    .group_segment_fixed_size: 64
    .kernarg_segment_align: 8
    .kernarg_segment_size: 8
    .language:       OpenCL C
    .language_version:
      - 2
      - 0
    .max_flat_workgroup_size: 256
    .name:           _ZN7rocprim17ROCPRIM_304000_NS6detail31onesweep_scan_histograms_kernelINS1_34wrapped_radix_sort_onesweep_configINS0_14default_configEaN2at4cuda3cub6detail10OpaqueTypeILi8EEEEEmEEvPT0_
    .private_segment_fixed_size: 0
    .sgpr_count:     18
    .sgpr_spill_count: 0
    .symbol:         _ZN7rocprim17ROCPRIM_304000_NS6detail31onesweep_scan_histograms_kernelINS1_34wrapped_radix_sort_onesweep_configINS0_14default_configEaN2at4cuda3cub6detail10OpaqueTypeILi8EEEEEmEEvPT0_.kd
    .uniform_work_group_size: 1
    .uses_dynamic_stack: false
    .vgpr_count:     12
    .vgpr_spill_count: 0
    .wavefront_size: 32
    .workgroup_processor_mode: 1
  - .args:
      - .address_space:  global
        .offset:         0
        .size:           8
        .value_kind:     global_buffer
      - .offset:         8
        .size:           8
        .value_kind:     by_value
      - .address_space:  global
        .offset:         16
        .size:           8
        .value_kind:     global_buffer
      - .offset:         24
        .size:           1
        .value_kind:     by_value
      - .offset:         32
        .size:           4
        .value_kind:     hidden_block_count_x
      - .offset:         36
        .size:           4
        .value_kind:     hidden_block_count_y
      - .offset:         40
        .size:           4
        .value_kind:     hidden_block_count_z
      - .offset:         44
        .size:           2
        .value_kind:     hidden_group_size_x
      - .offset:         46
        .size:           2
        .value_kind:     hidden_group_size_y
      - .offset:         48
        .size:           2
        .value_kind:     hidden_group_size_z
      - .offset:         50
        .size:           2
        .value_kind:     hidden_remainder_x
      - .offset:         52
        .size:           2
        .value_kind:     hidden_remainder_y
      - .offset:         54
        .size:           2
        .value_kind:     hidden_remainder_z
      - .offset:         72
        .size:           8
        .value_kind:     hidden_global_offset_x
      - .offset:         80
        .size:           8
        .value_kind:     hidden_global_offset_y
      - .offset:         88
        .size:           8
        .value_kind:     hidden_global_offset_z
      - .offset:         96
        .size:           2
        .value_kind:     hidden_grid_dims
    .group_segment_fixed_size: 0
    .kernarg_segment_align: 8
    .kernarg_segment_size: 288
    .language:       OpenCL C
    .language_version:
      - 2
      - 0
    .max_flat_workgroup_size: 1024
    .name:           _ZN7rocprim17ROCPRIM_304000_NS6detail16transform_kernelINS1_24wrapped_transform_configINS0_14default_configEaEEaPKaPaNS0_8identityIaEEEEvT1_mT2_T3_
    .private_segment_fixed_size: 0
    .sgpr_count:     18
    .sgpr_spill_count: 0
    .symbol:         _ZN7rocprim17ROCPRIM_304000_NS6detail16transform_kernelINS1_24wrapped_transform_configINS0_14default_configEaEEaPKaPaNS0_8identityIaEEEEvT1_mT2_T3_.kd
    .uniform_work_group_size: 1
    .uses_dynamic_stack: false
    .vgpr_count:     9
    .vgpr_spill_count: 0
    .wavefront_size: 32
    .workgroup_processor_mode: 1
  - .args:
      - .address_space:  global
        .offset:         0
        .size:           8
        .value_kind:     global_buffer
      - .address_space:  global
        .offset:         8
        .size:           8
        .value_kind:     global_buffer
      - .address_space:  global
        .offset:         16
        .size:           8
        .value_kind:     global_buffer
      - .address_space:  global
        .offset:         24
        .size:           8
        .value_kind:     global_buffer
      - .offset:         32
        .size:           4
        .value_kind:     by_value
      - .address_space:  global
        .offset:         40
        .size:           8
        .value_kind:     global_buffer
      - .address_space:  global
        .offset:         48
        .size:           8
        .value_kind:     global_buffer
      - .address_space:  global
        .offset:         56
        .size:           8
        .value_kind:     global_buffer
      - .offset:         64
        .size:           1
        .value_kind:     by_value
      - .offset:         68
        .size:           4
        .value_kind:     by_value
      - .offset:         72
        .size:           4
        .value_kind:     by_value
      - .offset:         76
        .size:           4
        .value_kind:     by_value
      - .offset:         80
        .size:           4
        .value_kind:     hidden_block_count_x
      - .offset:         84
        .size:           4
        .value_kind:     hidden_block_count_y
      - .offset:         88
        .size:           4
        .value_kind:     hidden_block_count_z
      - .offset:         92
        .size:           2
        .value_kind:     hidden_group_size_x
      - .offset:         94
        .size:           2
        .value_kind:     hidden_group_size_y
      - .offset:         96
        .size:           2
        .value_kind:     hidden_group_size_z
      - .offset:         98
        .size:           2
        .value_kind:     hidden_remainder_x
      - .offset:         100
        .size:           2
        .value_kind:     hidden_remainder_y
      - .offset:         102
        .size:           2
        .value_kind:     hidden_remainder_z
      - .offset:         120
        .size:           8
        .value_kind:     hidden_global_offset_x
      - .offset:         128
        .size:           8
        .value_kind:     hidden_global_offset_y
      - .offset:         136
        .size:           8
        .value_kind:     hidden_global_offset_z
      - .offset:         144
        .size:           2
        .value_kind:     hidden_grid_dims
    .group_segment_fixed_size: 47104
    .kernarg_segment_align: 8
    .kernarg_segment_size: 336
    .language:       OpenCL C
    .language_version:
      - 2
      - 0
    .max_flat_workgroup_size: 256
    .name:           _ZN7rocprim17ROCPRIM_304000_NS6detail25onesweep_iteration_kernelINS1_34wrapped_radix_sort_onesweep_configINS0_14default_configEaN2at4cuda3cub6detail10OpaqueTypeILi8EEEEELb1EPKaPaPKSA_PSA_mNS0_19identity_decomposerEEEvT1_T2_T3_T4_jPT5_SO_PNS1_23onesweep_lookback_stateET6_jjj
    .private_segment_fixed_size: 0
    .sgpr_count:     74
    .sgpr_spill_count: 0
    .symbol:         _ZN7rocprim17ROCPRIM_304000_NS6detail25onesweep_iteration_kernelINS1_34wrapped_radix_sort_onesweep_configINS0_14default_configEaN2at4cuda3cub6detail10OpaqueTypeILi8EEEEELb1EPKaPaPKSA_PSA_mNS0_19identity_decomposerEEEvT1_T2_T3_T4_jPT5_SO_PNS1_23onesweep_lookback_stateET6_jjj.kd
    .uniform_work_group_size: 1
    .uses_dynamic_stack: false
    .vgpr_count:     128
    .vgpr_spill_count: 0
    .wavefront_size: 32
    .workgroup_processor_mode: 1
  - .args:
      - .address_space:  global
        .offset:         0
        .size:           8
        .value_kind:     global_buffer
      - .address_space:  global
        .offset:         8
        .size:           8
        .value_kind:     global_buffer
      - .address_space:  global
        .offset:         16
        .size:           8
        .value_kind:     global_buffer
      - .address_space:  global
        .offset:         24
        .size:           8
        .value_kind:     global_buffer
      - .offset:         32
        .size:           4
        .value_kind:     by_value
      - .address_space:  global
        .offset:         40
        .size:           8
        .value_kind:     global_buffer
      - .address_space:  global
        .offset:         48
        .size:           8
        .value_kind:     global_buffer
      - .address_space:  global
        .offset:         56
        .size:           8
        .value_kind:     global_buffer
      - .offset:         64
        .size:           1
        .value_kind:     by_value
      - .offset:         68
        .size:           4
        .value_kind:     by_value
      - .offset:         72
        .size:           4
        .value_kind:     by_value
      - .offset:         76
        .size:           4
        .value_kind:     by_value
      - .offset:         80
        .size:           4
        .value_kind:     hidden_block_count_x
      - .offset:         84
        .size:           4
        .value_kind:     hidden_block_count_y
      - .offset:         88
        .size:           4
        .value_kind:     hidden_block_count_z
      - .offset:         92
        .size:           2
        .value_kind:     hidden_group_size_x
      - .offset:         94
        .size:           2
        .value_kind:     hidden_group_size_y
      - .offset:         96
        .size:           2
        .value_kind:     hidden_group_size_z
      - .offset:         98
        .size:           2
        .value_kind:     hidden_remainder_x
      - .offset:         100
        .size:           2
        .value_kind:     hidden_remainder_y
      - .offset:         102
        .size:           2
        .value_kind:     hidden_remainder_z
      - .offset:         120
        .size:           8
        .value_kind:     hidden_global_offset_x
      - .offset:         128
        .size:           8
        .value_kind:     hidden_global_offset_y
      - .offset:         136
        .size:           8
        .value_kind:     hidden_global_offset_z
      - .offset:         144
        .size:           2
        .value_kind:     hidden_grid_dims
    .group_segment_fixed_size: 47104
    .kernarg_segment_align: 8
    .kernarg_segment_size: 336
    .language:       OpenCL C
    .language_version:
      - 2
      - 0
    .max_flat_workgroup_size: 256
    .name:           _ZN7rocprim17ROCPRIM_304000_NS6detail25onesweep_iteration_kernelINS1_34wrapped_radix_sort_onesweep_configINS0_14default_configEaN2at4cuda3cub6detail10OpaqueTypeILi8EEEEELb1EPaSC_PSA_SD_mNS0_19identity_decomposerEEEvT1_T2_T3_T4_jPT5_SK_PNS1_23onesweep_lookback_stateET6_jjj
    .private_segment_fixed_size: 0
    .sgpr_count:     74
    .sgpr_spill_count: 0
    .symbol:         _ZN7rocprim17ROCPRIM_304000_NS6detail25onesweep_iteration_kernelINS1_34wrapped_radix_sort_onesweep_configINS0_14default_configEaN2at4cuda3cub6detail10OpaqueTypeILi8EEEEELb1EPaSC_PSA_SD_mNS0_19identity_decomposerEEEvT1_T2_T3_T4_jPT5_SK_PNS1_23onesweep_lookback_stateET6_jjj.kd
    .uniform_work_group_size: 1
    .uses_dynamic_stack: false
    .vgpr_count:     128
    .vgpr_spill_count: 0
    .wavefront_size: 32
    .workgroup_processor_mode: 1
  - .args:
      - .address_space:  global
        .offset:         0
        .size:           8
        .value_kind:     global_buffer
      - .address_space:  global
        .offset:         8
        .size:           8
        .value_kind:     global_buffer
      - .address_space:  global
        .offset:         16
        .size:           8
        .value_kind:     global_buffer
      - .address_space:  global
        .offset:         24
        .size:           8
        .value_kind:     global_buffer
      - .offset:         32
        .size:           4
        .value_kind:     by_value
      - .offset:         36
        .size:           1
        .value_kind:     by_value
      - .offset:         40
        .size:           4
        .value_kind:     by_value
      - .offset:         44
        .size:           4
        .value_kind:     by_value
      - .offset:         48
        .size:           4
        .value_kind:     hidden_block_count_x
      - .offset:         52
        .size:           4
        .value_kind:     hidden_block_count_y
      - .offset:         56
        .size:           4
        .value_kind:     hidden_block_count_z
      - .offset:         60
        .size:           2
        .value_kind:     hidden_group_size_x
      - .offset:         62
        .size:           2
        .value_kind:     hidden_group_size_y
      - .offset:         64
        .size:           2
        .value_kind:     hidden_group_size_z
      - .offset:         66
        .size:           2
        .value_kind:     hidden_remainder_x
      - .offset:         68
        .size:           2
        .value_kind:     hidden_remainder_y
      - .offset:         70
        .size:           2
        .value_kind:     hidden_remainder_z
      - .offset:         88
        .size:           8
        .value_kind:     hidden_global_offset_x
      - .offset:         96
        .size:           8
        .value_kind:     hidden_global_offset_y
      - .offset:         104
        .size:           8
        .value_kind:     hidden_global_offset_z
      - .offset:         112
        .size:           2
        .value_kind:     hidden_grid_dims
    .group_segment_fixed_size: 8224
    .kernarg_segment_align: 8
    .kernarg_segment_size: 304
    .language:       OpenCL C
    .language_version:
      - 2
      - 0
    .max_flat_workgroup_size: 256
    .name:           _ZN7rocprim17ROCPRIM_304000_NS6detail28radix_sort_block_sort_kernelINS1_36wrapped_radix_sort_block_sort_configINS0_13kernel_configILj256ELj4ELj4294967295EEEaN2at4cuda3cub6detail10OpaqueTypeILi8EEEEELb0EPKaPaPKSB_PSB_NS0_19identity_decomposerEEEvT1_T2_T3_T4_jT5_jj
    .private_segment_fixed_size: 0
    .sgpr_count:     32
    .sgpr_spill_count: 0
    .symbol:         _ZN7rocprim17ROCPRIM_304000_NS6detail28radix_sort_block_sort_kernelINS1_36wrapped_radix_sort_block_sort_configINS0_13kernel_configILj256ELj4ELj4294967295EEEaN2at4cuda3cub6detail10OpaqueTypeILi8EEEEELb0EPKaPaPKSB_PSB_NS0_19identity_decomposerEEEvT1_T2_T3_T4_jT5_jj.kd
    .uniform_work_group_size: 1
    .uses_dynamic_stack: false
    .vgpr_count:     51
    .vgpr_spill_count: 0
    .wavefront_size: 32
    .workgroup_processor_mode: 1
  - .args:
      - .address_space:  global
        .offset:         0
        .size:           8
        .value_kind:     global_buffer
      - .offset:         8
        .size:           4
        .value_kind:     by_value
      - .offset:         12
        .size:           4
        .value_kind:     by_value
      - .address_space:  global
        .offset:         16
        .size:           8
        .value_kind:     global_buffer
      - .offset:         24
        .size:           1
        .value_kind:     by_value
      - .offset:         28
        .size:           4
        .value_kind:     by_value
    .group_segment_fixed_size: 0
    .kernarg_segment_align: 8
    .kernarg_segment_size: 32
    .language:       OpenCL C
    .language_version:
      - 2
      - 0
    .max_flat_workgroup_size: 128
    .name:           _ZN7rocprim17ROCPRIM_304000_NS6detail45device_block_merge_mergepath_partition_kernelINS1_37wrapped_merge_sort_block_merge_configINS0_14default_configEaN2at4cuda3cub6detail10OpaqueTypeILi8EEEEEPajNS1_19radix_merge_compareILb0ELb0EaNS0_19identity_decomposerEEEEEvT0_T1_jPSH_T2_SH_
    .private_segment_fixed_size: 0
    .sgpr_count:     18
    .sgpr_spill_count: 0
    .symbol:         _ZN7rocprim17ROCPRIM_304000_NS6detail45device_block_merge_mergepath_partition_kernelINS1_37wrapped_merge_sort_block_merge_configINS0_14default_configEaN2at4cuda3cub6detail10OpaqueTypeILi8EEEEEPajNS1_19radix_merge_compareILb0ELb0EaNS0_19identity_decomposerEEEEEvT0_T1_jPSH_T2_SH_.kd
    .uniform_work_group_size: 1
    .uses_dynamic_stack: false
    .vgpr_count:     14
    .vgpr_spill_count: 0
    .wavefront_size: 32
    .workgroup_processor_mode: 1
  - .args:
      - .address_space:  global
        .offset:         0
        .size:           8
        .value_kind:     global_buffer
      - .address_space:  global
        .offset:         8
        .size:           8
        .value_kind:     global_buffer
      - .address_space:  global
        .offset:         16
        .size:           8
        .value_kind:     global_buffer
      - .address_space:  global
        .offset:         24
        .size:           8
        .value_kind:     global_buffer
      - .offset:         32
        .size:           4
        .value_kind:     by_value
      - .offset:         36
        .size:           4
        .value_kind:     by_value
      - .offset:         40
        .size:           4
        .value_kind:     by_value
      - .offset:         44
        .size:           1
        .value_kind:     by_value
      - .address_space:  global
        .offset:         48
        .size:           8
        .value_kind:     global_buffer
      - .address_space:  global
        .offset:         56
        .size:           8
        .value_kind:     global_buffer
      - .offset:         64
        .size:           4
        .value_kind:     hidden_block_count_x
      - .offset:         68
        .size:           4
        .value_kind:     hidden_block_count_y
      - .offset:         72
        .size:           4
        .value_kind:     hidden_block_count_z
      - .offset:         76
        .size:           2
        .value_kind:     hidden_group_size_x
      - .offset:         78
        .size:           2
        .value_kind:     hidden_group_size_y
      - .offset:         80
        .size:           2
        .value_kind:     hidden_group_size_z
      - .offset:         82
        .size:           2
        .value_kind:     hidden_remainder_x
      - .offset:         84
        .size:           2
        .value_kind:     hidden_remainder_y
      - .offset:         86
        .size:           2
        .value_kind:     hidden_remainder_z
      - .offset:         104
        .size:           8
        .value_kind:     hidden_global_offset_x
      - .offset:         112
        .size:           8
        .value_kind:     hidden_global_offset_y
      - .offset:         120
        .size:           8
        .value_kind:     hidden_global_offset_z
      - .offset:         128
        .size:           2
        .value_kind:     hidden_grid_dims
    .group_segment_fixed_size: 8208
    .kernarg_segment_align: 8
    .kernarg_segment_size: 320
    .language:       OpenCL C
    .language_version:
      - 2
      - 0
    .max_flat_workgroup_size: 512
    .name:           _ZN7rocprim17ROCPRIM_304000_NS6detail35device_block_merge_mergepath_kernelINS1_37wrapped_merge_sort_block_merge_configINS0_14default_configEaN2at4cuda3cub6detail10OpaqueTypeILi8EEEEEPaSC_PSA_SD_jNS1_19radix_merge_compareILb0ELb0EaNS0_19identity_decomposerEEEEEvT0_T1_T2_T3_T4_SL_jT5_PKSL_NS1_7vsmem_tE
    .private_segment_fixed_size: 0
    .sgpr_count:     29
    .sgpr_spill_count: 0
    .symbol:         _ZN7rocprim17ROCPRIM_304000_NS6detail35device_block_merge_mergepath_kernelINS1_37wrapped_merge_sort_block_merge_configINS0_14default_configEaN2at4cuda3cub6detail10OpaqueTypeILi8EEEEEPaSC_PSA_SD_jNS1_19radix_merge_compareILb0ELb0EaNS0_19identity_decomposerEEEEEvT0_T1_T2_T3_T4_SL_jT5_PKSL_NS1_7vsmem_tE.kd
    .uniform_work_group_size: 1
    .uses_dynamic_stack: false
    .vgpr_count:     16
    .vgpr_spill_count: 0
    .wavefront_size: 32
    .workgroup_processor_mode: 1
  - .args:
      - .address_space:  global
        .offset:         0
        .size:           8
        .value_kind:     global_buffer
      - .address_space:  global
        .offset:         8
        .size:           8
        .value_kind:     global_buffer
      - .address_space:  global
        .offset:         16
        .size:           8
        .value_kind:     global_buffer
      - .address_space:  global
        .offset:         24
        .size:           8
        .value_kind:     global_buffer
      - .offset:         32
        .size:           4
        .value_kind:     by_value
      - .offset:         36
        .size:           4
        .value_kind:     by_value
      - .offset:         40
        .size:           1
        .value_kind:     by_value
    .group_segment_fixed_size: 0
    .kernarg_segment_align: 8
    .kernarg_segment_size: 44
    .language:       OpenCL C
    .language_version:
      - 2
      - 0
    .max_flat_workgroup_size: 256
    .name:           _ZN7rocprim17ROCPRIM_304000_NS6detail33device_block_merge_oddeven_kernelINS1_37wrapped_merge_sort_block_merge_configINS0_14default_configEaN2at4cuda3cub6detail10OpaqueTypeILi8EEEEEPaSC_PSA_SD_jNS1_19radix_merge_compareILb0ELb0EaNS0_19identity_decomposerEEEEEvT0_T1_T2_T3_T4_SL_T5_
    .private_segment_fixed_size: 0
    .sgpr_count:     22
    .sgpr_spill_count: 0
    .symbol:         _ZN7rocprim17ROCPRIM_304000_NS6detail33device_block_merge_oddeven_kernelINS1_37wrapped_merge_sort_block_merge_configINS0_14default_configEaN2at4cuda3cub6detail10OpaqueTypeILi8EEEEEPaSC_PSA_SD_jNS1_19radix_merge_compareILb0ELb0EaNS0_19identity_decomposerEEEEEvT0_T1_T2_T3_T4_SL_T5_.kd
    .uniform_work_group_size: 1
    .uses_dynamic_stack: false
    .vgpr_count:     9
    .vgpr_spill_count: 0
    .wavefront_size: 32
    .workgroup_processor_mode: 1
  - .args:
      - .address_space:  global
        .offset:         0
        .size:           8
        .value_kind:     global_buffer
      - .offset:         8
        .size:           4
        .value_kind:     by_value
      - .offset:         12
        .size:           4
        .value_kind:     by_value
      - .address_space:  global
        .offset:         16
        .size:           8
        .value_kind:     global_buffer
      - .offset:         24
        .size:           1
        .value_kind:     by_value
      - .offset:         28
        .size:           4
        .value_kind:     by_value
    .group_segment_fixed_size: 0
    .kernarg_segment_align: 8
    .kernarg_segment_size: 32
    .language:       OpenCL C
    .language_version:
      - 2
      - 0
    .max_flat_workgroup_size: 128
    .name:           _ZN7rocprim17ROCPRIM_304000_NS6detail45device_block_merge_mergepath_partition_kernelINS1_37wrapped_merge_sort_block_merge_configINS0_14default_configEaN2at4cuda3cub6detail10OpaqueTypeILi8EEEEEPajNS1_19radix_merge_compareILb0ELb1EaNS0_19identity_decomposerEEEEEvT0_T1_jPSH_T2_SH_
    .private_segment_fixed_size: 0
    .sgpr_count:     18
    .sgpr_spill_count: 0
    .symbol:         _ZN7rocprim17ROCPRIM_304000_NS6detail45device_block_merge_mergepath_partition_kernelINS1_37wrapped_merge_sort_block_merge_configINS0_14default_configEaN2at4cuda3cub6detail10OpaqueTypeILi8EEEEEPajNS1_19radix_merge_compareILb0ELb1EaNS0_19identity_decomposerEEEEEvT0_T1_jPSH_T2_SH_.kd
    .uniform_work_group_size: 1
    .uses_dynamic_stack: false
    .vgpr_count:     14
    .vgpr_spill_count: 0
    .wavefront_size: 32
    .workgroup_processor_mode: 1
  - .args:
      - .address_space:  global
        .offset:         0
        .size:           8
        .value_kind:     global_buffer
      - .address_space:  global
        .offset:         8
        .size:           8
        .value_kind:     global_buffer
      - .address_space:  global
        .offset:         16
        .size:           8
        .value_kind:     global_buffer
      - .address_space:  global
        .offset:         24
        .size:           8
        .value_kind:     global_buffer
      - .offset:         32
        .size:           4
        .value_kind:     by_value
      - .offset:         36
        .size:           4
        .value_kind:     by_value
      - .offset:         40
        .size:           4
        .value_kind:     by_value
      - .offset:         44
        .size:           1
        .value_kind:     by_value
      - .address_space:  global
        .offset:         48
        .size:           8
        .value_kind:     global_buffer
      - .address_space:  global
        .offset:         56
        .size:           8
        .value_kind:     global_buffer
      - .offset:         64
        .size:           4
        .value_kind:     hidden_block_count_x
      - .offset:         68
        .size:           4
        .value_kind:     hidden_block_count_y
      - .offset:         72
        .size:           4
        .value_kind:     hidden_block_count_z
      - .offset:         76
        .size:           2
        .value_kind:     hidden_group_size_x
      - .offset:         78
        .size:           2
        .value_kind:     hidden_group_size_y
      - .offset:         80
        .size:           2
        .value_kind:     hidden_group_size_z
      - .offset:         82
        .size:           2
        .value_kind:     hidden_remainder_x
      - .offset:         84
        .size:           2
        .value_kind:     hidden_remainder_y
      - .offset:         86
        .size:           2
        .value_kind:     hidden_remainder_z
      - .offset:         104
        .size:           8
        .value_kind:     hidden_global_offset_x
      - .offset:         112
        .size:           8
        .value_kind:     hidden_global_offset_y
      - .offset:         120
        .size:           8
        .value_kind:     hidden_global_offset_z
      - .offset:         128
        .size:           2
        .value_kind:     hidden_grid_dims
    .group_segment_fixed_size: 8208
    .kernarg_segment_align: 8
    .kernarg_segment_size: 320
    .language:       OpenCL C
    .language_version:
      - 2
      - 0
    .max_flat_workgroup_size: 512
    .name:           _ZN7rocprim17ROCPRIM_304000_NS6detail35device_block_merge_mergepath_kernelINS1_37wrapped_merge_sort_block_merge_configINS0_14default_configEaN2at4cuda3cub6detail10OpaqueTypeILi8EEEEEPaSC_PSA_SD_jNS1_19radix_merge_compareILb0ELb1EaNS0_19identity_decomposerEEEEEvT0_T1_T2_T3_T4_SL_jT5_PKSL_NS1_7vsmem_tE
    .private_segment_fixed_size: 0
    .sgpr_count:     29
    .sgpr_spill_count: 0
    .symbol:         _ZN7rocprim17ROCPRIM_304000_NS6detail35device_block_merge_mergepath_kernelINS1_37wrapped_merge_sort_block_merge_configINS0_14default_configEaN2at4cuda3cub6detail10OpaqueTypeILi8EEEEEPaSC_PSA_SD_jNS1_19radix_merge_compareILb0ELb1EaNS0_19identity_decomposerEEEEEvT0_T1_T2_T3_T4_SL_jT5_PKSL_NS1_7vsmem_tE.kd
    .uniform_work_group_size: 1
    .uses_dynamic_stack: false
    .vgpr_count:     16
    .vgpr_spill_count: 0
    .wavefront_size: 32
    .workgroup_processor_mode: 1
  - .args:
      - .address_space:  global
        .offset:         0
        .size:           8
        .value_kind:     global_buffer
      - .address_space:  global
        .offset:         8
        .size:           8
        .value_kind:     global_buffer
      - .address_space:  global
        .offset:         16
        .size:           8
        .value_kind:     global_buffer
      - .address_space:  global
        .offset:         24
        .size:           8
        .value_kind:     global_buffer
      - .offset:         32
        .size:           4
        .value_kind:     by_value
      - .offset:         36
        .size:           4
        .value_kind:     by_value
      - .offset:         40
        .size:           1
        .value_kind:     by_value
    .group_segment_fixed_size: 0
    .kernarg_segment_align: 8
    .kernarg_segment_size: 44
    .language:       OpenCL C
    .language_version:
      - 2
      - 0
    .max_flat_workgroup_size: 256
    .name:           _ZN7rocprim17ROCPRIM_304000_NS6detail33device_block_merge_oddeven_kernelINS1_37wrapped_merge_sort_block_merge_configINS0_14default_configEaN2at4cuda3cub6detail10OpaqueTypeILi8EEEEEPaSC_PSA_SD_jNS1_19radix_merge_compareILb0ELb1EaNS0_19identity_decomposerEEEEEvT0_T1_T2_T3_T4_SL_T5_
    .private_segment_fixed_size: 0
    .sgpr_count:     24
    .sgpr_spill_count: 0
    .symbol:         _ZN7rocprim17ROCPRIM_304000_NS6detail33device_block_merge_oddeven_kernelINS1_37wrapped_merge_sort_block_merge_configINS0_14default_configEaN2at4cuda3cub6detail10OpaqueTypeILi8EEEEEPaSC_PSA_SD_jNS1_19radix_merge_compareILb0ELb1EaNS0_19identity_decomposerEEEEEvT0_T1_T2_T3_T4_SL_T5_.kd
    .uniform_work_group_size: 1
    .uses_dynamic_stack: false
    .vgpr_count:     10
    .vgpr_spill_count: 0
    .wavefront_size: 32
    .workgroup_processor_mode: 1
  - .args:
      - .address_space:  global
        .offset:         0
        .size:           8
        .value_kind:     global_buffer
      - .address_space:  global
        .offset:         8
        .size:           8
        .value_kind:     global_buffer
      - .offset:         16
        .size:           8
        .value_kind:     by_value
      - .offset:         24
        .size:           8
        .value_kind:     by_value
      - .offset:         32
        .size:           1
        .value_kind:     by_value
      - .offset:         36
        .size:           4
        .value_kind:     by_value
      - .offset:         40
        .size:           4
        .value_kind:     by_value
    .group_segment_fixed_size: 4096
    .kernarg_segment_align: 8
    .kernarg_segment_size: 44
    .language:       OpenCL C
    .language_version:
      - 2
      - 0
    .max_flat_workgroup_size: 256
    .name:           _ZN7rocprim17ROCPRIM_304000_NS6detail26onesweep_histograms_kernelINS1_34wrapped_radix_sort_onesweep_configINS0_14default_configEaN2at4cuda3cub6detail10OpaqueTypeILi8EEEEELb0EPKamNS0_19identity_decomposerEEEvT1_PT2_SG_SG_T3_jj
    .private_segment_fixed_size: 0
    .sgpr_count:     36
    .sgpr_spill_count: 0
    .symbol:         _ZN7rocprim17ROCPRIM_304000_NS6detail26onesweep_histograms_kernelINS1_34wrapped_radix_sort_onesweep_configINS0_14default_configEaN2at4cuda3cub6detail10OpaqueTypeILi8EEEEELb0EPKamNS0_19identity_decomposerEEEvT1_PT2_SG_SG_T3_jj.kd
    .uniform_work_group_size: 1
    .uses_dynamic_stack: false
    .vgpr_count:     35
    .vgpr_spill_count: 0
    .wavefront_size: 32
    .workgroup_processor_mode: 1
  - .args:
      - .address_space:  global
        .offset:         0
        .size:           8
        .value_kind:     global_buffer
      - .address_space:  global
        .offset:         8
        .size:           8
        .value_kind:     global_buffer
      - .address_space:  global
        .offset:         16
        .size:           8
        .value_kind:     global_buffer
      - .address_space:  global
        .offset:         24
        .size:           8
        .value_kind:     global_buffer
      - .offset:         32
        .size:           4
        .value_kind:     by_value
      - .address_space:  global
        .offset:         40
        .size:           8
        .value_kind:     global_buffer
      - .address_space:  global
        .offset:         48
        .size:           8
        .value_kind:     global_buffer
      - .address_space:  global
        .offset:         56
        .size:           8
        .value_kind:     global_buffer
      - .offset:         64
        .size:           1
        .value_kind:     by_value
      - .offset:         68
        .size:           4
        .value_kind:     by_value
      - .offset:         72
        .size:           4
        .value_kind:     by_value
      - .offset:         76
        .size:           4
        .value_kind:     by_value
      - .offset:         80
        .size:           4
        .value_kind:     hidden_block_count_x
      - .offset:         84
        .size:           4
        .value_kind:     hidden_block_count_y
      - .offset:         88
        .size:           4
        .value_kind:     hidden_block_count_z
      - .offset:         92
        .size:           2
        .value_kind:     hidden_group_size_x
      - .offset:         94
        .size:           2
        .value_kind:     hidden_group_size_y
      - .offset:         96
        .size:           2
        .value_kind:     hidden_group_size_z
      - .offset:         98
        .size:           2
        .value_kind:     hidden_remainder_x
      - .offset:         100
        .size:           2
        .value_kind:     hidden_remainder_y
      - .offset:         102
        .size:           2
        .value_kind:     hidden_remainder_z
      - .offset:         120
        .size:           8
        .value_kind:     hidden_global_offset_x
      - .offset:         128
        .size:           8
        .value_kind:     hidden_global_offset_y
      - .offset:         136
        .size:           8
        .value_kind:     hidden_global_offset_z
      - .offset:         144
        .size:           2
        .value_kind:     hidden_grid_dims
    .group_segment_fixed_size: 47104
    .kernarg_segment_align: 8
    .kernarg_segment_size: 336
    .language:       OpenCL C
    .language_version:
      - 2
      - 0
    .max_flat_workgroup_size: 256
    .name:           _ZN7rocprim17ROCPRIM_304000_NS6detail25onesweep_iteration_kernelINS1_34wrapped_radix_sort_onesweep_configINS0_14default_configEaN2at4cuda3cub6detail10OpaqueTypeILi8EEEEELb0EPKaPaPKSA_PSA_mNS0_19identity_decomposerEEEvT1_T2_T3_T4_jPT5_SO_PNS1_23onesweep_lookback_stateET6_jjj
    .private_segment_fixed_size: 0
    .sgpr_count:     74
    .sgpr_spill_count: 0
    .symbol:         _ZN7rocprim17ROCPRIM_304000_NS6detail25onesweep_iteration_kernelINS1_34wrapped_radix_sort_onesweep_configINS0_14default_configEaN2at4cuda3cub6detail10OpaqueTypeILi8EEEEELb0EPKaPaPKSA_PSA_mNS0_19identity_decomposerEEEvT1_T2_T3_T4_jPT5_SO_PNS1_23onesweep_lookback_stateET6_jjj.kd
    .uniform_work_group_size: 1
    .uses_dynamic_stack: false
    .vgpr_count:     128
    .vgpr_spill_count: 0
    .wavefront_size: 32
    .workgroup_processor_mode: 1
  - .args:
      - .address_space:  global
        .offset:         0
        .size:           8
        .value_kind:     global_buffer
      - .address_space:  global
        .offset:         8
        .size:           8
        .value_kind:     global_buffer
      - .address_space:  global
        .offset:         16
        .size:           8
        .value_kind:     global_buffer
      - .address_space:  global
        .offset:         24
        .size:           8
        .value_kind:     global_buffer
      - .offset:         32
        .size:           4
        .value_kind:     by_value
      - .address_space:  global
        .offset:         40
        .size:           8
        .value_kind:     global_buffer
      - .address_space:  global
        .offset:         48
        .size:           8
        .value_kind:     global_buffer
      - .address_space:  global
        .offset:         56
        .size:           8
        .value_kind:     global_buffer
      - .offset:         64
        .size:           1
        .value_kind:     by_value
      - .offset:         68
        .size:           4
        .value_kind:     by_value
      - .offset:         72
        .size:           4
        .value_kind:     by_value
      - .offset:         76
        .size:           4
        .value_kind:     by_value
      - .offset:         80
        .size:           4
        .value_kind:     hidden_block_count_x
      - .offset:         84
        .size:           4
        .value_kind:     hidden_block_count_y
      - .offset:         88
        .size:           4
        .value_kind:     hidden_block_count_z
      - .offset:         92
        .size:           2
        .value_kind:     hidden_group_size_x
      - .offset:         94
        .size:           2
        .value_kind:     hidden_group_size_y
      - .offset:         96
        .size:           2
        .value_kind:     hidden_group_size_z
      - .offset:         98
        .size:           2
        .value_kind:     hidden_remainder_x
      - .offset:         100
        .size:           2
        .value_kind:     hidden_remainder_y
      - .offset:         102
        .size:           2
        .value_kind:     hidden_remainder_z
      - .offset:         120
        .size:           8
        .value_kind:     hidden_global_offset_x
      - .offset:         128
        .size:           8
        .value_kind:     hidden_global_offset_y
      - .offset:         136
        .size:           8
        .value_kind:     hidden_global_offset_z
      - .offset:         144
        .size:           2
        .value_kind:     hidden_grid_dims
    .group_segment_fixed_size: 47104
    .kernarg_segment_align: 8
    .kernarg_segment_size: 336
    .language:       OpenCL C
    .language_version:
      - 2
      - 0
    .max_flat_workgroup_size: 256
    .name:           _ZN7rocprim17ROCPRIM_304000_NS6detail25onesweep_iteration_kernelINS1_34wrapped_radix_sort_onesweep_configINS0_14default_configEaN2at4cuda3cub6detail10OpaqueTypeILi8EEEEELb0EPaSC_PSA_SD_mNS0_19identity_decomposerEEEvT1_T2_T3_T4_jPT5_SK_PNS1_23onesweep_lookback_stateET6_jjj
    .private_segment_fixed_size: 0
    .sgpr_count:     74
    .sgpr_spill_count: 0
    .symbol:         _ZN7rocprim17ROCPRIM_304000_NS6detail25onesweep_iteration_kernelINS1_34wrapped_radix_sort_onesweep_configINS0_14default_configEaN2at4cuda3cub6detail10OpaqueTypeILi8EEEEELb0EPaSC_PSA_SD_mNS0_19identity_decomposerEEEvT1_T2_T3_T4_jPT5_SK_PNS1_23onesweep_lookback_stateET6_jjj.kd
    .uniform_work_group_size: 1
    .uses_dynamic_stack: false
    .vgpr_count:     128
    .vgpr_spill_count: 0
    .wavefront_size: 32
    .workgroup_processor_mode: 1
  - .args:
      - .address_space:  global
        .offset:         0
        .size:           8
        .value_kind:     global_buffer
      - .address_space:  global
        .offset:         8
        .size:           8
        .value_kind:     global_buffer
      - .address_space:  global
        .offset:         16
        .size:           8
        .value_kind:     global_buffer
      - .address_space:  global
        .offset:         24
        .size:           8
        .value_kind:     global_buffer
      - .offset:         32
        .size:           4
        .value_kind:     by_value
      - .offset:         36
        .size:           1
        .value_kind:     by_value
      - .offset:         40
        .size:           4
        .value_kind:     by_value
      - .offset:         44
        .size:           4
        .value_kind:     by_value
      - .offset:         48
        .size:           4
        .value_kind:     hidden_block_count_x
      - .offset:         52
        .size:           4
        .value_kind:     hidden_block_count_y
      - .offset:         56
        .size:           4
        .value_kind:     hidden_block_count_z
      - .offset:         60
        .size:           2
        .value_kind:     hidden_group_size_x
      - .offset:         62
        .size:           2
        .value_kind:     hidden_group_size_y
      - .offset:         64
        .size:           2
        .value_kind:     hidden_group_size_z
      - .offset:         66
        .size:           2
        .value_kind:     hidden_remainder_x
      - .offset:         68
        .size:           2
        .value_kind:     hidden_remainder_y
      - .offset:         70
        .size:           2
        .value_kind:     hidden_remainder_z
      - .offset:         88
        .size:           8
        .value_kind:     hidden_global_offset_x
      - .offset:         96
        .size:           8
        .value_kind:     hidden_global_offset_y
      - .offset:         104
        .size:           8
        .value_kind:     hidden_global_offset_z
      - .offset:         112
        .size:           2
        .value_kind:     hidden_grid_dims
    .group_segment_fixed_size: 8224
    .kernarg_segment_align: 8
    .kernarg_segment_size: 304
    .language:       OpenCL C
    .language_version:
      - 2
      - 0
    .max_flat_workgroup_size: 256
    .name:           _ZN7rocprim17ROCPRIM_304000_NS6detail28radix_sort_block_sort_kernelINS1_36wrapped_radix_sort_block_sort_configINS0_13kernel_configILj256ELj4ELj4294967295EEEsN2at4cuda3cub6detail10OpaqueTypeILi8EEEEELb1EPKsPsPKSB_PSB_NS0_19identity_decomposerEEEvT1_T2_T3_T4_jT5_jj
    .private_segment_fixed_size: 0
    .sgpr_count:     34
    .sgpr_spill_count: 0
    .symbol:         _ZN7rocprim17ROCPRIM_304000_NS6detail28radix_sort_block_sort_kernelINS1_36wrapped_radix_sort_block_sort_configINS0_13kernel_configILj256ELj4ELj4294967295EEEsN2at4cuda3cub6detail10OpaqueTypeILi8EEEEELb1EPKsPsPKSB_PSB_NS0_19identity_decomposerEEEvT1_T2_T3_T4_jT5_jj.kd
    .uniform_work_group_size: 1
    .uses_dynamic_stack: false
    .vgpr_count:     53
    .vgpr_spill_count: 0
    .wavefront_size: 32
    .workgroup_processor_mode: 1
  - .args:           []
    .group_segment_fixed_size: 0
    .kernarg_segment_align: 4
    .kernarg_segment_size: 0
    .language:       OpenCL C
    .language_version:
      - 2
      - 0
    .max_flat_workgroup_size: 1024
    .name:           _ZN7rocprim17ROCPRIM_304000_NS6detail39device_merge_sort_compile_time_verifierINS1_36wrapped_merge_sort_block_sort_configINS1_28merge_sort_block_sort_configILj256ELj4ELNS0_20block_sort_algorithmE0EEEsN2at4cuda3cub6detail10OpaqueTypeILi8EEEEENS1_37wrapped_merge_sort_block_merge_configINS0_14default_configEsSC_EEEEvv
    .private_segment_fixed_size: 0
    .sgpr_count:     0
    .sgpr_spill_count: 0
    .symbol:         _ZN7rocprim17ROCPRIM_304000_NS6detail39device_merge_sort_compile_time_verifierINS1_36wrapped_merge_sort_block_sort_configINS1_28merge_sort_block_sort_configILj256ELj4ELNS0_20block_sort_algorithmE0EEEsN2at4cuda3cub6detail10OpaqueTypeILi8EEEEENS1_37wrapped_merge_sort_block_merge_configINS0_14default_configEsSC_EEEEvv.kd
    .uniform_work_group_size: 1
    .uses_dynamic_stack: false
    .vgpr_count:     0
    .vgpr_spill_count: 0
    .wavefront_size: 32
    .workgroup_processor_mode: 1
  - .args:
      - .address_space:  global
        .offset:         0
        .size:           8
        .value_kind:     global_buffer
      - .offset:         8
        .size:           4
        .value_kind:     by_value
      - .offset:         12
        .size:           4
        .value_kind:     by_value
      - .address_space:  global
        .offset:         16
        .size:           8
        .value_kind:     global_buffer
      - .offset:         24
        .size:           1
        .value_kind:     by_value
      - .offset:         28
        .size:           4
        .value_kind:     by_value
    .group_segment_fixed_size: 0
    .kernarg_segment_align: 8
    .kernarg_segment_size: 32
    .language:       OpenCL C
    .language_version:
      - 2
      - 0
    .max_flat_workgroup_size: 128
    .name:           _ZN7rocprim17ROCPRIM_304000_NS6detail45device_block_merge_mergepath_partition_kernelINS1_37wrapped_merge_sort_block_merge_configINS0_14default_configEsN2at4cuda3cub6detail10OpaqueTypeILi8EEEEEPsjNS1_19radix_merge_compareILb1ELb0EsNS0_19identity_decomposerEEEEEvT0_T1_jPSH_T2_SH_
    .private_segment_fixed_size: 0
    .sgpr_count:     18
    .sgpr_spill_count: 0
    .symbol:         _ZN7rocprim17ROCPRIM_304000_NS6detail45device_block_merge_mergepath_partition_kernelINS1_37wrapped_merge_sort_block_merge_configINS0_14default_configEsN2at4cuda3cub6detail10OpaqueTypeILi8EEEEEPsjNS1_19radix_merge_compareILb1ELb0EsNS0_19identity_decomposerEEEEEvT0_T1_jPSH_T2_SH_.kd
    .uniform_work_group_size: 1
    .uses_dynamic_stack: false
    .vgpr_count:     16
    .vgpr_spill_count: 0
    .wavefront_size: 32
    .workgroup_processor_mode: 1
  - .args:
      - .address_space:  global
        .offset:         0
        .size:           8
        .value_kind:     global_buffer
      - .address_space:  global
        .offset:         8
        .size:           8
        .value_kind:     global_buffer
      - .address_space:  global
        .offset:         16
        .size:           8
        .value_kind:     global_buffer
      - .address_space:  global
        .offset:         24
        .size:           8
        .value_kind:     global_buffer
      - .offset:         32
        .size:           4
        .value_kind:     by_value
      - .offset:         36
        .size:           4
        .value_kind:     by_value
      - .offset:         40
        .size:           4
        .value_kind:     by_value
      - .offset:         44
        .size:           1
        .value_kind:     by_value
      - .address_space:  global
        .offset:         48
        .size:           8
        .value_kind:     global_buffer
      - .address_space:  global
        .offset:         56
        .size:           8
        .value_kind:     global_buffer
      - .offset:         64
        .size:           4
        .value_kind:     hidden_block_count_x
      - .offset:         68
        .size:           4
        .value_kind:     hidden_block_count_y
      - .offset:         72
        .size:           4
        .value_kind:     hidden_block_count_z
      - .offset:         76
        .size:           2
        .value_kind:     hidden_group_size_x
      - .offset:         78
        .size:           2
        .value_kind:     hidden_group_size_y
      - .offset:         80
        .size:           2
        .value_kind:     hidden_group_size_z
      - .offset:         82
        .size:           2
        .value_kind:     hidden_remainder_x
      - .offset:         84
        .size:           2
        .value_kind:     hidden_remainder_y
      - .offset:         86
        .size:           2
        .value_kind:     hidden_remainder_z
      - .offset:         104
        .size:           8
        .value_kind:     hidden_global_offset_x
      - .offset:         112
        .size:           8
        .value_kind:     hidden_global_offset_y
      - .offset:         120
        .size:           8
        .value_kind:     hidden_global_offset_z
      - .offset:         128
        .size:           2
        .value_kind:     hidden_grid_dims
    .group_segment_fixed_size: 8208
    .kernarg_segment_align: 8
    .kernarg_segment_size: 320
    .language:       OpenCL C
    .language_version:
      - 2
      - 0
    .max_flat_workgroup_size: 512
    .name:           _ZN7rocprim17ROCPRIM_304000_NS6detail35device_block_merge_mergepath_kernelINS1_37wrapped_merge_sort_block_merge_configINS0_14default_configEsN2at4cuda3cub6detail10OpaqueTypeILi8EEEEEPsSC_PSA_SD_jNS1_19radix_merge_compareILb1ELb0EsNS0_19identity_decomposerEEEEEvT0_T1_T2_T3_T4_SL_jT5_PKSL_NS1_7vsmem_tE
    .private_segment_fixed_size: 0
    .sgpr_count:     32
    .sgpr_spill_count: 0
    .symbol:         _ZN7rocprim17ROCPRIM_304000_NS6detail35device_block_merge_mergepath_kernelINS1_37wrapped_merge_sort_block_merge_configINS0_14default_configEsN2at4cuda3cub6detail10OpaqueTypeILi8EEEEEPsSC_PSA_SD_jNS1_19radix_merge_compareILb1ELb0EsNS0_19identity_decomposerEEEEEvT0_T1_T2_T3_T4_SL_jT5_PKSL_NS1_7vsmem_tE.kd
    .uniform_work_group_size: 1
    .uses_dynamic_stack: false
    .vgpr_count:     15
    .vgpr_spill_count: 0
    .wavefront_size: 32
    .workgroup_processor_mode: 1
  - .args:
      - .address_space:  global
        .offset:         0
        .size:           8
        .value_kind:     global_buffer
      - .address_space:  global
        .offset:         8
        .size:           8
        .value_kind:     global_buffer
      - .address_space:  global
        .offset:         16
        .size:           8
        .value_kind:     global_buffer
      - .address_space:  global
        .offset:         24
        .size:           8
        .value_kind:     global_buffer
      - .offset:         32
        .size:           4
        .value_kind:     by_value
      - .offset:         36
        .size:           4
        .value_kind:     by_value
      - .offset:         40
        .size:           1
        .value_kind:     by_value
    .group_segment_fixed_size: 0
    .kernarg_segment_align: 8
    .kernarg_segment_size: 44
    .language:       OpenCL C
    .language_version:
      - 2
      - 0
    .max_flat_workgroup_size: 256
    .name:           _ZN7rocprim17ROCPRIM_304000_NS6detail33device_block_merge_oddeven_kernelINS1_37wrapped_merge_sort_block_merge_configINS0_14default_configEsN2at4cuda3cub6detail10OpaqueTypeILi8EEEEEPsSC_PSA_SD_jNS1_19radix_merge_compareILb1ELb0EsNS0_19identity_decomposerEEEEEvT0_T1_T2_T3_T4_SL_T5_
    .private_segment_fixed_size: 0
    .sgpr_count:     22
    .sgpr_spill_count: 0
    .symbol:         _ZN7rocprim17ROCPRIM_304000_NS6detail33device_block_merge_oddeven_kernelINS1_37wrapped_merge_sort_block_merge_configINS0_14default_configEsN2at4cuda3cub6detail10OpaqueTypeILi8EEEEEPsSC_PSA_SD_jNS1_19radix_merge_compareILb1ELb0EsNS0_19identity_decomposerEEEEEvT0_T1_T2_T3_T4_SL_T5_.kd
    .uniform_work_group_size: 1
    .uses_dynamic_stack: false
    .vgpr_count:     12
    .vgpr_spill_count: 0
    .wavefront_size: 32
    .workgroup_processor_mode: 1
  - .args:
      - .address_space:  global
        .offset:         0
        .size:           8
        .value_kind:     global_buffer
      - .offset:         8
        .size:           8
        .value_kind:     by_value
      - .address_space:  global
        .offset:         16
        .size:           8
        .value_kind:     global_buffer
      - .offset:         24
        .size:           1
        .value_kind:     by_value
      - .offset:         32
        .size:           4
        .value_kind:     hidden_block_count_x
      - .offset:         36
        .size:           4
        .value_kind:     hidden_block_count_y
      - .offset:         40
        .size:           4
        .value_kind:     hidden_block_count_z
      - .offset:         44
        .size:           2
        .value_kind:     hidden_group_size_x
      - .offset:         46
        .size:           2
        .value_kind:     hidden_group_size_y
      - .offset:         48
        .size:           2
        .value_kind:     hidden_group_size_z
      - .offset:         50
        .size:           2
        .value_kind:     hidden_remainder_x
      - .offset:         52
        .size:           2
        .value_kind:     hidden_remainder_y
      - .offset:         54
        .size:           2
        .value_kind:     hidden_remainder_z
      - .offset:         72
        .size:           8
        .value_kind:     hidden_global_offset_x
      - .offset:         80
        .size:           8
        .value_kind:     hidden_global_offset_y
      - .offset:         88
        .size:           8
        .value_kind:     hidden_global_offset_z
      - .offset:         96
        .size:           2
        .value_kind:     hidden_grid_dims
    .group_segment_fixed_size: 0
    .kernarg_segment_align: 8
    .kernarg_segment_size: 288
    .language:       OpenCL C
    .language_version:
      - 2
      - 0
    .max_flat_workgroup_size: 1024
    .name:           _ZN7rocprim17ROCPRIM_304000_NS6detail16transform_kernelINS1_24wrapped_transform_configINS0_14default_configEsEEsPsS6_NS0_8identityIsEEEEvT1_mT2_T3_
    .private_segment_fixed_size: 0
    .sgpr_count:     18
    .sgpr_spill_count: 0
    .symbol:         _ZN7rocprim17ROCPRIM_304000_NS6detail16transform_kernelINS1_24wrapped_transform_configINS0_14default_configEsEEsPsS6_NS0_8identityIsEEEEvT1_mT2_T3_.kd
    .uniform_work_group_size: 1
    .uses_dynamic_stack: false
    .vgpr_count:     6
    .vgpr_spill_count: 0
    .wavefront_size: 32
    .workgroup_processor_mode: 1
  - .args:
      - .address_space:  global
        .offset:         0
        .size:           8
        .value_kind:     global_buffer
      - .offset:         8
        .size:           4
        .value_kind:     by_value
      - .offset:         12
        .size:           4
        .value_kind:     by_value
      - .address_space:  global
        .offset:         16
        .size:           8
        .value_kind:     global_buffer
      - .offset:         24
        .size:           2
        .value_kind:     by_value
      - .offset:         28
        .size:           4
        .value_kind:     by_value
    .group_segment_fixed_size: 0
    .kernarg_segment_align: 8
    .kernarg_segment_size: 32
    .language:       OpenCL C
    .language_version:
      - 2
      - 0
    .max_flat_workgroup_size: 128
    .name:           _ZN7rocprim17ROCPRIM_304000_NS6detail45device_block_merge_mergepath_partition_kernelINS1_37wrapped_merge_sort_block_merge_configINS0_14default_configEsN2at4cuda3cub6detail10OpaqueTypeILi8EEEEEPsjNS1_19radix_merge_compareILb1ELb1EsNS0_19identity_decomposerEEEEEvT0_T1_jPSH_T2_SH_
    .private_segment_fixed_size: 0
    .sgpr_count:     18
    .sgpr_spill_count: 0
    .symbol:         _ZN7rocprim17ROCPRIM_304000_NS6detail45device_block_merge_mergepath_partition_kernelINS1_37wrapped_merge_sort_block_merge_configINS0_14default_configEsN2at4cuda3cub6detail10OpaqueTypeILi8EEEEEPsjNS1_19radix_merge_compareILb1ELb1EsNS0_19identity_decomposerEEEEEvT0_T1_jPSH_T2_SH_.kd
    .uniform_work_group_size: 1
    .uses_dynamic_stack: false
    .vgpr_count:     16
    .vgpr_spill_count: 0
    .wavefront_size: 32
    .workgroup_processor_mode: 1
  - .args:
      - .address_space:  global
        .offset:         0
        .size:           8
        .value_kind:     global_buffer
      - .address_space:  global
        .offset:         8
        .size:           8
        .value_kind:     global_buffer
      - .address_space:  global
        .offset:         16
        .size:           8
        .value_kind:     global_buffer
      - .address_space:  global
        .offset:         24
        .size:           8
        .value_kind:     global_buffer
      - .offset:         32
        .size:           4
        .value_kind:     by_value
      - .offset:         36
        .size:           4
        .value_kind:     by_value
      - .offset:         40
        .size:           4
        .value_kind:     by_value
      - .offset:         44
        .size:           2
        .value_kind:     by_value
      - .address_space:  global
        .offset:         48
        .size:           8
        .value_kind:     global_buffer
      - .address_space:  global
        .offset:         56
        .size:           8
        .value_kind:     global_buffer
      - .offset:         64
        .size:           4
        .value_kind:     hidden_block_count_x
      - .offset:         68
        .size:           4
        .value_kind:     hidden_block_count_y
      - .offset:         72
        .size:           4
        .value_kind:     hidden_block_count_z
      - .offset:         76
        .size:           2
        .value_kind:     hidden_group_size_x
      - .offset:         78
        .size:           2
        .value_kind:     hidden_group_size_y
      - .offset:         80
        .size:           2
        .value_kind:     hidden_group_size_z
      - .offset:         82
        .size:           2
        .value_kind:     hidden_remainder_x
      - .offset:         84
        .size:           2
        .value_kind:     hidden_remainder_y
      - .offset:         86
        .size:           2
        .value_kind:     hidden_remainder_z
      - .offset:         104
        .size:           8
        .value_kind:     hidden_global_offset_x
      - .offset:         112
        .size:           8
        .value_kind:     hidden_global_offset_y
      - .offset:         120
        .size:           8
        .value_kind:     hidden_global_offset_z
      - .offset:         128
        .size:           2
        .value_kind:     hidden_grid_dims
    .group_segment_fixed_size: 8208
    .kernarg_segment_align: 8
    .kernarg_segment_size: 320
    .language:       OpenCL C
    .language_version:
      - 2
      - 0
    .max_flat_workgroup_size: 512
    .name:           _ZN7rocprim17ROCPRIM_304000_NS6detail35device_block_merge_mergepath_kernelINS1_37wrapped_merge_sort_block_merge_configINS0_14default_configEsN2at4cuda3cub6detail10OpaqueTypeILi8EEEEEPsSC_PSA_SD_jNS1_19radix_merge_compareILb1ELb1EsNS0_19identity_decomposerEEEEEvT0_T1_T2_T3_T4_SL_jT5_PKSL_NS1_7vsmem_tE
    .private_segment_fixed_size: 0
    .sgpr_count:     33
    .sgpr_spill_count: 0
    .symbol:         _ZN7rocprim17ROCPRIM_304000_NS6detail35device_block_merge_mergepath_kernelINS1_37wrapped_merge_sort_block_merge_configINS0_14default_configEsN2at4cuda3cub6detail10OpaqueTypeILi8EEEEEPsSC_PSA_SD_jNS1_19radix_merge_compareILb1ELb1EsNS0_19identity_decomposerEEEEEvT0_T1_T2_T3_T4_SL_jT5_PKSL_NS1_7vsmem_tE.kd
    .uniform_work_group_size: 1
    .uses_dynamic_stack: false
    .vgpr_count:     15
    .vgpr_spill_count: 0
    .wavefront_size: 32
    .workgroup_processor_mode: 1
  - .args:
      - .address_space:  global
        .offset:         0
        .size:           8
        .value_kind:     global_buffer
      - .address_space:  global
        .offset:         8
        .size:           8
        .value_kind:     global_buffer
      - .address_space:  global
        .offset:         16
        .size:           8
        .value_kind:     global_buffer
      - .address_space:  global
        .offset:         24
        .size:           8
        .value_kind:     global_buffer
      - .offset:         32
        .size:           4
        .value_kind:     by_value
      - .offset:         36
        .size:           4
        .value_kind:     by_value
      - .offset:         40
        .size:           2
        .value_kind:     by_value
    .group_segment_fixed_size: 0
    .kernarg_segment_align: 8
    .kernarg_segment_size: 44
    .language:       OpenCL C
    .language_version:
      - 2
      - 0
    .max_flat_workgroup_size: 256
    .name:           _ZN7rocprim17ROCPRIM_304000_NS6detail33device_block_merge_oddeven_kernelINS1_37wrapped_merge_sort_block_merge_configINS0_14default_configEsN2at4cuda3cub6detail10OpaqueTypeILi8EEEEEPsSC_PSA_SD_jNS1_19radix_merge_compareILb1ELb1EsNS0_19identity_decomposerEEEEEvT0_T1_T2_T3_T4_SL_T5_
    .private_segment_fixed_size: 0
    .sgpr_count:     24
    .sgpr_spill_count: 0
    .symbol:         _ZN7rocprim17ROCPRIM_304000_NS6detail33device_block_merge_oddeven_kernelINS1_37wrapped_merge_sort_block_merge_configINS0_14default_configEsN2at4cuda3cub6detail10OpaqueTypeILi8EEEEEPsSC_PSA_SD_jNS1_19radix_merge_compareILb1ELb1EsNS0_19identity_decomposerEEEEEvT0_T1_T2_T3_T4_SL_T5_.kd
    .uniform_work_group_size: 1
    .uses_dynamic_stack: false
    .vgpr_count:     12
    .vgpr_spill_count: 0
    .wavefront_size: 32
    .workgroup_processor_mode: 1
  - .args:
      - .address_space:  global
        .offset:         0
        .size:           8
        .value_kind:     global_buffer
      - .address_space:  global
        .offset:         8
        .size:           8
        .value_kind:     global_buffer
      - .offset:         16
        .size:           8
        .value_kind:     by_value
      - .offset:         24
        .size:           8
        .value_kind:     by_value
      - .offset:         32
        .size:           1
        .value_kind:     by_value
      - .offset:         36
        .size:           4
        .value_kind:     by_value
      - .offset:         40
        .size:           4
        .value_kind:     by_value
    .group_segment_fixed_size: 8192
    .kernarg_segment_align: 8
    .kernarg_segment_size: 44
    .language:       OpenCL C
    .language_version:
      - 2
      - 0
    .max_flat_workgroup_size: 1024
    .name:           _ZN7rocprim17ROCPRIM_304000_NS6detail26onesweep_histograms_kernelINS1_34wrapped_radix_sort_onesweep_configINS0_14default_configEsN2at4cuda3cub6detail10OpaqueTypeILi8EEEEELb1EPKsmNS0_19identity_decomposerEEEvT1_PT2_SG_SG_T3_jj
    .private_segment_fixed_size: 0
    .sgpr_count:     18
    .sgpr_spill_count: 0
    .symbol:         _ZN7rocprim17ROCPRIM_304000_NS6detail26onesweep_histograms_kernelINS1_34wrapped_radix_sort_onesweep_configINS0_14default_configEsN2at4cuda3cub6detail10OpaqueTypeILi8EEEEELb1EPKsmNS0_19identity_decomposerEEEvT1_PT2_SG_SG_T3_jj.kd
    .uniform_work_group_size: 1
    .uses_dynamic_stack: false
    .vgpr_count:     17
    .vgpr_spill_count: 0
    .wavefront_size: 32
    .workgroup_processor_mode: 1
  - .args:
      - .address_space:  global
        .offset:         0
        .size:           8
        .value_kind:     global_buffer
    .group_segment_fixed_size: 256
    .kernarg_segment_align: 8
    .kernarg_segment_size: 8
    .language:       OpenCL C
    .language_version:
      - 2
      - 0
    .max_flat_workgroup_size: 1024
    .name:           _ZN7rocprim17ROCPRIM_304000_NS6detail31onesweep_scan_histograms_kernelINS1_34wrapped_radix_sort_onesweep_configINS0_14default_configEsN2at4cuda3cub6detail10OpaqueTypeILi8EEEEEmEEvPT0_
    .private_segment_fixed_size: 0
    .sgpr_count:     18
    .sgpr_spill_count: 0
    .symbol:         _ZN7rocprim17ROCPRIM_304000_NS6detail31onesweep_scan_histograms_kernelINS1_34wrapped_radix_sort_onesweep_configINS0_14default_configEsN2at4cuda3cub6detail10OpaqueTypeILi8EEEEEmEEvPT0_.kd
    .uniform_work_group_size: 1
    .uses_dynamic_stack: false
    .vgpr_count:     10
    .vgpr_spill_count: 0
    .wavefront_size: 32
    .workgroup_processor_mode: 1
  - .args:
      - .address_space:  global
        .offset:         0
        .size:           8
        .value_kind:     global_buffer
      - .offset:         8
        .size:           8
        .value_kind:     by_value
      - .address_space:  global
        .offset:         16
        .size:           8
        .value_kind:     global_buffer
      - .offset:         24
        .size:           1
        .value_kind:     by_value
      - .offset:         32
        .size:           4
        .value_kind:     hidden_block_count_x
      - .offset:         36
        .size:           4
        .value_kind:     hidden_block_count_y
      - .offset:         40
        .size:           4
        .value_kind:     hidden_block_count_z
      - .offset:         44
        .size:           2
        .value_kind:     hidden_group_size_x
      - .offset:         46
        .size:           2
        .value_kind:     hidden_group_size_y
      - .offset:         48
        .size:           2
        .value_kind:     hidden_group_size_z
      - .offset:         50
        .size:           2
        .value_kind:     hidden_remainder_x
      - .offset:         52
        .size:           2
        .value_kind:     hidden_remainder_y
      - .offset:         54
        .size:           2
        .value_kind:     hidden_remainder_z
      - .offset:         72
        .size:           8
        .value_kind:     hidden_global_offset_x
      - .offset:         80
        .size:           8
        .value_kind:     hidden_global_offset_y
      - .offset:         88
        .size:           8
        .value_kind:     hidden_global_offset_z
      - .offset:         96
        .size:           2
        .value_kind:     hidden_grid_dims
    .group_segment_fixed_size: 0
    .kernarg_segment_align: 8
    .kernarg_segment_size: 288
    .language:       OpenCL C
    .language_version:
      - 2
      - 0
    .max_flat_workgroup_size: 1024
    .name:           _ZN7rocprim17ROCPRIM_304000_NS6detail16transform_kernelINS1_24wrapped_transform_configINS0_14default_configEsEEsPKsPsNS0_8identityIsEEEEvT1_mT2_T3_
    .private_segment_fixed_size: 0
    .sgpr_count:     18
    .sgpr_spill_count: 0
    .symbol:         _ZN7rocprim17ROCPRIM_304000_NS6detail16transform_kernelINS1_24wrapped_transform_configINS0_14default_configEsEEsPKsPsNS0_8identityIsEEEEvT1_mT2_T3_.kd
    .uniform_work_group_size: 1
    .uses_dynamic_stack: false
    .vgpr_count:     6
    .vgpr_spill_count: 0
    .wavefront_size: 32
    .workgroup_processor_mode: 1
  - .args:
      - .address_space:  global
        .offset:         0
        .size:           8
        .value_kind:     global_buffer
      - .address_space:  global
        .offset:         8
        .size:           8
        .value_kind:     global_buffer
      - .address_space:  global
        .offset:         16
        .size:           8
        .value_kind:     global_buffer
      - .address_space:  global
        .offset:         24
        .size:           8
        .value_kind:     global_buffer
      - .offset:         32
        .size:           4
        .value_kind:     by_value
      - .address_space:  global
        .offset:         40
        .size:           8
        .value_kind:     global_buffer
      - .address_space:  global
        .offset:         48
        .size:           8
        .value_kind:     global_buffer
      - .address_space:  global
        .offset:         56
        .size:           8
        .value_kind:     global_buffer
      - .offset:         64
        .size:           1
        .value_kind:     by_value
      - .offset:         68
        .size:           4
        .value_kind:     by_value
      - .offset:         72
        .size:           4
        .value_kind:     by_value
      - .offset:         76
        .size:           4
        .value_kind:     by_value
      - .offset:         80
        .size:           4
        .value_kind:     hidden_block_count_x
      - .offset:         84
        .size:           4
        .value_kind:     hidden_block_count_y
      - .offset:         88
        .size:           4
        .value_kind:     hidden_block_count_z
      - .offset:         92
        .size:           2
        .value_kind:     hidden_group_size_x
      - .offset:         94
        .size:           2
        .value_kind:     hidden_group_size_y
      - .offset:         96
        .size:           2
        .value_kind:     hidden_group_size_z
      - .offset:         98
        .size:           2
        .value_kind:     hidden_remainder_x
      - .offset:         100
        .size:           2
        .value_kind:     hidden_remainder_y
      - .offset:         102
        .size:           2
        .value_kind:     hidden_remainder_z
      - .offset:         120
        .size:           8
        .value_kind:     hidden_global_offset_x
      - .offset:         128
        .size:           8
        .value_kind:     hidden_global_offset_y
      - .offset:         136
        .size:           8
        .value_kind:     hidden_global_offset_z
      - .offset:         144
        .size:           2
        .value_kind:     hidden_grid_dims
    .group_segment_fixed_size: 36992
    .kernarg_segment_align: 8
    .kernarg_segment_size: 336
    .language:       OpenCL C
    .language_version:
      - 2
      - 0
    .max_flat_workgroup_size: 1024
    .name:           _ZN7rocprim17ROCPRIM_304000_NS6detail25onesweep_iteration_kernelINS1_34wrapped_radix_sort_onesweep_configINS0_14default_configEsN2at4cuda3cub6detail10OpaqueTypeILi8EEEEELb1EPKsPsPKSA_PSA_mNS0_19identity_decomposerEEEvT1_T2_T3_T4_jPT5_SO_PNS1_23onesweep_lookback_stateET6_jjj
    .private_segment_fixed_size: 0
    .sgpr_count:     38
    .sgpr_spill_count: 0
    .symbol:         _ZN7rocprim17ROCPRIM_304000_NS6detail25onesweep_iteration_kernelINS1_34wrapped_radix_sort_onesweep_configINS0_14default_configEsN2at4cuda3cub6detail10OpaqueTypeILi8EEEEELb1EPKsPsPKSA_PSA_mNS0_19identity_decomposerEEEvT1_T2_T3_T4_jPT5_SO_PNS1_23onesweep_lookback_stateET6_jjj.kd
    .uniform_work_group_size: 1
    .uses_dynamic_stack: false
    .vgpr_count:     44
    .vgpr_spill_count: 0
    .wavefront_size: 32
    .workgroup_processor_mode: 1
  - .args:
      - .address_space:  global
        .offset:         0
        .size:           8
        .value_kind:     global_buffer
      - .address_space:  global
        .offset:         8
        .size:           8
        .value_kind:     global_buffer
      - .address_space:  global
        .offset:         16
        .size:           8
        .value_kind:     global_buffer
      - .address_space:  global
        .offset:         24
        .size:           8
        .value_kind:     global_buffer
      - .offset:         32
        .size:           4
        .value_kind:     by_value
      - .address_space:  global
        .offset:         40
        .size:           8
        .value_kind:     global_buffer
      - .address_space:  global
        .offset:         48
        .size:           8
        .value_kind:     global_buffer
      - .address_space:  global
        .offset:         56
        .size:           8
        .value_kind:     global_buffer
      - .offset:         64
        .size:           1
        .value_kind:     by_value
      - .offset:         68
        .size:           4
        .value_kind:     by_value
      - .offset:         72
        .size:           4
        .value_kind:     by_value
      - .offset:         76
        .size:           4
        .value_kind:     by_value
      - .offset:         80
        .size:           4
        .value_kind:     hidden_block_count_x
      - .offset:         84
        .size:           4
        .value_kind:     hidden_block_count_y
      - .offset:         88
        .size:           4
        .value_kind:     hidden_block_count_z
      - .offset:         92
        .size:           2
        .value_kind:     hidden_group_size_x
      - .offset:         94
        .size:           2
        .value_kind:     hidden_group_size_y
      - .offset:         96
        .size:           2
        .value_kind:     hidden_group_size_z
      - .offset:         98
        .size:           2
        .value_kind:     hidden_remainder_x
      - .offset:         100
        .size:           2
        .value_kind:     hidden_remainder_y
      - .offset:         102
        .size:           2
        .value_kind:     hidden_remainder_z
      - .offset:         120
        .size:           8
        .value_kind:     hidden_global_offset_x
      - .offset:         128
        .size:           8
        .value_kind:     hidden_global_offset_y
      - .offset:         136
        .size:           8
        .value_kind:     hidden_global_offset_z
      - .offset:         144
        .size:           2
        .value_kind:     hidden_grid_dims
    .group_segment_fixed_size: 36992
    .kernarg_segment_align: 8
    .kernarg_segment_size: 336
    .language:       OpenCL C
    .language_version:
      - 2
      - 0
    .max_flat_workgroup_size: 1024
    .name:           _ZN7rocprim17ROCPRIM_304000_NS6detail25onesweep_iteration_kernelINS1_34wrapped_radix_sort_onesweep_configINS0_14default_configEsN2at4cuda3cub6detail10OpaqueTypeILi8EEEEELb1EPsSC_PSA_SD_mNS0_19identity_decomposerEEEvT1_T2_T3_T4_jPT5_SK_PNS1_23onesweep_lookback_stateET6_jjj
    .private_segment_fixed_size: 0
    .sgpr_count:     38
    .sgpr_spill_count: 0
    .symbol:         _ZN7rocprim17ROCPRIM_304000_NS6detail25onesweep_iteration_kernelINS1_34wrapped_radix_sort_onesweep_configINS0_14default_configEsN2at4cuda3cub6detail10OpaqueTypeILi8EEEEELb1EPsSC_PSA_SD_mNS0_19identity_decomposerEEEvT1_T2_T3_T4_jPT5_SK_PNS1_23onesweep_lookback_stateET6_jjj.kd
    .uniform_work_group_size: 1
    .uses_dynamic_stack: false
    .vgpr_count:     44
    .vgpr_spill_count: 0
    .wavefront_size: 32
    .workgroup_processor_mode: 1
  - .args:
      - .address_space:  global
        .offset:         0
        .size:           8
        .value_kind:     global_buffer
      - .address_space:  global
        .offset:         8
        .size:           8
        .value_kind:     global_buffer
      - .address_space:  global
        .offset:         16
        .size:           8
        .value_kind:     global_buffer
      - .address_space:  global
        .offset:         24
        .size:           8
        .value_kind:     global_buffer
      - .offset:         32
        .size:           4
        .value_kind:     by_value
      - .offset:         36
        .size:           1
        .value_kind:     by_value
      - .offset:         40
        .size:           4
        .value_kind:     by_value
      - .offset:         44
        .size:           4
        .value_kind:     by_value
      - .offset:         48
        .size:           4
        .value_kind:     hidden_block_count_x
      - .offset:         52
        .size:           4
        .value_kind:     hidden_block_count_y
      - .offset:         56
        .size:           4
        .value_kind:     hidden_block_count_z
      - .offset:         60
        .size:           2
        .value_kind:     hidden_group_size_x
      - .offset:         62
        .size:           2
        .value_kind:     hidden_group_size_y
      - .offset:         64
        .size:           2
        .value_kind:     hidden_group_size_z
      - .offset:         66
        .size:           2
        .value_kind:     hidden_remainder_x
      - .offset:         68
        .size:           2
        .value_kind:     hidden_remainder_y
      - .offset:         70
        .size:           2
        .value_kind:     hidden_remainder_z
      - .offset:         88
        .size:           8
        .value_kind:     hidden_global_offset_x
      - .offset:         96
        .size:           8
        .value_kind:     hidden_global_offset_y
      - .offset:         104
        .size:           8
        .value_kind:     hidden_global_offset_z
      - .offset:         112
        .size:           2
        .value_kind:     hidden_grid_dims
    .group_segment_fixed_size: 8224
    .kernarg_segment_align: 8
    .kernarg_segment_size: 304
    .language:       OpenCL C
    .language_version:
      - 2
      - 0
    .max_flat_workgroup_size: 256
    .name:           _ZN7rocprim17ROCPRIM_304000_NS6detail28radix_sort_block_sort_kernelINS1_36wrapped_radix_sort_block_sort_configINS0_13kernel_configILj256ELj4ELj4294967295EEEsN2at4cuda3cub6detail10OpaqueTypeILi8EEEEELb0EPKsPsPKSB_PSB_NS0_19identity_decomposerEEEvT1_T2_T3_T4_jT5_jj
    .private_segment_fixed_size: 0
    .sgpr_count:     34
    .sgpr_spill_count: 0
    .symbol:         _ZN7rocprim17ROCPRIM_304000_NS6detail28radix_sort_block_sort_kernelINS1_36wrapped_radix_sort_block_sort_configINS0_13kernel_configILj256ELj4ELj4294967295EEEsN2at4cuda3cub6detail10OpaqueTypeILi8EEEEELb0EPKsPsPKSB_PSB_NS0_19identity_decomposerEEEvT1_T2_T3_T4_jT5_jj.kd
    .uniform_work_group_size: 1
    .uses_dynamic_stack: false
    .vgpr_count:     53
    .vgpr_spill_count: 0
    .wavefront_size: 32
    .workgroup_processor_mode: 1
  - .args:
      - .address_space:  global
        .offset:         0
        .size:           8
        .value_kind:     global_buffer
      - .offset:         8
        .size:           4
        .value_kind:     by_value
      - .offset:         12
        .size:           4
        .value_kind:     by_value
      - .address_space:  global
        .offset:         16
        .size:           8
        .value_kind:     global_buffer
      - .offset:         24
        .size:           1
        .value_kind:     by_value
      - .offset:         28
        .size:           4
        .value_kind:     by_value
    .group_segment_fixed_size: 0
    .kernarg_segment_align: 8
    .kernarg_segment_size: 32
    .language:       OpenCL C
    .language_version:
      - 2
      - 0
    .max_flat_workgroup_size: 128
    .name:           _ZN7rocprim17ROCPRIM_304000_NS6detail45device_block_merge_mergepath_partition_kernelINS1_37wrapped_merge_sort_block_merge_configINS0_14default_configEsN2at4cuda3cub6detail10OpaqueTypeILi8EEEEEPsjNS1_19radix_merge_compareILb0ELb0EsNS0_19identity_decomposerEEEEEvT0_T1_jPSH_T2_SH_
    .private_segment_fixed_size: 0
    .sgpr_count:     18
    .sgpr_spill_count: 0
    .symbol:         _ZN7rocprim17ROCPRIM_304000_NS6detail45device_block_merge_mergepath_partition_kernelINS1_37wrapped_merge_sort_block_merge_configINS0_14default_configEsN2at4cuda3cub6detail10OpaqueTypeILi8EEEEEPsjNS1_19radix_merge_compareILb0ELb0EsNS0_19identity_decomposerEEEEEvT0_T1_jPSH_T2_SH_.kd
    .uniform_work_group_size: 1
    .uses_dynamic_stack: false
    .vgpr_count:     16
    .vgpr_spill_count: 0
    .wavefront_size: 32
    .workgroup_processor_mode: 1
  - .args:
      - .address_space:  global
        .offset:         0
        .size:           8
        .value_kind:     global_buffer
      - .address_space:  global
        .offset:         8
        .size:           8
        .value_kind:     global_buffer
      - .address_space:  global
        .offset:         16
        .size:           8
        .value_kind:     global_buffer
      - .address_space:  global
        .offset:         24
        .size:           8
        .value_kind:     global_buffer
      - .offset:         32
        .size:           4
        .value_kind:     by_value
      - .offset:         36
        .size:           4
        .value_kind:     by_value
      - .offset:         40
        .size:           4
        .value_kind:     by_value
      - .offset:         44
        .size:           1
        .value_kind:     by_value
      - .address_space:  global
        .offset:         48
        .size:           8
        .value_kind:     global_buffer
      - .address_space:  global
        .offset:         56
        .size:           8
        .value_kind:     global_buffer
      - .offset:         64
        .size:           4
        .value_kind:     hidden_block_count_x
      - .offset:         68
        .size:           4
        .value_kind:     hidden_block_count_y
      - .offset:         72
        .size:           4
        .value_kind:     hidden_block_count_z
      - .offset:         76
        .size:           2
        .value_kind:     hidden_group_size_x
      - .offset:         78
        .size:           2
        .value_kind:     hidden_group_size_y
      - .offset:         80
        .size:           2
        .value_kind:     hidden_group_size_z
      - .offset:         82
        .size:           2
        .value_kind:     hidden_remainder_x
      - .offset:         84
        .size:           2
        .value_kind:     hidden_remainder_y
      - .offset:         86
        .size:           2
        .value_kind:     hidden_remainder_z
      - .offset:         104
        .size:           8
        .value_kind:     hidden_global_offset_x
      - .offset:         112
        .size:           8
        .value_kind:     hidden_global_offset_y
      - .offset:         120
        .size:           8
        .value_kind:     hidden_global_offset_z
      - .offset:         128
        .size:           2
        .value_kind:     hidden_grid_dims
    .group_segment_fixed_size: 8208
    .kernarg_segment_align: 8
    .kernarg_segment_size: 320
    .language:       OpenCL C
    .language_version:
      - 2
      - 0
    .max_flat_workgroup_size: 512
    .name:           _ZN7rocprim17ROCPRIM_304000_NS6detail35device_block_merge_mergepath_kernelINS1_37wrapped_merge_sort_block_merge_configINS0_14default_configEsN2at4cuda3cub6detail10OpaqueTypeILi8EEEEEPsSC_PSA_SD_jNS1_19radix_merge_compareILb0ELb0EsNS0_19identity_decomposerEEEEEvT0_T1_T2_T3_T4_SL_jT5_PKSL_NS1_7vsmem_tE
    .private_segment_fixed_size: 0
    .sgpr_count:     32
    .sgpr_spill_count: 0
    .symbol:         _ZN7rocprim17ROCPRIM_304000_NS6detail35device_block_merge_mergepath_kernelINS1_37wrapped_merge_sort_block_merge_configINS0_14default_configEsN2at4cuda3cub6detail10OpaqueTypeILi8EEEEEPsSC_PSA_SD_jNS1_19radix_merge_compareILb0ELb0EsNS0_19identity_decomposerEEEEEvT0_T1_T2_T3_T4_SL_jT5_PKSL_NS1_7vsmem_tE.kd
    .uniform_work_group_size: 1
    .uses_dynamic_stack: false
    .vgpr_count:     15
    .vgpr_spill_count: 0
    .wavefront_size: 32
    .workgroup_processor_mode: 1
  - .args:
      - .address_space:  global
        .offset:         0
        .size:           8
        .value_kind:     global_buffer
      - .address_space:  global
        .offset:         8
        .size:           8
        .value_kind:     global_buffer
      - .address_space:  global
        .offset:         16
        .size:           8
        .value_kind:     global_buffer
      - .address_space:  global
        .offset:         24
        .size:           8
        .value_kind:     global_buffer
      - .offset:         32
        .size:           4
        .value_kind:     by_value
      - .offset:         36
        .size:           4
        .value_kind:     by_value
      - .offset:         40
        .size:           1
        .value_kind:     by_value
    .group_segment_fixed_size: 0
    .kernarg_segment_align: 8
    .kernarg_segment_size: 44
    .language:       OpenCL C
    .language_version:
      - 2
      - 0
    .max_flat_workgroup_size: 256
    .name:           _ZN7rocprim17ROCPRIM_304000_NS6detail33device_block_merge_oddeven_kernelINS1_37wrapped_merge_sort_block_merge_configINS0_14default_configEsN2at4cuda3cub6detail10OpaqueTypeILi8EEEEEPsSC_PSA_SD_jNS1_19radix_merge_compareILb0ELb0EsNS0_19identity_decomposerEEEEEvT0_T1_T2_T3_T4_SL_T5_
    .private_segment_fixed_size: 0
    .sgpr_count:     22
    .sgpr_spill_count: 0
    .symbol:         _ZN7rocprim17ROCPRIM_304000_NS6detail33device_block_merge_oddeven_kernelINS1_37wrapped_merge_sort_block_merge_configINS0_14default_configEsN2at4cuda3cub6detail10OpaqueTypeILi8EEEEEPsSC_PSA_SD_jNS1_19radix_merge_compareILb0ELb0EsNS0_19identity_decomposerEEEEEvT0_T1_T2_T3_T4_SL_T5_.kd
    .uniform_work_group_size: 1
    .uses_dynamic_stack: false
    .vgpr_count:     12
    .vgpr_spill_count: 0
    .wavefront_size: 32
    .workgroup_processor_mode: 1
  - .args:
      - .address_space:  global
        .offset:         0
        .size:           8
        .value_kind:     global_buffer
      - .offset:         8
        .size:           4
        .value_kind:     by_value
      - .offset:         12
        .size:           4
        .value_kind:     by_value
      - .address_space:  global
        .offset:         16
        .size:           8
        .value_kind:     global_buffer
      - .offset:         24
        .size:           2
        .value_kind:     by_value
      - .offset:         28
        .size:           4
        .value_kind:     by_value
    .group_segment_fixed_size: 0
    .kernarg_segment_align: 8
    .kernarg_segment_size: 32
    .language:       OpenCL C
    .language_version:
      - 2
      - 0
    .max_flat_workgroup_size: 128
    .name:           _ZN7rocprim17ROCPRIM_304000_NS6detail45device_block_merge_mergepath_partition_kernelINS1_37wrapped_merge_sort_block_merge_configINS0_14default_configEsN2at4cuda3cub6detail10OpaqueTypeILi8EEEEEPsjNS1_19radix_merge_compareILb0ELb1EsNS0_19identity_decomposerEEEEEvT0_T1_jPSH_T2_SH_
    .private_segment_fixed_size: 0
    .sgpr_count:     18
    .sgpr_spill_count: 0
    .symbol:         _ZN7rocprim17ROCPRIM_304000_NS6detail45device_block_merge_mergepath_partition_kernelINS1_37wrapped_merge_sort_block_merge_configINS0_14default_configEsN2at4cuda3cub6detail10OpaqueTypeILi8EEEEEPsjNS1_19radix_merge_compareILb0ELb1EsNS0_19identity_decomposerEEEEEvT0_T1_jPSH_T2_SH_.kd
    .uniform_work_group_size: 1
    .uses_dynamic_stack: false
    .vgpr_count:     16
    .vgpr_spill_count: 0
    .wavefront_size: 32
    .workgroup_processor_mode: 1
  - .args:
      - .address_space:  global
        .offset:         0
        .size:           8
        .value_kind:     global_buffer
      - .address_space:  global
        .offset:         8
        .size:           8
        .value_kind:     global_buffer
      - .address_space:  global
        .offset:         16
        .size:           8
        .value_kind:     global_buffer
      - .address_space:  global
        .offset:         24
        .size:           8
        .value_kind:     global_buffer
      - .offset:         32
        .size:           4
        .value_kind:     by_value
      - .offset:         36
        .size:           4
        .value_kind:     by_value
      - .offset:         40
        .size:           4
        .value_kind:     by_value
      - .offset:         44
        .size:           2
        .value_kind:     by_value
      - .address_space:  global
        .offset:         48
        .size:           8
        .value_kind:     global_buffer
      - .address_space:  global
        .offset:         56
        .size:           8
        .value_kind:     global_buffer
      - .offset:         64
        .size:           4
        .value_kind:     hidden_block_count_x
      - .offset:         68
        .size:           4
        .value_kind:     hidden_block_count_y
      - .offset:         72
        .size:           4
        .value_kind:     hidden_block_count_z
      - .offset:         76
        .size:           2
        .value_kind:     hidden_group_size_x
      - .offset:         78
        .size:           2
        .value_kind:     hidden_group_size_y
      - .offset:         80
        .size:           2
        .value_kind:     hidden_group_size_z
      - .offset:         82
        .size:           2
        .value_kind:     hidden_remainder_x
      - .offset:         84
        .size:           2
        .value_kind:     hidden_remainder_y
      - .offset:         86
        .size:           2
        .value_kind:     hidden_remainder_z
      - .offset:         104
        .size:           8
        .value_kind:     hidden_global_offset_x
      - .offset:         112
        .size:           8
        .value_kind:     hidden_global_offset_y
      - .offset:         120
        .size:           8
        .value_kind:     hidden_global_offset_z
      - .offset:         128
        .size:           2
        .value_kind:     hidden_grid_dims
    .group_segment_fixed_size: 8208
    .kernarg_segment_align: 8
    .kernarg_segment_size: 320
    .language:       OpenCL C
    .language_version:
      - 2
      - 0
    .max_flat_workgroup_size: 512
    .name:           _ZN7rocprim17ROCPRIM_304000_NS6detail35device_block_merge_mergepath_kernelINS1_37wrapped_merge_sort_block_merge_configINS0_14default_configEsN2at4cuda3cub6detail10OpaqueTypeILi8EEEEEPsSC_PSA_SD_jNS1_19radix_merge_compareILb0ELb1EsNS0_19identity_decomposerEEEEEvT0_T1_T2_T3_T4_SL_jT5_PKSL_NS1_7vsmem_tE
    .private_segment_fixed_size: 0
    .sgpr_count:     33
    .sgpr_spill_count: 0
    .symbol:         _ZN7rocprim17ROCPRIM_304000_NS6detail35device_block_merge_mergepath_kernelINS1_37wrapped_merge_sort_block_merge_configINS0_14default_configEsN2at4cuda3cub6detail10OpaqueTypeILi8EEEEEPsSC_PSA_SD_jNS1_19radix_merge_compareILb0ELb1EsNS0_19identity_decomposerEEEEEvT0_T1_T2_T3_T4_SL_jT5_PKSL_NS1_7vsmem_tE.kd
    .uniform_work_group_size: 1
    .uses_dynamic_stack: false
    .vgpr_count:     15
    .vgpr_spill_count: 0
    .wavefront_size: 32
    .workgroup_processor_mode: 1
  - .args:
      - .address_space:  global
        .offset:         0
        .size:           8
        .value_kind:     global_buffer
      - .address_space:  global
        .offset:         8
        .size:           8
        .value_kind:     global_buffer
      - .address_space:  global
        .offset:         16
        .size:           8
        .value_kind:     global_buffer
      - .address_space:  global
        .offset:         24
        .size:           8
        .value_kind:     global_buffer
      - .offset:         32
        .size:           4
        .value_kind:     by_value
      - .offset:         36
        .size:           4
        .value_kind:     by_value
      - .offset:         40
        .size:           2
        .value_kind:     by_value
    .group_segment_fixed_size: 0
    .kernarg_segment_align: 8
    .kernarg_segment_size: 44
    .language:       OpenCL C
    .language_version:
      - 2
      - 0
    .max_flat_workgroup_size: 256
    .name:           _ZN7rocprim17ROCPRIM_304000_NS6detail33device_block_merge_oddeven_kernelINS1_37wrapped_merge_sort_block_merge_configINS0_14default_configEsN2at4cuda3cub6detail10OpaqueTypeILi8EEEEEPsSC_PSA_SD_jNS1_19radix_merge_compareILb0ELb1EsNS0_19identity_decomposerEEEEEvT0_T1_T2_T3_T4_SL_T5_
    .private_segment_fixed_size: 0
    .sgpr_count:     24
    .sgpr_spill_count: 0
    .symbol:         _ZN7rocprim17ROCPRIM_304000_NS6detail33device_block_merge_oddeven_kernelINS1_37wrapped_merge_sort_block_merge_configINS0_14default_configEsN2at4cuda3cub6detail10OpaqueTypeILi8EEEEEPsSC_PSA_SD_jNS1_19radix_merge_compareILb0ELb1EsNS0_19identity_decomposerEEEEEvT0_T1_T2_T3_T4_SL_T5_.kd
    .uniform_work_group_size: 1
    .uses_dynamic_stack: false
    .vgpr_count:     12
    .vgpr_spill_count: 0
    .wavefront_size: 32
    .workgroup_processor_mode: 1
  - .args:
      - .address_space:  global
        .offset:         0
        .size:           8
        .value_kind:     global_buffer
      - .address_space:  global
        .offset:         8
        .size:           8
        .value_kind:     global_buffer
      - .offset:         16
        .size:           8
        .value_kind:     by_value
      - .offset:         24
        .size:           8
        .value_kind:     by_value
      - .offset:         32
        .size:           1
        .value_kind:     by_value
      - .offset:         36
        .size:           4
        .value_kind:     by_value
      - .offset:         40
        .size:           4
        .value_kind:     by_value
    .group_segment_fixed_size: 8192
    .kernarg_segment_align: 8
    .kernarg_segment_size: 44
    .language:       OpenCL C
    .language_version:
      - 2
      - 0
    .max_flat_workgroup_size: 1024
    .name:           _ZN7rocprim17ROCPRIM_304000_NS6detail26onesweep_histograms_kernelINS1_34wrapped_radix_sort_onesweep_configINS0_14default_configEsN2at4cuda3cub6detail10OpaqueTypeILi8EEEEELb0EPKsmNS0_19identity_decomposerEEEvT1_PT2_SG_SG_T3_jj
    .private_segment_fixed_size: 0
    .sgpr_count:     18
    .sgpr_spill_count: 0
    .symbol:         _ZN7rocprim17ROCPRIM_304000_NS6detail26onesweep_histograms_kernelINS1_34wrapped_radix_sort_onesweep_configINS0_14default_configEsN2at4cuda3cub6detail10OpaqueTypeILi8EEEEELb0EPKsmNS0_19identity_decomposerEEEvT1_PT2_SG_SG_T3_jj.kd
    .uniform_work_group_size: 1
    .uses_dynamic_stack: false
    .vgpr_count:     17
    .vgpr_spill_count: 0
    .wavefront_size: 32
    .workgroup_processor_mode: 1
  - .args:
      - .address_space:  global
        .offset:         0
        .size:           8
        .value_kind:     global_buffer
      - .address_space:  global
        .offset:         8
        .size:           8
        .value_kind:     global_buffer
      - .address_space:  global
        .offset:         16
        .size:           8
        .value_kind:     global_buffer
      - .address_space:  global
        .offset:         24
        .size:           8
        .value_kind:     global_buffer
      - .offset:         32
        .size:           4
        .value_kind:     by_value
      - .address_space:  global
        .offset:         40
        .size:           8
        .value_kind:     global_buffer
      - .address_space:  global
        .offset:         48
        .size:           8
        .value_kind:     global_buffer
      - .address_space:  global
        .offset:         56
        .size:           8
        .value_kind:     global_buffer
      - .offset:         64
        .size:           1
        .value_kind:     by_value
      - .offset:         68
        .size:           4
        .value_kind:     by_value
      - .offset:         72
        .size:           4
        .value_kind:     by_value
      - .offset:         76
        .size:           4
        .value_kind:     by_value
      - .offset:         80
        .size:           4
        .value_kind:     hidden_block_count_x
      - .offset:         84
        .size:           4
        .value_kind:     hidden_block_count_y
      - .offset:         88
        .size:           4
        .value_kind:     hidden_block_count_z
      - .offset:         92
        .size:           2
        .value_kind:     hidden_group_size_x
      - .offset:         94
        .size:           2
        .value_kind:     hidden_group_size_y
      - .offset:         96
        .size:           2
        .value_kind:     hidden_group_size_z
      - .offset:         98
        .size:           2
        .value_kind:     hidden_remainder_x
      - .offset:         100
        .size:           2
        .value_kind:     hidden_remainder_y
      - .offset:         102
        .size:           2
        .value_kind:     hidden_remainder_z
      - .offset:         120
        .size:           8
        .value_kind:     hidden_global_offset_x
      - .offset:         128
        .size:           8
        .value_kind:     hidden_global_offset_y
      - .offset:         136
        .size:           8
        .value_kind:     hidden_global_offset_z
      - .offset:         144
        .size:           2
        .value_kind:     hidden_grid_dims
    .group_segment_fixed_size: 36992
    .kernarg_segment_align: 8
    .kernarg_segment_size: 336
    .language:       OpenCL C
    .language_version:
      - 2
      - 0
    .max_flat_workgroup_size: 1024
    .name:           _ZN7rocprim17ROCPRIM_304000_NS6detail25onesweep_iteration_kernelINS1_34wrapped_radix_sort_onesweep_configINS0_14default_configEsN2at4cuda3cub6detail10OpaqueTypeILi8EEEEELb0EPKsPsPKSA_PSA_mNS0_19identity_decomposerEEEvT1_T2_T3_T4_jPT5_SO_PNS1_23onesweep_lookback_stateET6_jjj
    .private_segment_fixed_size: 0
    .sgpr_count:     38
    .sgpr_spill_count: 0
    .symbol:         _ZN7rocprim17ROCPRIM_304000_NS6detail25onesweep_iteration_kernelINS1_34wrapped_radix_sort_onesweep_configINS0_14default_configEsN2at4cuda3cub6detail10OpaqueTypeILi8EEEEELb0EPKsPsPKSA_PSA_mNS0_19identity_decomposerEEEvT1_T2_T3_T4_jPT5_SO_PNS1_23onesweep_lookback_stateET6_jjj.kd
    .uniform_work_group_size: 1
    .uses_dynamic_stack: false
    .vgpr_count:     44
    .vgpr_spill_count: 0
    .wavefront_size: 32
    .workgroup_processor_mode: 1
  - .args:
      - .address_space:  global
        .offset:         0
        .size:           8
        .value_kind:     global_buffer
      - .address_space:  global
        .offset:         8
        .size:           8
        .value_kind:     global_buffer
      - .address_space:  global
        .offset:         16
        .size:           8
        .value_kind:     global_buffer
      - .address_space:  global
        .offset:         24
        .size:           8
        .value_kind:     global_buffer
      - .offset:         32
        .size:           4
        .value_kind:     by_value
      - .address_space:  global
        .offset:         40
        .size:           8
        .value_kind:     global_buffer
      - .address_space:  global
        .offset:         48
        .size:           8
        .value_kind:     global_buffer
      - .address_space:  global
        .offset:         56
        .size:           8
        .value_kind:     global_buffer
      - .offset:         64
        .size:           1
        .value_kind:     by_value
      - .offset:         68
        .size:           4
        .value_kind:     by_value
      - .offset:         72
        .size:           4
        .value_kind:     by_value
      - .offset:         76
        .size:           4
        .value_kind:     by_value
      - .offset:         80
        .size:           4
        .value_kind:     hidden_block_count_x
      - .offset:         84
        .size:           4
        .value_kind:     hidden_block_count_y
      - .offset:         88
        .size:           4
        .value_kind:     hidden_block_count_z
      - .offset:         92
        .size:           2
        .value_kind:     hidden_group_size_x
      - .offset:         94
        .size:           2
        .value_kind:     hidden_group_size_y
      - .offset:         96
        .size:           2
        .value_kind:     hidden_group_size_z
      - .offset:         98
        .size:           2
        .value_kind:     hidden_remainder_x
      - .offset:         100
        .size:           2
        .value_kind:     hidden_remainder_y
      - .offset:         102
        .size:           2
        .value_kind:     hidden_remainder_z
      - .offset:         120
        .size:           8
        .value_kind:     hidden_global_offset_x
      - .offset:         128
        .size:           8
        .value_kind:     hidden_global_offset_y
      - .offset:         136
        .size:           8
        .value_kind:     hidden_global_offset_z
      - .offset:         144
        .size:           2
        .value_kind:     hidden_grid_dims
    .group_segment_fixed_size: 36992
    .kernarg_segment_align: 8
    .kernarg_segment_size: 336
    .language:       OpenCL C
    .language_version:
      - 2
      - 0
    .max_flat_workgroup_size: 1024
    .name:           _ZN7rocprim17ROCPRIM_304000_NS6detail25onesweep_iteration_kernelINS1_34wrapped_radix_sort_onesweep_configINS0_14default_configEsN2at4cuda3cub6detail10OpaqueTypeILi8EEEEELb0EPsSC_PSA_SD_mNS0_19identity_decomposerEEEvT1_T2_T3_T4_jPT5_SK_PNS1_23onesweep_lookback_stateET6_jjj
    .private_segment_fixed_size: 0
    .sgpr_count:     38
    .sgpr_spill_count: 0
    .symbol:         _ZN7rocprim17ROCPRIM_304000_NS6detail25onesweep_iteration_kernelINS1_34wrapped_radix_sort_onesweep_configINS0_14default_configEsN2at4cuda3cub6detail10OpaqueTypeILi8EEEEELb0EPsSC_PSA_SD_mNS0_19identity_decomposerEEEvT1_T2_T3_T4_jPT5_SK_PNS1_23onesweep_lookback_stateET6_jjj.kd
    .uniform_work_group_size: 1
    .uses_dynamic_stack: false
    .vgpr_count:     44
    .vgpr_spill_count: 0
    .wavefront_size: 32
    .workgroup_processor_mode: 1
  - .args:
      - .address_space:  global
        .offset:         0
        .size:           8
        .value_kind:     global_buffer
      - .address_space:  global
        .offset:         8
        .size:           8
        .value_kind:     global_buffer
      - .address_space:  global
        .offset:         16
        .size:           8
        .value_kind:     global_buffer
      - .address_space:  global
        .offset:         24
        .size:           8
        .value_kind:     global_buffer
      - .offset:         32
        .size:           4
        .value_kind:     by_value
      - .offset:         36
        .size:           1
        .value_kind:     by_value
      - .offset:         40
        .size:           4
        .value_kind:     by_value
      - .offset:         44
        .size:           4
        .value_kind:     by_value
      - .offset:         48
        .size:           4
        .value_kind:     hidden_block_count_x
      - .offset:         52
        .size:           4
        .value_kind:     hidden_block_count_y
      - .offset:         56
        .size:           4
        .value_kind:     hidden_block_count_z
      - .offset:         60
        .size:           2
        .value_kind:     hidden_group_size_x
      - .offset:         62
        .size:           2
        .value_kind:     hidden_group_size_y
      - .offset:         64
        .size:           2
        .value_kind:     hidden_group_size_z
      - .offset:         66
        .size:           2
        .value_kind:     hidden_remainder_x
      - .offset:         68
        .size:           2
        .value_kind:     hidden_remainder_y
      - .offset:         70
        .size:           2
        .value_kind:     hidden_remainder_z
      - .offset:         88
        .size:           8
        .value_kind:     hidden_global_offset_x
      - .offset:         96
        .size:           8
        .value_kind:     hidden_global_offset_y
      - .offset:         104
        .size:           8
        .value_kind:     hidden_global_offset_z
      - .offset:         112
        .size:           2
        .value_kind:     hidden_grid_dims
    .group_segment_fixed_size: 8224
    .kernarg_segment_align: 8
    .kernarg_segment_size: 304
    .language:       OpenCL C
    .language_version:
      - 2
      - 0
    .max_flat_workgroup_size: 256
    .name:           _ZN7rocprim17ROCPRIM_304000_NS6detail28radix_sort_block_sort_kernelINS1_36wrapped_radix_sort_block_sort_configINS0_13kernel_configILj256ELj4ELj4294967295EEEiN2at4cuda3cub6detail10OpaqueTypeILi8EEEEELb1EPKiPiPKSB_PSB_NS0_19identity_decomposerEEEvT1_T2_T3_T4_jT5_jj
    .private_segment_fixed_size: 0
    .sgpr_count:     34
    .sgpr_spill_count: 0
    .symbol:         _ZN7rocprim17ROCPRIM_304000_NS6detail28radix_sort_block_sort_kernelINS1_36wrapped_radix_sort_block_sort_configINS0_13kernel_configILj256ELj4ELj4294967295EEEiN2at4cuda3cub6detail10OpaqueTypeILi8EEEEELb1EPKiPiPKSB_PSB_NS0_19identity_decomposerEEEvT1_T2_T3_T4_jT5_jj.kd
    .uniform_work_group_size: 1
    .uses_dynamic_stack: false
    .vgpr_count:     55
    .vgpr_spill_count: 0
    .wavefront_size: 32
    .workgroup_processor_mode: 1
  - .args:           []
    .group_segment_fixed_size: 0
    .kernarg_segment_align: 4
    .kernarg_segment_size: 0
    .language:       OpenCL C
    .language_version:
      - 2
      - 0
    .max_flat_workgroup_size: 1024
    .name:           _ZN7rocprim17ROCPRIM_304000_NS6detail39device_merge_sort_compile_time_verifierINS1_36wrapped_merge_sort_block_sort_configINS1_28merge_sort_block_sort_configILj256ELj4ELNS0_20block_sort_algorithmE0EEEiN2at4cuda3cub6detail10OpaqueTypeILi8EEEEENS1_37wrapped_merge_sort_block_merge_configINS0_14default_configEiSC_EEEEvv
    .private_segment_fixed_size: 0
    .sgpr_count:     0
    .sgpr_spill_count: 0
    .symbol:         _ZN7rocprim17ROCPRIM_304000_NS6detail39device_merge_sort_compile_time_verifierINS1_36wrapped_merge_sort_block_sort_configINS1_28merge_sort_block_sort_configILj256ELj4ELNS0_20block_sort_algorithmE0EEEiN2at4cuda3cub6detail10OpaqueTypeILi8EEEEENS1_37wrapped_merge_sort_block_merge_configINS0_14default_configEiSC_EEEEvv.kd
    .uniform_work_group_size: 1
    .uses_dynamic_stack: false
    .vgpr_count:     0
    .vgpr_spill_count: 0
    .wavefront_size: 32
    .workgroup_processor_mode: 1
  - .args:
      - .address_space:  global
        .offset:         0
        .size:           8
        .value_kind:     global_buffer
      - .offset:         8
        .size:           4
        .value_kind:     by_value
      - .offset:         12
        .size:           4
        .value_kind:     by_value
      - .address_space:  global
        .offset:         16
        .size:           8
        .value_kind:     global_buffer
      - .offset:         24
        .size:           1
        .value_kind:     by_value
      - .offset:         28
        .size:           4
        .value_kind:     by_value
    .group_segment_fixed_size: 0
    .kernarg_segment_align: 8
    .kernarg_segment_size: 32
    .language:       OpenCL C
    .language_version:
      - 2
      - 0
    .max_flat_workgroup_size: 128
    .name:           _ZN7rocprim17ROCPRIM_304000_NS6detail45device_block_merge_mergepath_partition_kernelINS1_37wrapped_merge_sort_block_merge_configINS0_14default_configEiN2at4cuda3cub6detail10OpaqueTypeILi8EEEEEPijNS1_19radix_merge_compareILb1ELb0EiNS0_19identity_decomposerEEEEEvT0_T1_jPSH_T2_SH_
    .private_segment_fixed_size: 0
    .sgpr_count:     18
    .sgpr_spill_count: 0
    .symbol:         _ZN7rocprim17ROCPRIM_304000_NS6detail45device_block_merge_mergepath_partition_kernelINS1_37wrapped_merge_sort_block_merge_configINS0_14default_configEiN2at4cuda3cub6detail10OpaqueTypeILi8EEEEEPijNS1_19radix_merge_compareILb1ELb0EiNS0_19identity_decomposerEEEEEvT0_T1_jPSH_T2_SH_.kd
    .uniform_work_group_size: 1
    .uses_dynamic_stack: false
    .vgpr_count:     15
    .vgpr_spill_count: 0
    .wavefront_size: 32
    .workgroup_processor_mode: 1
  - .args:
      - .address_space:  global
        .offset:         0
        .size:           8
        .value_kind:     global_buffer
      - .address_space:  global
        .offset:         8
        .size:           8
        .value_kind:     global_buffer
      - .address_space:  global
        .offset:         16
        .size:           8
        .value_kind:     global_buffer
      - .address_space:  global
        .offset:         24
        .size:           8
        .value_kind:     global_buffer
      - .offset:         32
        .size:           4
        .value_kind:     by_value
      - .offset:         36
        .size:           4
        .value_kind:     by_value
      - .offset:         40
        .size:           4
        .value_kind:     by_value
      - .offset:         44
        .size:           1
        .value_kind:     by_value
      - .address_space:  global
        .offset:         48
        .size:           8
        .value_kind:     global_buffer
      - .address_space:  global
        .offset:         56
        .size:           8
        .value_kind:     global_buffer
      - .offset:         64
        .size:           4
        .value_kind:     hidden_block_count_x
      - .offset:         68
        .size:           4
        .value_kind:     hidden_block_count_y
      - .offset:         72
        .size:           4
        .value_kind:     hidden_block_count_z
      - .offset:         76
        .size:           2
        .value_kind:     hidden_group_size_x
      - .offset:         78
        .size:           2
        .value_kind:     hidden_group_size_y
      - .offset:         80
        .size:           2
        .value_kind:     hidden_group_size_z
      - .offset:         82
        .size:           2
        .value_kind:     hidden_remainder_x
      - .offset:         84
        .size:           2
        .value_kind:     hidden_remainder_y
      - .offset:         86
        .size:           2
        .value_kind:     hidden_remainder_z
      - .offset:         104
        .size:           8
        .value_kind:     hidden_global_offset_x
      - .offset:         112
        .size:           8
        .value_kind:     hidden_global_offset_y
      - .offset:         120
        .size:           8
        .value_kind:     hidden_global_offset_z
      - .offset:         128
        .size:           2
        .value_kind:     hidden_grid_dims
    .group_segment_fixed_size: 8208
    .kernarg_segment_align: 8
    .kernarg_segment_size: 320
    .language:       OpenCL C
    .language_version:
      - 2
      - 0
    .max_flat_workgroup_size: 512
    .name:           _ZN7rocprim17ROCPRIM_304000_NS6detail35device_block_merge_mergepath_kernelINS1_37wrapped_merge_sort_block_merge_configINS0_14default_configEiN2at4cuda3cub6detail10OpaqueTypeILi8EEEEEPiSC_PSA_SD_jNS1_19radix_merge_compareILb1ELb0EiNS0_19identity_decomposerEEEEEvT0_T1_T2_T3_T4_SL_jT5_PKSL_NS1_7vsmem_tE
    .private_segment_fixed_size: 0
    .sgpr_count:     32
    .sgpr_spill_count: 0
    .symbol:         _ZN7rocprim17ROCPRIM_304000_NS6detail35device_block_merge_mergepath_kernelINS1_37wrapped_merge_sort_block_merge_configINS0_14default_configEiN2at4cuda3cub6detail10OpaqueTypeILi8EEEEEPiSC_PSA_SD_jNS1_19radix_merge_compareILb1ELb0EiNS0_19identity_decomposerEEEEEvT0_T1_T2_T3_T4_SL_jT5_PKSL_NS1_7vsmem_tE.kd
    .uniform_work_group_size: 1
    .uses_dynamic_stack: false
    .vgpr_count:     17
    .vgpr_spill_count: 0
    .wavefront_size: 32
    .workgroup_processor_mode: 1
  - .args:
      - .address_space:  global
        .offset:         0
        .size:           8
        .value_kind:     global_buffer
      - .address_space:  global
        .offset:         8
        .size:           8
        .value_kind:     global_buffer
      - .address_space:  global
        .offset:         16
        .size:           8
        .value_kind:     global_buffer
      - .address_space:  global
        .offset:         24
        .size:           8
        .value_kind:     global_buffer
      - .offset:         32
        .size:           4
        .value_kind:     by_value
      - .offset:         36
        .size:           4
        .value_kind:     by_value
      - .offset:         40
        .size:           1
        .value_kind:     by_value
    .group_segment_fixed_size: 0
    .kernarg_segment_align: 8
    .kernarg_segment_size: 44
    .language:       OpenCL C
    .language_version:
      - 2
      - 0
    .max_flat_workgroup_size: 256
    .name:           _ZN7rocprim17ROCPRIM_304000_NS6detail33device_block_merge_oddeven_kernelINS1_37wrapped_merge_sort_block_merge_configINS0_14default_configEiN2at4cuda3cub6detail10OpaqueTypeILi8EEEEEPiSC_PSA_SD_jNS1_19radix_merge_compareILb1ELb0EiNS0_19identity_decomposerEEEEEvT0_T1_T2_T3_T4_SL_T5_
    .private_segment_fixed_size: 0
    .sgpr_count:     22
    .sgpr_spill_count: 0
    .symbol:         _ZN7rocprim17ROCPRIM_304000_NS6detail33device_block_merge_oddeven_kernelINS1_37wrapped_merge_sort_block_merge_configINS0_14default_configEiN2at4cuda3cub6detail10OpaqueTypeILi8EEEEEPiSC_PSA_SD_jNS1_19radix_merge_compareILb1ELb0EiNS0_19identity_decomposerEEEEEvT0_T1_T2_T3_T4_SL_T5_.kd
    .uniform_work_group_size: 1
    .uses_dynamic_stack: false
    .vgpr_count:     12
    .vgpr_spill_count: 0
    .wavefront_size: 32
    .workgroup_processor_mode: 1
  - .args:
      - .address_space:  global
        .offset:         0
        .size:           8
        .value_kind:     global_buffer
      - .offset:         8
        .size:           8
        .value_kind:     by_value
      - .address_space:  global
        .offset:         16
        .size:           8
        .value_kind:     global_buffer
      - .offset:         24
        .size:           1
        .value_kind:     by_value
      - .offset:         32
        .size:           4
        .value_kind:     hidden_block_count_x
      - .offset:         36
        .size:           4
        .value_kind:     hidden_block_count_y
      - .offset:         40
        .size:           4
        .value_kind:     hidden_block_count_z
      - .offset:         44
        .size:           2
        .value_kind:     hidden_group_size_x
      - .offset:         46
        .size:           2
        .value_kind:     hidden_group_size_y
      - .offset:         48
        .size:           2
        .value_kind:     hidden_group_size_z
      - .offset:         50
        .size:           2
        .value_kind:     hidden_remainder_x
      - .offset:         52
        .size:           2
        .value_kind:     hidden_remainder_y
      - .offset:         54
        .size:           2
        .value_kind:     hidden_remainder_z
      - .offset:         72
        .size:           8
        .value_kind:     hidden_global_offset_x
      - .offset:         80
        .size:           8
        .value_kind:     hidden_global_offset_y
      - .offset:         88
        .size:           8
        .value_kind:     hidden_global_offset_z
      - .offset:         96
        .size:           2
        .value_kind:     hidden_grid_dims
    .group_segment_fixed_size: 0
    .kernarg_segment_align: 8
    .kernarg_segment_size: 288
    .language:       OpenCL C
    .language_version:
      - 2
      - 0
    .max_flat_workgroup_size: 256
    .name:           _ZN7rocprim17ROCPRIM_304000_NS6detail16transform_kernelINS1_24wrapped_transform_configINS0_14default_configEiEEiPiS6_NS0_8identityIiEEEEvT1_mT2_T3_
    .private_segment_fixed_size: 0
    .sgpr_count:     24
    .sgpr_spill_count: 0
    .symbol:         _ZN7rocprim17ROCPRIM_304000_NS6detail16transform_kernelINS1_24wrapped_transform_configINS0_14default_configEiEEiPiS6_NS0_8identityIiEEEEvT1_mT2_T3_.kd
    .uniform_work_group_size: 1
    .uses_dynamic_stack: false
    .vgpr_count:     28
    .vgpr_spill_count: 0
    .wavefront_size: 32
    .workgroup_processor_mode: 1
  - .args:
      - .address_space:  global
        .offset:         0
        .size:           8
        .value_kind:     global_buffer
      - .offset:         8
        .size:           4
        .value_kind:     by_value
      - .offset:         12
        .size:           4
        .value_kind:     by_value
      - .address_space:  global
        .offset:         16
        .size:           8
        .value_kind:     global_buffer
      - .offset:         24
        .size:           4
        .value_kind:     by_value
      - .offset:         28
        .size:           4
        .value_kind:     by_value
    .group_segment_fixed_size: 0
    .kernarg_segment_align: 8
    .kernarg_segment_size: 32
    .language:       OpenCL C
    .language_version:
      - 2
      - 0
    .max_flat_workgroup_size: 128
    .name:           _ZN7rocprim17ROCPRIM_304000_NS6detail45device_block_merge_mergepath_partition_kernelINS1_37wrapped_merge_sort_block_merge_configINS0_14default_configEiN2at4cuda3cub6detail10OpaqueTypeILi8EEEEEPijNS1_19radix_merge_compareILb1ELb1EiNS0_19identity_decomposerEEEEEvT0_T1_jPSH_T2_SH_
    .private_segment_fixed_size: 0
    .sgpr_count:     18
    .sgpr_spill_count: 0
    .symbol:         _ZN7rocprim17ROCPRIM_304000_NS6detail45device_block_merge_mergepath_partition_kernelINS1_37wrapped_merge_sort_block_merge_configINS0_14default_configEiN2at4cuda3cub6detail10OpaqueTypeILi8EEEEEPijNS1_19radix_merge_compareILb1ELb1EiNS0_19identity_decomposerEEEEEvT0_T1_jPSH_T2_SH_.kd
    .uniform_work_group_size: 1
    .uses_dynamic_stack: false
    .vgpr_count:     15
    .vgpr_spill_count: 0
    .wavefront_size: 32
    .workgroup_processor_mode: 1
  - .args:
      - .address_space:  global
        .offset:         0
        .size:           8
        .value_kind:     global_buffer
      - .address_space:  global
        .offset:         8
        .size:           8
        .value_kind:     global_buffer
      - .address_space:  global
        .offset:         16
        .size:           8
        .value_kind:     global_buffer
      - .address_space:  global
        .offset:         24
        .size:           8
        .value_kind:     global_buffer
      - .offset:         32
        .size:           4
        .value_kind:     by_value
      - .offset:         36
        .size:           4
        .value_kind:     by_value
      - .offset:         40
        .size:           4
        .value_kind:     by_value
      - .offset:         44
        .size:           4
        .value_kind:     by_value
      - .address_space:  global
        .offset:         48
        .size:           8
        .value_kind:     global_buffer
      - .address_space:  global
        .offset:         56
        .size:           8
        .value_kind:     global_buffer
      - .offset:         64
        .size:           4
        .value_kind:     hidden_block_count_x
      - .offset:         68
        .size:           4
        .value_kind:     hidden_block_count_y
      - .offset:         72
        .size:           4
        .value_kind:     hidden_block_count_z
      - .offset:         76
        .size:           2
        .value_kind:     hidden_group_size_x
      - .offset:         78
        .size:           2
        .value_kind:     hidden_group_size_y
      - .offset:         80
        .size:           2
        .value_kind:     hidden_group_size_z
      - .offset:         82
        .size:           2
        .value_kind:     hidden_remainder_x
      - .offset:         84
        .size:           2
        .value_kind:     hidden_remainder_y
      - .offset:         86
        .size:           2
        .value_kind:     hidden_remainder_z
      - .offset:         104
        .size:           8
        .value_kind:     hidden_global_offset_x
      - .offset:         112
        .size:           8
        .value_kind:     hidden_global_offset_y
      - .offset:         120
        .size:           8
        .value_kind:     hidden_global_offset_z
      - .offset:         128
        .size:           2
        .value_kind:     hidden_grid_dims
    .group_segment_fixed_size: 8208
    .kernarg_segment_align: 8
    .kernarg_segment_size: 320
    .language:       OpenCL C
    .language_version:
      - 2
      - 0
    .max_flat_workgroup_size: 512
    .name:           _ZN7rocprim17ROCPRIM_304000_NS6detail35device_block_merge_mergepath_kernelINS1_37wrapped_merge_sort_block_merge_configINS0_14default_configEiN2at4cuda3cub6detail10OpaqueTypeILi8EEEEEPiSC_PSA_SD_jNS1_19radix_merge_compareILb1ELb1EiNS0_19identity_decomposerEEEEEvT0_T1_T2_T3_T4_SL_jT5_PKSL_NS1_7vsmem_tE
    .private_segment_fixed_size: 0
    .sgpr_count:     33
    .sgpr_spill_count: 0
    .symbol:         _ZN7rocprim17ROCPRIM_304000_NS6detail35device_block_merge_mergepath_kernelINS1_37wrapped_merge_sort_block_merge_configINS0_14default_configEiN2at4cuda3cub6detail10OpaqueTypeILi8EEEEEPiSC_PSA_SD_jNS1_19radix_merge_compareILb1ELb1EiNS0_19identity_decomposerEEEEEvT0_T1_T2_T3_T4_SL_jT5_PKSL_NS1_7vsmem_tE.kd
    .uniform_work_group_size: 1
    .uses_dynamic_stack: false
    .vgpr_count:     17
    .vgpr_spill_count: 0
    .wavefront_size: 32
    .workgroup_processor_mode: 1
  - .args:
      - .address_space:  global
        .offset:         0
        .size:           8
        .value_kind:     global_buffer
      - .address_space:  global
        .offset:         8
        .size:           8
        .value_kind:     global_buffer
      - .address_space:  global
        .offset:         16
        .size:           8
        .value_kind:     global_buffer
      - .address_space:  global
        .offset:         24
        .size:           8
        .value_kind:     global_buffer
      - .offset:         32
        .size:           4
        .value_kind:     by_value
      - .offset:         36
        .size:           4
        .value_kind:     by_value
      - .offset:         40
        .size:           4
        .value_kind:     by_value
    .group_segment_fixed_size: 0
    .kernarg_segment_align: 8
    .kernarg_segment_size: 44
    .language:       OpenCL C
    .language_version:
      - 2
      - 0
    .max_flat_workgroup_size: 256
    .name:           _ZN7rocprim17ROCPRIM_304000_NS6detail33device_block_merge_oddeven_kernelINS1_37wrapped_merge_sort_block_merge_configINS0_14default_configEiN2at4cuda3cub6detail10OpaqueTypeILi8EEEEEPiSC_PSA_SD_jNS1_19radix_merge_compareILb1ELb1EiNS0_19identity_decomposerEEEEEvT0_T1_T2_T3_T4_SL_T5_
    .private_segment_fixed_size: 0
    .sgpr_count:     24
    .sgpr_spill_count: 0
    .symbol:         _ZN7rocprim17ROCPRIM_304000_NS6detail33device_block_merge_oddeven_kernelINS1_37wrapped_merge_sort_block_merge_configINS0_14default_configEiN2at4cuda3cub6detail10OpaqueTypeILi8EEEEEPiSC_PSA_SD_jNS1_19radix_merge_compareILb1ELb1EiNS0_19identity_decomposerEEEEEvT0_T1_T2_T3_T4_SL_T5_.kd
    .uniform_work_group_size: 1
    .uses_dynamic_stack: false
    .vgpr_count:     12
    .vgpr_spill_count: 0
    .wavefront_size: 32
    .workgroup_processor_mode: 1
  - .args:
      - .address_space:  global
        .offset:         0
        .size:           8
        .value_kind:     global_buffer
      - .address_space:  global
        .offset:         8
        .size:           8
        .value_kind:     global_buffer
      - .offset:         16
        .size:           8
        .value_kind:     by_value
      - .offset:         24
        .size:           8
        .value_kind:     by_value
      - .offset:         32
        .size:           1
        .value_kind:     by_value
      - .offset:         36
        .size:           4
        .value_kind:     by_value
      - .offset:         40
        .size:           4
        .value_kind:     by_value
    .group_segment_fixed_size: 16384
    .kernarg_segment_align: 8
    .kernarg_segment_size: 44
    .language:       OpenCL C
    .language_version:
      - 2
      - 0
    .max_flat_workgroup_size: 1024
    .name:           _ZN7rocprim17ROCPRIM_304000_NS6detail26onesweep_histograms_kernelINS1_34wrapped_radix_sort_onesweep_configINS0_14default_configEiN2at4cuda3cub6detail10OpaqueTypeILi8EEEEELb1EPKimNS0_19identity_decomposerEEEvT1_PT2_SG_SG_T3_jj
    .private_segment_fixed_size: 0
    .sgpr_count:     18
    .sgpr_spill_count: 0
    .symbol:         _ZN7rocprim17ROCPRIM_304000_NS6detail26onesweep_histograms_kernelINS1_34wrapped_radix_sort_onesweep_configINS0_14default_configEiN2at4cuda3cub6detail10OpaqueTypeILi8EEEEELb1EPKimNS0_19identity_decomposerEEEvT1_PT2_SG_SG_T3_jj.kd
    .uniform_work_group_size: 1
    .uses_dynamic_stack: false
    .vgpr_count:     16
    .vgpr_spill_count: 0
    .wavefront_size: 32
    .workgroup_processor_mode: 1
  - .args:
      - .address_space:  global
        .offset:         0
        .size:           8
        .value_kind:     global_buffer
    .group_segment_fixed_size: 256
    .kernarg_segment_align: 8
    .kernarg_segment_size: 8
    .language:       OpenCL C
    .language_version:
      - 2
      - 0
    .max_flat_workgroup_size: 1024
    .name:           _ZN7rocprim17ROCPRIM_304000_NS6detail31onesweep_scan_histograms_kernelINS1_34wrapped_radix_sort_onesweep_configINS0_14default_configEiN2at4cuda3cub6detail10OpaqueTypeILi8EEEEEmEEvPT0_
    .private_segment_fixed_size: 0
    .sgpr_count:     18
    .sgpr_spill_count: 0
    .symbol:         _ZN7rocprim17ROCPRIM_304000_NS6detail31onesweep_scan_histograms_kernelINS1_34wrapped_radix_sort_onesweep_configINS0_14default_configEiN2at4cuda3cub6detail10OpaqueTypeILi8EEEEEmEEvPT0_.kd
    .uniform_work_group_size: 1
    .uses_dynamic_stack: false
    .vgpr_count:     10
    .vgpr_spill_count: 0
    .wavefront_size: 32
    .workgroup_processor_mode: 1
  - .args:
      - .address_space:  global
        .offset:         0
        .size:           8
        .value_kind:     global_buffer
      - .offset:         8
        .size:           8
        .value_kind:     by_value
      - .address_space:  global
        .offset:         16
        .size:           8
        .value_kind:     global_buffer
      - .offset:         24
        .size:           1
        .value_kind:     by_value
      - .offset:         32
        .size:           4
        .value_kind:     hidden_block_count_x
      - .offset:         36
        .size:           4
        .value_kind:     hidden_block_count_y
      - .offset:         40
        .size:           4
        .value_kind:     hidden_block_count_z
      - .offset:         44
        .size:           2
        .value_kind:     hidden_group_size_x
      - .offset:         46
        .size:           2
        .value_kind:     hidden_group_size_y
      - .offset:         48
        .size:           2
        .value_kind:     hidden_group_size_z
      - .offset:         50
        .size:           2
        .value_kind:     hidden_remainder_x
      - .offset:         52
        .size:           2
        .value_kind:     hidden_remainder_y
      - .offset:         54
        .size:           2
        .value_kind:     hidden_remainder_z
      - .offset:         72
        .size:           8
        .value_kind:     hidden_global_offset_x
      - .offset:         80
        .size:           8
        .value_kind:     hidden_global_offset_y
      - .offset:         88
        .size:           8
        .value_kind:     hidden_global_offset_z
      - .offset:         96
        .size:           2
        .value_kind:     hidden_grid_dims
    .group_segment_fixed_size: 0
    .kernarg_segment_align: 8
    .kernarg_segment_size: 288
    .language:       OpenCL C
    .language_version:
      - 2
      - 0
    .max_flat_workgroup_size: 256
    .name:           _ZN7rocprim17ROCPRIM_304000_NS6detail16transform_kernelINS1_24wrapped_transform_configINS0_14default_configEiEEiPKiPiNS0_8identityIiEEEEvT1_mT2_T3_
    .private_segment_fixed_size: 0
    .sgpr_count:     24
    .sgpr_spill_count: 0
    .symbol:         _ZN7rocprim17ROCPRIM_304000_NS6detail16transform_kernelINS1_24wrapped_transform_configINS0_14default_configEiEEiPKiPiNS0_8identityIiEEEEvT1_mT2_T3_.kd
    .uniform_work_group_size: 1
    .uses_dynamic_stack: false
    .vgpr_count:     28
    .vgpr_spill_count: 0
    .wavefront_size: 32
    .workgroup_processor_mode: 1
  - .args:
      - .address_space:  global
        .offset:         0
        .size:           8
        .value_kind:     global_buffer
      - .address_space:  global
        .offset:         8
        .size:           8
        .value_kind:     global_buffer
      - .address_space:  global
        .offset:         16
        .size:           8
        .value_kind:     global_buffer
      - .address_space:  global
        .offset:         24
        .size:           8
        .value_kind:     global_buffer
      - .offset:         32
        .size:           4
        .value_kind:     by_value
      - .address_space:  global
        .offset:         40
        .size:           8
        .value_kind:     global_buffer
      - .address_space:  global
        .offset:         48
        .size:           8
        .value_kind:     global_buffer
      - .address_space:  global
        .offset:         56
        .size:           8
        .value_kind:     global_buffer
      - .offset:         64
        .size:           1
        .value_kind:     by_value
      - .offset:         68
        .size:           4
        .value_kind:     by_value
      - .offset:         72
        .size:           4
        .value_kind:     by_value
      - .offset:         76
        .size:           4
        .value_kind:     by_value
      - .offset:         80
        .size:           4
        .value_kind:     hidden_block_count_x
      - .offset:         84
        .size:           4
        .value_kind:     hidden_block_count_y
      - .offset:         88
        .size:           4
        .value_kind:     hidden_block_count_z
      - .offset:         92
        .size:           2
        .value_kind:     hidden_group_size_x
      - .offset:         94
        .size:           2
        .value_kind:     hidden_group_size_y
      - .offset:         96
        .size:           2
        .value_kind:     hidden_group_size_z
      - .offset:         98
        .size:           2
        .value_kind:     hidden_remainder_x
      - .offset:         100
        .size:           2
        .value_kind:     hidden_remainder_y
      - .offset:         102
        .size:           2
        .value_kind:     hidden_remainder_z
      - .offset:         120
        .size:           8
        .value_kind:     hidden_global_offset_x
      - .offset:         128
        .size:           8
        .value_kind:     hidden_global_offset_y
      - .offset:         136
        .size:           8
        .value_kind:     hidden_global_offset_z
      - .offset:         144
        .size:           2
        .value_kind:     hidden_grid_dims
    .group_segment_fixed_size: 36992
    .kernarg_segment_align: 8
    .kernarg_segment_size: 336
    .language:       OpenCL C
    .language_version:
      - 2
      - 0
    .max_flat_workgroup_size: 1024
    .name:           _ZN7rocprim17ROCPRIM_304000_NS6detail25onesweep_iteration_kernelINS1_34wrapped_radix_sort_onesweep_configINS0_14default_configEiN2at4cuda3cub6detail10OpaqueTypeILi8EEEEELb1EPKiPiPKSA_PSA_mNS0_19identity_decomposerEEEvT1_T2_T3_T4_jPT5_SO_PNS1_23onesweep_lookback_stateET6_jjj
    .private_segment_fixed_size: 0
    .sgpr_count:     38
    .sgpr_spill_count: 0
    .symbol:         _ZN7rocprim17ROCPRIM_304000_NS6detail25onesweep_iteration_kernelINS1_34wrapped_radix_sort_onesweep_configINS0_14default_configEiN2at4cuda3cub6detail10OpaqueTypeILi8EEEEELb1EPKiPiPKSA_PSA_mNS0_19identity_decomposerEEEvT1_T2_T3_T4_jPT5_SO_PNS1_23onesweep_lookback_stateET6_jjj.kd
    .uniform_work_group_size: 1
    .uses_dynamic_stack: false
    .vgpr_count:     45
    .vgpr_spill_count: 0
    .wavefront_size: 32
    .workgroup_processor_mode: 1
  - .args:
      - .address_space:  global
        .offset:         0
        .size:           8
        .value_kind:     global_buffer
      - .address_space:  global
        .offset:         8
        .size:           8
        .value_kind:     global_buffer
      - .address_space:  global
        .offset:         16
        .size:           8
        .value_kind:     global_buffer
      - .address_space:  global
        .offset:         24
        .size:           8
        .value_kind:     global_buffer
      - .offset:         32
        .size:           4
        .value_kind:     by_value
      - .address_space:  global
        .offset:         40
        .size:           8
        .value_kind:     global_buffer
      - .address_space:  global
        .offset:         48
        .size:           8
        .value_kind:     global_buffer
      - .address_space:  global
        .offset:         56
        .size:           8
        .value_kind:     global_buffer
      - .offset:         64
        .size:           1
        .value_kind:     by_value
      - .offset:         68
        .size:           4
        .value_kind:     by_value
      - .offset:         72
        .size:           4
        .value_kind:     by_value
      - .offset:         76
        .size:           4
        .value_kind:     by_value
      - .offset:         80
        .size:           4
        .value_kind:     hidden_block_count_x
      - .offset:         84
        .size:           4
        .value_kind:     hidden_block_count_y
      - .offset:         88
        .size:           4
        .value_kind:     hidden_block_count_z
      - .offset:         92
        .size:           2
        .value_kind:     hidden_group_size_x
      - .offset:         94
        .size:           2
        .value_kind:     hidden_group_size_y
      - .offset:         96
        .size:           2
        .value_kind:     hidden_group_size_z
      - .offset:         98
        .size:           2
        .value_kind:     hidden_remainder_x
      - .offset:         100
        .size:           2
        .value_kind:     hidden_remainder_y
      - .offset:         102
        .size:           2
        .value_kind:     hidden_remainder_z
      - .offset:         120
        .size:           8
        .value_kind:     hidden_global_offset_x
      - .offset:         128
        .size:           8
        .value_kind:     hidden_global_offset_y
      - .offset:         136
        .size:           8
        .value_kind:     hidden_global_offset_z
      - .offset:         144
        .size:           2
        .value_kind:     hidden_grid_dims
    .group_segment_fixed_size: 36992
    .kernarg_segment_align: 8
    .kernarg_segment_size: 336
    .language:       OpenCL C
    .language_version:
      - 2
      - 0
    .max_flat_workgroup_size: 1024
    .name:           _ZN7rocprim17ROCPRIM_304000_NS6detail25onesweep_iteration_kernelINS1_34wrapped_radix_sort_onesweep_configINS0_14default_configEiN2at4cuda3cub6detail10OpaqueTypeILi8EEEEELb1EPiSC_PSA_SD_mNS0_19identity_decomposerEEEvT1_T2_T3_T4_jPT5_SK_PNS1_23onesweep_lookback_stateET6_jjj
    .private_segment_fixed_size: 0
    .sgpr_count:     38
    .sgpr_spill_count: 0
    .symbol:         _ZN7rocprim17ROCPRIM_304000_NS6detail25onesweep_iteration_kernelINS1_34wrapped_radix_sort_onesweep_configINS0_14default_configEiN2at4cuda3cub6detail10OpaqueTypeILi8EEEEELb1EPiSC_PSA_SD_mNS0_19identity_decomposerEEEvT1_T2_T3_T4_jPT5_SK_PNS1_23onesweep_lookback_stateET6_jjj.kd
    .uniform_work_group_size: 1
    .uses_dynamic_stack: false
    .vgpr_count:     45
    .vgpr_spill_count: 0
    .wavefront_size: 32
    .workgroup_processor_mode: 1
  - .args:
      - .address_space:  global
        .offset:         0
        .size:           8
        .value_kind:     global_buffer
      - .address_space:  global
        .offset:         8
        .size:           8
        .value_kind:     global_buffer
      - .address_space:  global
        .offset:         16
        .size:           8
        .value_kind:     global_buffer
      - .address_space:  global
        .offset:         24
        .size:           8
        .value_kind:     global_buffer
      - .offset:         32
        .size:           4
        .value_kind:     by_value
      - .offset:         36
        .size:           1
        .value_kind:     by_value
      - .offset:         40
        .size:           4
        .value_kind:     by_value
      - .offset:         44
        .size:           4
        .value_kind:     by_value
      - .offset:         48
        .size:           4
        .value_kind:     hidden_block_count_x
      - .offset:         52
        .size:           4
        .value_kind:     hidden_block_count_y
      - .offset:         56
        .size:           4
        .value_kind:     hidden_block_count_z
      - .offset:         60
        .size:           2
        .value_kind:     hidden_group_size_x
      - .offset:         62
        .size:           2
        .value_kind:     hidden_group_size_y
      - .offset:         64
        .size:           2
        .value_kind:     hidden_group_size_z
      - .offset:         66
        .size:           2
        .value_kind:     hidden_remainder_x
      - .offset:         68
        .size:           2
        .value_kind:     hidden_remainder_y
      - .offset:         70
        .size:           2
        .value_kind:     hidden_remainder_z
      - .offset:         88
        .size:           8
        .value_kind:     hidden_global_offset_x
      - .offset:         96
        .size:           8
        .value_kind:     hidden_global_offset_y
      - .offset:         104
        .size:           8
        .value_kind:     hidden_global_offset_z
      - .offset:         112
        .size:           2
        .value_kind:     hidden_grid_dims
    .group_segment_fixed_size: 8224
    .kernarg_segment_align: 8
    .kernarg_segment_size: 304
    .language:       OpenCL C
    .language_version:
      - 2
      - 0
    .max_flat_workgroup_size: 256
    .name:           _ZN7rocprim17ROCPRIM_304000_NS6detail28radix_sort_block_sort_kernelINS1_36wrapped_radix_sort_block_sort_configINS0_13kernel_configILj256ELj4ELj4294967295EEEiN2at4cuda3cub6detail10OpaqueTypeILi8EEEEELb0EPKiPiPKSB_PSB_NS0_19identity_decomposerEEEvT1_T2_T3_T4_jT5_jj
    .private_segment_fixed_size: 0
    .sgpr_count:     34
    .sgpr_spill_count: 0
    .symbol:         _ZN7rocprim17ROCPRIM_304000_NS6detail28radix_sort_block_sort_kernelINS1_36wrapped_radix_sort_block_sort_configINS0_13kernel_configILj256ELj4ELj4294967295EEEiN2at4cuda3cub6detail10OpaqueTypeILi8EEEEELb0EPKiPiPKSB_PSB_NS0_19identity_decomposerEEEvT1_T2_T3_T4_jT5_jj.kd
    .uniform_work_group_size: 1
    .uses_dynamic_stack: false
    .vgpr_count:     55
    .vgpr_spill_count: 0
    .wavefront_size: 32
    .workgroup_processor_mode: 1
  - .args:
      - .address_space:  global
        .offset:         0
        .size:           8
        .value_kind:     global_buffer
      - .offset:         8
        .size:           4
        .value_kind:     by_value
      - .offset:         12
        .size:           4
        .value_kind:     by_value
      - .address_space:  global
        .offset:         16
        .size:           8
        .value_kind:     global_buffer
      - .offset:         24
        .size:           1
        .value_kind:     by_value
      - .offset:         28
        .size:           4
        .value_kind:     by_value
    .group_segment_fixed_size: 0
    .kernarg_segment_align: 8
    .kernarg_segment_size: 32
    .language:       OpenCL C
    .language_version:
      - 2
      - 0
    .max_flat_workgroup_size: 128
    .name:           _ZN7rocprim17ROCPRIM_304000_NS6detail45device_block_merge_mergepath_partition_kernelINS1_37wrapped_merge_sort_block_merge_configINS0_14default_configEiN2at4cuda3cub6detail10OpaqueTypeILi8EEEEEPijNS1_19radix_merge_compareILb0ELb0EiNS0_19identity_decomposerEEEEEvT0_T1_jPSH_T2_SH_
    .private_segment_fixed_size: 0
    .sgpr_count:     18
    .sgpr_spill_count: 0
    .symbol:         _ZN7rocprim17ROCPRIM_304000_NS6detail45device_block_merge_mergepath_partition_kernelINS1_37wrapped_merge_sort_block_merge_configINS0_14default_configEiN2at4cuda3cub6detail10OpaqueTypeILi8EEEEEPijNS1_19radix_merge_compareILb0ELb0EiNS0_19identity_decomposerEEEEEvT0_T1_jPSH_T2_SH_.kd
    .uniform_work_group_size: 1
    .uses_dynamic_stack: false
    .vgpr_count:     15
    .vgpr_spill_count: 0
    .wavefront_size: 32
    .workgroup_processor_mode: 1
  - .args:
      - .address_space:  global
        .offset:         0
        .size:           8
        .value_kind:     global_buffer
      - .address_space:  global
        .offset:         8
        .size:           8
        .value_kind:     global_buffer
      - .address_space:  global
        .offset:         16
        .size:           8
        .value_kind:     global_buffer
      - .address_space:  global
        .offset:         24
        .size:           8
        .value_kind:     global_buffer
      - .offset:         32
        .size:           4
        .value_kind:     by_value
      - .offset:         36
        .size:           4
        .value_kind:     by_value
      - .offset:         40
        .size:           4
        .value_kind:     by_value
      - .offset:         44
        .size:           1
        .value_kind:     by_value
      - .address_space:  global
        .offset:         48
        .size:           8
        .value_kind:     global_buffer
      - .address_space:  global
        .offset:         56
        .size:           8
        .value_kind:     global_buffer
      - .offset:         64
        .size:           4
        .value_kind:     hidden_block_count_x
      - .offset:         68
        .size:           4
        .value_kind:     hidden_block_count_y
      - .offset:         72
        .size:           4
        .value_kind:     hidden_block_count_z
      - .offset:         76
        .size:           2
        .value_kind:     hidden_group_size_x
      - .offset:         78
        .size:           2
        .value_kind:     hidden_group_size_y
      - .offset:         80
        .size:           2
        .value_kind:     hidden_group_size_z
      - .offset:         82
        .size:           2
        .value_kind:     hidden_remainder_x
      - .offset:         84
        .size:           2
        .value_kind:     hidden_remainder_y
      - .offset:         86
        .size:           2
        .value_kind:     hidden_remainder_z
      - .offset:         104
        .size:           8
        .value_kind:     hidden_global_offset_x
      - .offset:         112
        .size:           8
        .value_kind:     hidden_global_offset_y
      - .offset:         120
        .size:           8
        .value_kind:     hidden_global_offset_z
      - .offset:         128
        .size:           2
        .value_kind:     hidden_grid_dims
    .group_segment_fixed_size: 8208
    .kernarg_segment_align: 8
    .kernarg_segment_size: 320
    .language:       OpenCL C
    .language_version:
      - 2
      - 0
    .max_flat_workgroup_size: 512
    .name:           _ZN7rocprim17ROCPRIM_304000_NS6detail35device_block_merge_mergepath_kernelINS1_37wrapped_merge_sort_block_merge_configINS0_14default_configEiN2at4cuda3cub6detail10OpaqueTypeILi8EEEEEPiSC_PSA_SD_jNS1_19radix_merge_compareILb0ELb0EiNS0_19identity_decomposerEEEEEvT0_T1_T2_T3_T4_SL_jT5_PKSL_NS1_7vsmem_tE
    .private_segment_fixed_size: 0
    .sgpr_count:     32
    .sgpr_spill_count: 0
    .symbol:         _ZN7rocprim17ROCPRIM_304000_NS6detail35device_block_merge_mergepath_kernelINS1_37wrapped_merge_sort_block_merge_configINS0_14default_configEiN2at4cuda3cub6detail10OpaqueTypeILi8EEEEEPiSC_PSA_SD_jNS1_19radix_merge_compareILb0ELb0EiNS0_19identity_decomposerEEEEEvT0_T1_T2_T3_T4_SL_jT5_PKSL_NS1_7vsmem_tE.kd
    .uniform_work_group_size: 1
    .uses_dynamic_stack: false
    .vgpr_count:     17
    .vgpr_spill_count: 0
    .wavefront_size: 32
    .workgroup_processor_mode: 1
  - .args:
      - .address_space:  global
        .offset:         0
        .size:           8
        .value_kind:     global_buffer
      - .address_space:  global
        .offset:         8
        .size:           8
        .value_kind:     global_buffer
      - .address_space:  global
        .offset:         16
        .size:           8
        .value_kind:     global_buffer
      - .address_space:  global
        .offset:         24
        .size:           8
        .value_kind:     global_buffer
      - .offset:         32
        .size:           4
        .value_kind:     by_value
      - .offset:         36
        .size:           4
        .value_kind:     by_value
      - .offset:         40
        .size:           1
        .value_kind:     by_value
    .group_segment_fixed_size: 0
    .kernarg_segment_align: 8
    .kernarg_segment_size: 44
    .language:       OpenCL C
    .language_version:
      - 2
      - 0
    .max_flat_workgroup_size: 256
    .name:           _ZN7rocprim17ROCPRIM_304000_NS6detail33device_block_merge_oddeven_kernelINS1_37wrapped_merge_sort_block_merge_configINS0_14default_configEiN2at4cuda3cub6detail10OpaqueTypeILi8EEEEEPiSC_PSA_SD_jNS1_19radix_merge_compareILb0ELb0EiNS0_19identity_decomposerEEEEEvT0_T1_T2_T3_T4_SL_T5_
    .private_segment_fixed_size: 0
    .sgpr_count:     22
    .sgpr_spill_count: 0
    .symbol:         _ZN7rocprim17ROCPRIM_304000_NS6detail33device_block_merge_oddeven_kernelINS1_37wrapped_merge_sort_block_merge_configINS0_14default_configEiN2at4cuda3cub6detail10OpaqueTypeILi8EEEEEPiSC_PSA_SD_jNS1_19radix_merge_compareILb0ELb0EiNS0_19identity_decomposerEEEEEvT0_T1_T2_T3_T4_SL_T5_.kd
    .uniform_work_group_size: 1
    .uses_dynamic_stack: false
    .vgpr_count:     12
    .vgpr_spill_count: 0
    .wavefront_size: 32
    .workgroup_processor_mode: 1
  - .args:
      - .address_space:  global
        .offset:         0
        .size:           8
        .value_kind:     global_buffer
      - .offset:         8
        .size:           4
        .value_kind:     by_value
      - .offset:         12
        .size:           4
        .value_kind:     by_value
      - .address_space:  global
        .offset:         16
        .size:           8
        .value_kind:     global_buffer
      - .offset:         24
        .size:           4
        .value_kind:     by_value
      - .offset:         28
        .size:           4
        .value_kind:     by_value
    .group_segment_fixed_size: 0
    .kernarg_segment_align: 8
    .kernarg_segment_size: 32
    .language:       OpenCL C
    .language_version:
      - 2
      - 0
    .max_flat_workgroup_size: 128
    .name:           _ZN7rocprim17ROCPRIM_304000_NS6detail45device_block_merge_mergepath_partition_kernelINS1_37wrapped_merge_sort_block_merge_configINS0_14default_configEiN2at4cuda3cub6detail10OpaqueTypeILi8EEEEEPijNS1_19radix_merge_compareILb0ELb1EiNS0_19identity_decomposerEEEEEvT0_T1_jPSH_T2_SH_
    .private_segment_fixed_size: 0
    .sgpr_count:     18
    .sgpr_spill_count: 0
    .symbol:         _ZN7rocprim17ROCPRIM_304000_NS6detail45device_block_merge_mergepath_partition_kernelINS1_37wrapped_merge_sort_block_merge_configINS0_14default_configEiN2at4cuda3cub6detail10OpaqueTypeILi8EEEEEPijNS1_19radix_merge_compareILb0ELb1EiNS0_19identity_decomposerEEEEEvT0_T1_jPSH_T2_SH_.kd
    .uniform_work_group_size: 1
    .uses_dynamic_stack: false
    .vgpr_count:     15
    .vgpr_spill_count: 0
    .wavefront_size: 32
    .workgroup_processor_mode: 1
  - .args:
      - .address_space:  global
        .offset:         0
        .size:           8
        .value_kind:     global_buffer
      - .address_space:  global
        .offset:         8
        .size:           8
        .value_kind:     global_buffer
      - .address_space:  global
        .offset:         16
        .size:           8
        .value_kind:     global_buffer
      - .address_space:  global
        .offset:         24
        .size:           8
        .value_kind:     global_buffer
      - .offset:         32
        .size:           4
        .value_kind:     by_value
      - .offset:         36
        .size:           4
        .value_kind:     by_value
      - .offset:         40
        .size:           4
        .value_kind:     by_value
      - .offset:         44
        .size:           4
        .value_kind:     by_value
      - .address_space:  global
        .offset:         48
        .size:           8
        .value_kind:     global_buffer
      - .address_space:  global
        .offset:         56
        .size:           8
        .value_kind:     global_buffer
      - .offset:         64
        .size:           4
        .value_kind:     hidden_block_count_x
      - .offset:         68
        .size:           4
        .value_kind:     hidden_block_count_y
      - .offset:         72
        .size:           4
        .value_kind:     hidden_block_count_z
      - .offset:         76
        .size:           2
        .value_kind:     hidden_group_size_x
      - .offset:         78
        .size:           2
        .value_kind:     hidden_group_size_y
      - .offset:         80
        .size:           2
        .value_kind:     hidden_group_size_z
      - .offset:         82
        .size:           2
        .value_kind:     hidden_remainder_x
      - .offset:         84
        .size:           2
        .value_kind:     hidden_remainder_y
      - .offset:         86
        .size:           2
        .value_kind:     hidden_remainder_z
      - .offset:         104
        .size:           8
        .value_kind:     hidden_global_offset_x
      - .offset:         112
        .size:           8
        .value_kind:     hidden_global_offset_y
      - .offset:         120
        .size:           8
        .value_kind:     hidden_global_offset_z
      - .offset:         128
        .size:           2
        .value_kind:     hidden_grid_dims
    .group_segment_fixed_size: 8208
    .kernarg_segment_align: 8
    .kernarg_segment_size: 320
    .language:       OpenCL C
    .language_version:
      - 2
      - 0
    .max_flat_workgroup_size: 512
    .name:           _ZN7rocprim17ROCPRIM_304000_NS6detail35device_block_merge_mergepath_kernelINS1_37wrapped_merge_sort_block_merge_configINS0_14default_configEiN2at4cuda3cub6detail10OpaqueTypeILi8EEEEEPiSC_PSA_SD_jNS1_19radix_merge_compareILb0ELb1EiNS0_19identity_decomposerEEEEEvT0_T1_T2_T3_T4_SL_jT5_PKSL_NS1_7vsmem_tE
    .private_segment_fixed_size: 0
    .sgpr_count:     33
    .sgpr_spill_count: 0
    .symbol:         _ZN7rocprim17ROCPRIM_304000_NS6detail35device_block_merge_mergepath_kernelINS1_37wrapped_merge_sort_block_merge_configINS0_14default_configEiN2at4cuda3cub6detail10OpaqueTypeILi8EEEEEPiSC_PSA_SD_jNS1_19radix_merge_compareILb0ELb1EiNS0_19identity_decomposerEEEEEvT0_T1_T2_T3_T4_SL_jT5_PKSL_NS1_7vsmem_tE.kd
    .uniform_work_group_size: 1
    .uses_dynamic_stack: false
    .vgpr_count:     17
    .vgpr_spill_count: 0
    .wavefront_size: 32
    .workgroup_processor_mode: 1
  - .args:
      - .address_space:  global
        .offset:         0
        .size:           8
        .value_kind:     global_buffer
      - .address_space:  global
        .offset:         8
        .size:           8
        .value_kind:     global_buffer
      - .address_space:  global
        .offset:         16
        .size:           8
        .value_kind:     global_buffer
      - .address_space:  global
        .offset:         24
        .size:           8
        .value_kind:     global_buffer
      - .offset:         32
        .size:           4
        .value_kind:     by_value
      - .offset:         36
        .size:           4
        .value_kind:     by_value
      - .offset:         40
        .size:           4
        .value_kind:     by_value
    .group_segment_fixed_size: 0
    .kernarg_segment_align: 8
    .kernarg_segment_size: 44
    .language:       OpenCL C
    .language_version:
      - 2
      - 0
    .max_flat_workgroup_size: 256
    .name:           _ZN7rocprim17ROCPRIM_304000_NS6detail33device_block_merge_oddeven_kernelINS1_37wrapped_merge_sort_block_merge_configINS0_14default_configEiN2at4cuda3cub6detail10OpaqueTypeILi8EEEEEPiSC_PSA_SD_jNS1_19radix_merge_compareILb0ELb1EiNS0_19identity_decomposerEEEEEvT0_T1_T2_T3_T4_SL_T5_
    .private_segment_fixed_size: 0
    .sgpr_count:     24
    .sgpr_spill_count: 0
    .symbol:         _ZN7rocprim17ROCPRIM_304000_NS6detail33device_block_merge_oddeven_kernelINS1_37wrapped_merge_sort_block_merge_configINS0_14default_configEiN2at4cuda3cub6detail10OpaqueTypeILi8EEEEEPiSC_PSA_SD_jNS1_19radix_merge_compareILb0ELb1EiNS0_19identity_decomposerEEEEEvT0_T1_T2_T3_T4_SL_T5_.kd
    .uniform_work_group_size: 1
    .uses_dynamic_stack: false
    .vgpr_count:     12
    .vgpr_spill_count: 0
    .wavefront_size: 32
    .workgroup_processor_mode: 1
  - .args:
      - .address_space:  global
        .offset:         0
        .size:           8
        .value_kind:     global_buffer
      - .address_space:  global
        .offset:         8
        .size:           8
        .value_kind:     global_buffer
      - .offset:         16
        .size:           8
        .value_kind:     by_value
      - .offset:         24
        .size:           8
        .value_kind:     by_value
      - .offset:         32
        .size:           1
        .value_kind:     by_value
      - .offset:         36
        .size:           4
        .value_kind:     by_value
      - .offset:         40
        .size:           4
        .value_kind:     by_value
    .group_segment_fixed_size: 16384
    .kernarg_segment_align: 8
    .kernarg_segment_size: 44
    .language:       OpenCL C
    .language_version:
      - 2
      - 0
    .max_flat_workgroup_size: 1024
    .name:           _ZN7rocprim17ROCPRIM_304000_NS6detail26onesweep_histograms_kernelINS1_34wrapped_radix_sort_onesweep_configINS0_14default_configEiN2at4cuda3cub6detail10OpaqueTypeILi8EEEEELb0EPKimNS0_19identity_decomposerEEEvT1_PT2_SG_SG_T3_jj
    .private_segment_fixed_size: 0
    .sgpr_count:     18
    .sgpr_spill_count: 0
    .symbol:         _ZN7rocprim17ROCPRIM_304000_NS6detail26onesweep_histograms_kernelINS1_34wrapped_radix_sort_onesweep_configINS0_14default_configEiN2at4cuda3cub6detail10OpaqueTypeILi8EEEEELb0EPKimNS0_19identity_decomposerEEEvT1_PT2_SG_SG_T3_jj.kd
    .uniform_work_group_size: 1
    .uses_dynamic_stack: false
    .vgpr_count:     16
    .vgpr_spill_count: 0
    .wavefront_size: 32
    .workgroup_processor_mode: 1
  - .args:
      - .address_space:  global
        .offset:         0
        .size:           8
        .value_kind:     global_buffer
      - .address_space:  global
        .offset:         8
        .size:           8
        .value_kind:     global_buffer
      - .address_space:  global
        .offset:         16
        .size:           8
        .value_kind:     global_buffer
      - .address_space:  global
        .offset:         24
        .size:           8
        .value_kind:     global_buffer
      - .offset:         32
        .size:           4
        .value_kind:     by_value
      - .address_space:  global
        .offset:         40
        .size:           8
        .value_kind:     global_buffer
      - .address_space:  global
        .offset:         48
        .size:           8
        .value_kind:     global_buffer
      - .address_space:  global
        .offset:         56
        .size:           8
        .value_kind:     global_buffer
      - .offset:         64
        .size:           1
        .value_kind:     by_value
      - .offset:         68
        .size:           4
        .value_kind:     by_value
      - .offset:         72
        .size:           4
        .value_kind:     by_value
      - .offset:         76
        .size:           4
        .value_kind:     by_value
      - .offset:         80
        .size:           4
        .value_kind:     hidden_block_count_x
      - .offset:         84
        .size:           4
        .value_kind:     hidden_block_count_y
      - .offset:         88
        .size:           4
        .value_kind:     hidden_block_count_z
      - .offset:         92
        .size:           2
        .value_kind:     hidden_group_size_x
      - .offset:         94
        .size:           2
        .value_kind:     hidden_group_size_y
      - .offset:         96
        .size:           2
        .value_kind:     hidden_group_size_z
      - .offset:         98
        .size:           2
        .value_kind:     hidden_remainder_x
      - .offset:         100
        .size:           2
        .value_kind:     hidden_remainder_y
      - .offset:         102
        .size:           2
        .value_kind:     hidden_remainder_z
      - .offset:         120
        .size:           8
        .value_kind:     hidden_global_offset_x
      - .offset:         128
        .size:           8
        .value_kind:     hidden_global_offset_y
      - .offset:         136
        .size:           8
        .value_kind:     hidden_global_offset_z
      - .offset:         144
        .size:           2
        .value_kind:     hidden_grid_dims
    .group_segment_fixed_size: 36992
    .kernarg_segment_align: 8
    .kernarg_segment_size: 336
    .language:       OpenCL C
    .language_version:
      - 2
      - 0
    .max_flat_workgroup_size: 1024
    .name:           _ZN7rocprim17ROCPRIM_304000_NS6detail25onesweep_iteration_kernelINS1_34wrapped_radix_sort_onesweep_configINS0_14default_configEiN2at4cuda3cub6detail10OpaqueTypeILi8EEEEELb0EPKiPiPKSA_PSA_mNS0_19identity_decomposerEEEvT1_T2_T3_T4_jPT5_SO_PNS1_23onesweep_lookback_stateET6_jjj
    .private_segment_fixed_size: 0
    .sgpr_count:     38
    .sgpr_spill_count: 0
    .symbol:         _ZN7rocprim17ROCPRIM_304000_NS6detail25onesweep_iteration_kernelINS1_34wrapped_radix_sort_onesweep_configINS0_14default_configEiN2at4cuda3cub6detail10OpaqueTypeILi8EEEEELb0EPKiPiPKSA_PSA_mNS0_19identity_decomposerEEEvT1_T2_T3_T4_jPT5_SO_PNS1_23onesweep_lookback_stateET6_jjj.kd
    .uniform_work_group_size: 1
    .uses_dynamic_stack: false
    .vgpr_count:     45
    .vgpr_spill_count: 0
    .wavefront_size: 32
    .workgroup_processor_mode: 1
  - .args:
      - .address_space:  global
        .offset:         0
        .size:           8
        .value_kind:     global_buffer
      - .address_space:  global
        .offset:         8
        .size:           8
        .value_kind:     global_buffer
      - .address_space:  global
        .offset:         16
        .size:           8
        .value_kind:     global_buffer
      - .address_space:  global
        .offset:         24
        .size:           8
        .value_kind:     global_buffer
      - .offset:         32
        .size:           4
        .value_kind:     by_value
      - .address_space:  global
        .offset:         40
        .size:           8
        .value_kind:     global_buffer
      - .address_space:  global
        .offset:         48
        .size:           8
        .value_kind:     global_buffer
      - .address_space:  global
        .offset:         56
        .size:           8
        .value_kind:     global_buffer
      - .offset:         64
        .size:           1
        .value_kind:     by_value
      - .offset:         68
        .size:           4
        .value_kind:     by_value
      - .offset:         72
        .size:           4
        .value_kind:     by_value
      - .offset:         76
        .size:           4
        .value_kind:     by_value
      - .offset:         80
        .size:           4
        .value_kind:     hidden_block_count_x
      - .offset:         84
        .size:           4
        .value_kind:     hidden_block_count_y
      - .offset:         88
        .size:           4
        .value_kind:     hidden_block_count_z
      - .offset:         92
        .size:           2
        .value_kind:     hidden_group_size_x
      - .offset:         94
        .size:           2
        .value_kind:     hidden_group_size_y
      - .offset:         96
        .size:           2
        .value_kind:     hidden_group_size_z
      - .offset:         98
        .size:           2
        .value_kind:     hidden_remainder_x
      - .offset:         100
        .size:           2
        .value_kind:     hidden_remainder_y
      - .offset:         102
        .size:           2
        .value_kind:     hidden_remainder_z
      - .offset:         120
        .size:           8
        .value_kind:     hidden_global_offset_x
      - .offset:         128
        .size:           8
        .value_kind:     hidden_global_offset_y
      - .offset:         136
        .size:           8
        .value_kind:     hidden_global_offset_z
      - .offset:         144
        .size:           2
        .value_kind:     hidden_grid_dims
    .group_segment_fixed_size: 36992
    .kernarg_segment_align: 8
    .kernarg_segment_size: 336
    .language:       OpenCL C
    .language_version:
      - 2
      - 0
    .max_flat_workgroup_size: 1024
    .name:           _ZN7rocprim17ROCPRIM_304000_NS6detail25onesweep_iteration_kernelINS1_34wrapped_radix_sort_onesweep_configINS0_14default_configEiN2at4cuda3cub6detail10OpaqueTypeILi8EEEEELb0EPiSC_PSA_SD_mNS0_19identity_decomposerEEEvT1_T2_T3_T4_jPT5_SK_PNS1_23onesweep_lookback_stateET6_jjj
    .private_segment_fixed_size: 0
    .sgpr_count:     38
    .sgpr_spill_count: 0
    .symbol:         _ZN7rocprim17ROCPRIM_304000_NS6detail25onesweep_iteration_kernelINS1_34wrapped_radix_sort_onesweep_configINS0_14default_configEiN2at4cuda3cub6detail10OpaqueTypeILi8EEEEELb0EPiSC_PSA_SD_mNS0_19identity_decomposerEEEvT1_T2_T3_T4_jPT5_SK_PNS1_23onesweep_lookback_stateET6_jjj.kd
    .uniform_work_group_size: 1
    .uses_dynamic_stack: false
    .vgpr_count:     45
    .vgpr_spill_count: 0
    .wavefront_size: 32
    .workgroup_processor_mode: 1
  - .args:
      - .address_space:  global
        .offset:         0
        .size:           8
        .value_kind:     global_buffer
      - .address_space:  global
        .offset:         8
        .size:           8
        .value_kind:     global_buffer
      - .address_space:  global
        .offset:         16
        .size:           8
        .value_kind:     global_buffer
      - .address_space:  global
        .offset:         24
        .size:           8
        .value_kind:     global_buffer
      - .offset:         32
        .size:           4
        .value_kind:     by_value
      - .offset:         36
        .size:           1
        .value_kind:     by_value
      - .offset:         40
        .size:           4
        .value_kind:     by_value
      - .offset:         44
        .size:           4
        .value_kind:     by_value
      - .offset:         48
        .size:           4
        .value_kind:     hidden_block_count_x
      - .offset:         52
        .size:           4
        .value_kind:     hidden_block_count_y
      - .offset:         56
        .size:           4
        .value_kind:     hidden_block_count_z
      - .offset:         60
        .size:           2
        .value_kind:     hidden_group_size_x
      - .offset:         62
        .size:           2
        .value_kind:     hidden_group_size_y
      - .offset:         64
        .size:           2
        .value_kind:     hidden_group_size_z
      - .offset:         66
        .size:           2
        .value_kind:     hidden_remainder_x
      - .offset:         68
        .size:           2
        .value_kind:     hidden_remainder_y
      - .offset:         70
        .size:           2
        .value_kind:     hidden_remainder_z
      - .offset:         88
        .size:           8
        .value_kind:     hidden_global_offset_x
      - .offset:         96
        .size:           8
        .value_kind:     hidden_global_offset_y
      - .offset:         104
        .size:           8
        .value_kind:     hidden_global_offset_z
      - .offset:         112
        .size:           2
        .value_kind:     hidden_grid_dims
    .group_segment_fixed_size: 8224
    .kernarg_segment_align: 8
    .kernarg_segment_size: 304
    .language:       OpenCL C
    .language_version:
      - 2
      - 0
    .max_flat_workgroup_size: 256
    .name:           _ZN7rocprim17ROCPRIM_304000_NS6detail28radix_sort_block_sort_kernelINS1_36wrapped_radix_sort_block_sort_configINS0_13kernel_configILj256ELj4ELj4294967295EEElN2at4cuda3cub6detail10OpaqueTypeILi8EEEEELb1EPKlPlPKSB_PSB_NS0_19identity_decomposerEEEvT1_T2_T3_T4_jT5_jj
    .private_segment_fixed_size: 0
    .sgpr_count:     32
    .sgpr_spill_count: 0
    .symbol:         _ZN7rocprim17ROCPRIM_304000_NS6detail28radix_sort_block_sort_kernelINS1_36wrapped_radix_sort_block_sort_configINS0_13kernel_configILj256ELj4ELj4294967295EEElN2at4cuda3cub6detail10OpaqueTypeILi8EEEEELb1EPKlPlPKSB_PSB_NS0_19identity_decomposerEEEvT1_T2_T3_T4_jT5_jj.kd
    .uniform_work_group_size: 1
    .uses_dynamic_stack: false
    .vgpr_count:     53
    .vgpr_spill_count: 0
    .wavefront_size: 32
    .workgroup_processor_mode: 1
  - .args:           []
    .group_segment_fixed_size: 0
    .kernarg_segment_align: 4
    .kernarg_segment_size: 0
    .language:       OpenCL C
    .language_version:
      - 2
      - 0
    .max_flat_workgroup_size: 1024
    .name:           _ZN7rocprim17ROCPRIM_304000_NS6detail39device_merge_sort_compile_time_verifierINS1_36wrapped_merge_sort_block_sort_configINS1_28merge_sort_block_sort_configILj256ELj4ELNS0_20block_sort_algorithmE0EEElN2at4cuda3cub6detail10OpaqueTypeILi8EEEEENS1_37wrapped_merge_sort_block_merge_configINS0_14default_configElSC_EEEEvv
    .private_segment_fixed_size: 0
    .sgpr_count:     0
    .sgpr_spill_count: 0
    .symbol:         _ZN7rocprim17ROCPRIM_304000_NS6detail39device_merge_sort_compile_time_verifierINS1_36wrapped_merge_sort_block_sort_configINS1_28merge_sort_block_sort_configILj256ELj4ELNS0_20block_sort_algorithmE0EEElN2at4cuda3cub6detail10OpaqueTypeILi8EEEEENS1_37wrapped_merge_sort_block_merge_configINS0_14default_configElSC_EEEEvv.kd
    .uniform_work_group_size: 1
    .uses_dynamic_stack: false
    .vgpr_count:     0
    .vgpr_spill_count: 0
    .wavefront_size: 32
    .workgroup_processor_mode: 1
  - .args:
      - .address_space:  global
        .offset:         0
        .size:           8
        .value_kind:     global_buffer
      - .offset:         8
        .size:           4
        .value_kind:     by_value
      - .offset:         12
        .size:           4
        .value_kind:     by_value
      - .address_space:  global
        .offset:         16
        .size:           8
        .value_kind:     global_buffer
      - .offset:         24
        .size:           1
        .value_kind:     by_value
      - .offset:         28
        .size:           4
        .value_kind:     by_value
    .group_segment_fixed_size: 0
    .kernarg_segment_align: 8
    .kernarg_segment_size: 32
    .language:       OpenCL C
    .language_version:
      - 2
      - 0
    .max_flat_workgroup_size: 128
    .name:           _ZN7rocprim17ROCPRIM_304000_NS6detail45device_block_merge_mergepath_partition_kernelINS1_37wrapped_merge_sort_block_merge_configINS0_14default_configElN2at4cuda3cub6detail10OpaqueTypeILi8EEEEEPljNS1_19radix_merge_compareILb1ELb0ElNS0_19identity_decomposerEEEEEvT0_T1_jPSH_T2_SH_
    .private_segment_fixed_size: 0
    .sgpr_count:     18
    .sgpr_spill_count: 0
    .symbol:         _ZN7rocprim17ROCPRIM_304000_NS6detail45device_block_merge_mergepath_partition_kernelINS1_37wrapped_merge_sort_block_merge_configINS0_14default_configElN2at4cuda3cub6detail10OpaqueTypeILi8EEEEEPljNS1_19radix_merge_compareILb1ELb0ElNS0_19identity_decomposerEEEEEvT0_T1_jPSH_T2_SH_.kd
    .uniform_work_group_size: 1
    .uses_dynamic_stack: false
    .vgpr_count:     15
    .vgpr_spill_count: 0
    .wavefront_size: 32
    .workgroup_processor_mode: 1
  - .args:
      - .address_space:  global
        .offset:         0
        .size:           8
        .value_kind:     global_buffer
      - .address_space:  global
        .offset:         8
        .size:           8
        .value_kind:     global_buffer
      - .address_space:  global
        .offset:         16
        .size:           8
        .value_kind:     global_buffer
      - .address_space:  global
        .offset:         24
        .size:           8
        .value_kind:     global_buffer
      - .offset:         32
        .size:           4
        .value_kind:     by_value
      - .offset:         36
        .size:           4
        .value_kind:     by_value
      - .offset:         40
        .size:           4
        .value_kind:     by_value
      - .offset:         44
        .size:           1
        .value_kind:     by_value
      - .address_space:  global
        .offset:         48
        .size:           8
        .value_kind:     global_buffer
      - .address_space:  global
        .offset:         56
        .size:           8
        .value_kind:     global_buffer
      - .offset:         64
        .size:           4
        .value_kind:     hidden_block_count_x
      - .offset:         68
        .size:           4
        .value_kind:     hidden_block_count_y
      - .offset:         72
        .size:           4
        .value_kind:     hidden_block_count_z
      - .offset:         76
        .size:           2
        .value_kind:     hidden_group_size_x
      - .offset:         78
        .size:           2
        .value_kind:     hidden_group_size_y
      - .offset:         80
        .size:           2
        .value_kind:     hidden_group_size_z
      - .offset:         82
        .size:           2
        .value_kind:     hidden_remainder_x
      - .offset:         84
        .size:           2
        .value_kind:     hidden_remainder_y
      - .offset:         86
        .size:           2
        .value_kind:     hidden_remainder_z
      - .offset:         104
        .size:           8
        .value_kind:     hidden_global_offset_x
      - .offset:         112
        .size:           8
        .value_kind:     hidden_global_offset_y
      - .offset:         120
        .size:           8
        .value_kind:     hidden_global_offset_z
      - .offset:         128
        .size:           2
        .value_kind:     hidden_grid_dims
    .group_segment_fixed_size: 8208
    .kernarg_segment_align: 8
    .kernarg_segment_size: 320
    .language:       OpenCL C
    .language_version:
      - 2
      - 0
    .max_flat_workgroup_size: 1024
    .name:           _ZN7rocprim17ROCPRIM_304000_NS6detail35device_block_merge_mergepath_kernelINS1_37wrapped_merge_sort_block_merge_configINS0_14default_configElN2at4cuda3cub6detail10OpaqueTypeILi8EEEEEPlSC_PSA_SD_jNS1_19radix_merge_compareILb1ELb0ElNS0_19identity_decomposerEEEEEvT0_T1_T2_T3_T4_SL_jT5_PKSL_NS1_7vsmem_tE
    .private_segment_fixed_size: 0
    .sgpr_count:     26
    .sgpr_spill_count: 0
    .symbol:         _ZN7rocprim17ROCPRIM_304000_NS6detail35device_block_merge_mergepath_kernelINS1_37wrapped_merge_sort_block_merge_configINS0_14default_configElN2at4cuda3cub6detail10OpaqueTypeILi8EEEEEPlSC_PSA_SD_jNS1_19radix_merge_compareILb1ELb0ElNS0_19identity_decomposerEEEEEvT0_T1_T2_T3_T4_SL_jT5_PKSL_NS1_7vsmem_tE.kd
    .uniform_work_group_size: 1
    .uses_dynamic_stack: false
    .vgpr_count:     14
    .vgpr_spill_count: 0
    .wavefront_size: 32
    .workgroup_processor_mode: 1
  - .args:
      - .address_space:  global
        .offset:         0
        .size:           8
        .value_kind:     global_buffer
      - .address_space:  global
        .offset:         8
        .size:           8
        .value_kind:     global_buffer
      - .address_space:  global
        .offset:         16
        .size:           8
        .value_kind:     global_buffer
      - .address_space:  global
        .offset:         24
        .size:           8
        .value_kind:     global_buffer
      - .offset:         32
        .size:           4
        .value_kind:     by_value
      - .offset:         36
        .size:           4
        .value_kind:     by_value
      - .offset:         40
        .size:           1
        .value_kind:     by_value
    .group_segment_fixed_size: 0
    .kernarg_segment_align: 8
    .kernarg_segment_size: 44
    .language:       OpenCL C
    .language_version:
      - 2
      - 0
    .max_flat_workgroup_size: 256
    .name:           _ZN7rocprim17ROCPRIM_304000_NS6detail33device_block_merge_oddeven_kernelINS1_37wrapped_merge_sort_block_merge_configINS0_14default_configElN2at4cuda3cub6detail10OpaqueTypeILi8EEEEEPlSC_PSA_SD_jNS1_19radix_merge_compareILb1ELb0ElNS0_19identity_decomposerEEEEEvT0_T1_T2_T3_T4_SL_T5_
    .private_segment_fixed_size: 0
    .sgpr_count:     22
    .sgpr_spill_count: 0
    .symbol:         _ZN7rocprim17ROCPRIM_304000_NS6detail33device_block_merge_oddeven_kernelINS1_37wrapped_merge_sort_block_merge_configINS0_14default_configElN2at4cuda3cub6detail10OpaqueTypeILi8EEEEEPlSC_PSA_SD_jNS1_19radix_merge_compareILb1ELb0ElNS0_19identity_decomposerEEEEEvT0_T1_T2_T3_T4_SL_T5_.kd
    .uniform_work_group_size: 1
    .uses_dynamic_stack: false
    .vgpr_count:     12
    .vgpr_spill_count: 0
    .wavefront_size: 32
    .workgroup_processor_mode: 1
  - .args:
      - .address_space:  global
        .offset:         0
        .size:           8
        .value_kind:     global_buffer
      - .offset:         8
        .size:           8
        .value_kind:     by_value
      - .address_space:  global
        .offset:         16
        .size:           8
        .value_kind:     global_buffer
      - .offset:         24
        .size:           1
        .value_kind:     by_value
      - .offset:         32
        .size:           4
        .value_kind:     hidden_block_count_x
      - .offset:         36
        .size:           4
        .value_kind:     hidden_block_count_y
      - .offset:         40
        .size:           4
        .value_kind:     hidden_block_count_z
      - .offset:         44
        .size:           2
        .value_kind:     hidden_group_size_x
      - .offset:         46
        .size:           2
        .value_kind:     hidden_group_size_y
      - .offset:         48
        .size:           2
        .value_kind:     hidden_group_size_z
      - .offset:         50
        .size:           2
        .value_kind:     hidden_remainder_x
      - .offset:         52
        .size:           2
        .value_kind:     hidden_remainder_y
      - .offset:         54
        .size:           2
        .value_kind:     hidden_remainder_z
      - .offset:         72
        .size:           8
        .value_kind:     hidden_global_offset_x
      - .offset:         80
        .size:           8
        .value_kind:     hidden_global_offset_y
      - .offset:         88
        .size:           8
        .value_kind:     hidden_global_offset_z
      - .offset:         96
        .size:           2
        .value_kind:     hidden_grid_dims
    .group_segment_fixed_size: 0
    .kernarg_segment_align: 8
    .kernarg_segment_size: 288
    .language:       OpenCL C
    .language_version:
      - 2
      - 0
    .max_flat_workgroup_size: 512
    .name:           _ZN7rocprim17ROCPRIM_304000_NS6detail16transform_kernelINS1_24wrapped_transform_configINS0_14default_configElEElPlS6_NS0_8identityIlEEEEvT1_mT2_T3_
    .private_segment_fixed_size: 0
    .sgpr_count:     18
    .sgpr_spill_count: 0
    .symbol:         _ZN7rocprim17ROCPRIM_304000_NS6detail16transform_kernelINS1_24wrapped_transform_configINS0_14default_configElEElPlS6_NS0_8identityIlEEEEvT1_mT2_T3_.kd
    .uniform_work_group_size: 1
    .uses_dynamic_stack: false
    .vgpr_count:     5
    .vgpr_spill_count: 0
    .wavefront_size: 32
    .workgroup_processor_mode: 1
  - .args:
      - .address_space:  global
        .offset:         0
        .size:           8
        .value_kind:     global_buffer
      - .offset:         8
        .size:           4
        .value_kind:     by_value
      - .offset:         12
        .size:           4
        .value_kind:     by_value
      - .address_space:  global
        .offset:         16
        .size:           8
        .value_kind:     global_buffer
      - .offset:         24
        .size:           8
        .value_kind:     by_value
      - .offset:         32
        .size:           4
        .value_kind:     by_value
    .group_segment_fixed_size: 0
    .kernarg_segment_align: 8
    .kernarg_segment_size: 36
    .language:       OpenCL C
    .language_version:
      - 2
      - 0
    .max_flat_workgroup_size: 128
    .name:           _ZN7rocprim17ROCPRIM_304000_NS6detail45device_block_merge_mergepath_partition_kernelINS1_37wrapped_merge_sort_block_merge_configINS0_14default_configElN2at4cuda3cub6detail10OpaqueTypeILi8EEEEEPljNS1_19radix_merge_compareILb1ELb1ElNS0_19identity_decomposerEEEEEvT0_T1_jPSH_T2_SH_
    .private_segment_fixed_size: 0
    .sgpr_count:     18
    .sgpr_spill_count: 0
    .symbol:         _ZN7rocprim17ROCPRIM_304000_NS6detail45device_block_merge_mergepath_partition_kernelINS1_37wrapped_merge_sort_block_merge_configINS0_14default_configElN2at4cuda3cub6detail10OpaqueTypeILi8EEEEEPljNS1_19radix_merge_compareILb1ELb1ElNS0_19identity_decomposerEEEEEvT0_T1_jPSH_T2_SH_.kd
    .uniform_work_group_size: 1
    .uses_dynamic_stack: false
    .vgpr_count:     15
    .vgpr_spill_count: 0
    .wavefront_size: 32
    .workgroup_processor_mode: 1
  - .args:
      - .address_space:  global
        .offset:         0
        .size:           8
        .value_kind:     global_buffer
      - .address_space:  global
        .offset:         8
        .size:           8
        .value_kind:     global_buffer
      - .address_space:  global
        .offset:         16
        .size:           8
        .value_kind:     global_buffer
      - .address_space:  global
        .offset:         24
        .size:           8
        .value_kind:     global_buffer
      - .offset:         32
        .size:           4
        .value_kind:     by_value
      - .offset:         36
        .size:           4
        .value_kind:     by_value
      - .offset:         40
        .size:           4
        .value_kind:     by_value
      - .offset:         48
        .size:           8
        .value_kind:     by_value
      - .address_space:  global
        .offset:         56
        .size:           8
        .value_kind:     global_buffer
      - .address_space:  global
        .offset:         64
        .size:           8
        .value_kind:     global_buffer
      - .offset:         72
        .size:           4
        .value_kind:     hidden_block_count_x
      - .offset:         76
        .size:           4
        .value_kind:     hidden_block_count_y
      - .offset:         80
        .size:           4
        .value_kind:     hidden_block_count_z
      - .offset:         84
        .size:           2
        .value_kind:     hidden_group_size_x
      - .offset:         86
        .size:           2
        .value_kind:     hidden_group_size_y
      - .offset:         88
        .size:           2
        .value_kind:     hidden_group_size_z
      - .offset:         90
        .size:           2
        .value_kind:     hidden_remainder_x
      - .offset:         92
        .size:           2
        .value_kind:     hidden_remainder_y
      - .offset:         94
        .size:           2
        .value_kind:     hidden_remainder_z
      - .offset:         112
        .size:           8
        .value_kind:     hidden_global_offset_x
      - .offset:         120
        .size:           8
        .value_kind:     hidden_global_offset_y
      - .offset:         128
        .size:           8
        .value_kind:     hidden_global_offset_z
      - .offset:         136
        .size:           2
        .value_kind:     hidden_grid_dims
    .group_segment_fixed_size: 8208
    .kernarg_segment_align: 8
    .kernarg_segment_size: 328
    .language:       OpenCL C
    .language_version:
      - 2
      - 0
    .max_flat_workgroup_size: 1024
    .name:           _ZN7rocprim17ROCPRIM_304000_NS6detail35device_block_merge_mergepath_kernelINS1_37wrapped_merge_sort_block_merge_configINS0_14default_configElN2at4cuda3cub6detail10OpaqueTypeILi8EEEEEPlSC_PSA_SD_jNS1_19radix_merge_compareILb1ELb1ElNS0_19identity_decomposerEEEEEvT0_T1_T2_T3_T4_SL_jT5_PKSL_NS1_7vsmem_tE
    .private_segment_fixed_size: 0
    .sgpr_count:     28
    .sgpr_spill_count: 0
    .symbol:         _ZN7rocprim17ROCPRIM_304000_NS6detail35device_block_merge_mergepath_kernelINS1_37wrapped_merge_sort_block_merge_configINS0_14default_configElN2at4cuda3cub6detail10OpaqueTypeILi8EEEEEPlSC_PSA_SD_jNS1_19radix_merge_compareILb1ELb1ElNS0_19identity_decomposerEEEEEvT0_T1_T2_T3_T4_SL_jT5_PKSL_NS1_7vsmem_tE.kd
    .uniform_work_group_size: 1
    .uses_dynamic_stack: false
    .vgpr_count:     14
    .vgpr_spill_count: 0
    .wavefront_size: 32
    .workgroup_processor_mode: 1
  - .args:
      - .address_space:  global
        .offset:         0
        .size:           8
        .value_kind:     global_buffer
      - .address_space:  global
        .offset:         8
        .size:           8
        .value_kind:     global_buffer
      - .address_space:  global
        .offset:         16
        .size:           8
        .value_kind:     global_buffer
      - .address_space:  global
        .offset:         24
        .size:           8
        .value_kind:     global_buffer
      - .offset:         32
        .size:           4
        .value_kind:     by_value
      - .offset:         36
        .size:           4
        .value_kind:     by_value
      - .offset:         40
        .size:           8
        .value_kind:     by_value
    .group_segment_fixed_size: 0
    .kernarg_segment_align: 8
    .kernarg_segment_size: 48
    .language:       OpenCL C
    .language_version:
      - 2
      - 0
    .max_flat_workgroup_size: 256
    .name:           _ZN7rocprim17ROCPRIM_304000_NS6detail33device_block_merge_oddeven_kernelINS1_37wrapped_merge_sort_block_merge_configINS0_14default_configElN2at4cuda3cub6detail10OpaqueTypeILi8EEEEEPlSC_PSA_SD_jNS1_19radix_merge_compareILb1ELb1ElNS0_19identity_decomposerEEEEEvT0_T1_T2_T3_T4_SL_T5_
    .private_segment_fixed_size: 0
    .sgpr_count:     24
    .sgpr_spill_count: 0
    .symbol:         _ZN7rocprim17ROCPRIM_304000_NS6detail33device_block_merge_oddeven_kernelINS1_37wrapped_merge_sort_block_merge_configINS0_14default_configElN2at4cuda3cub6detail10OpaqueTypeILi8EEEEEPlSC_PSA_SD_jNS1_19radix_merge_compareILb1ELb1ElNS0_19identity_decomposerEEEEEvT0_T1_T2_T3_T4_SL_T5_.kd
    .uniform_work_group_size: 1
    .uses_dynamic_stack: false
    .vgpr_count:     14
    .vgpr_spill_count: 0
    .wavefront_size: 32
    .workgroup_processor_mode: 1
  - .args:
      - .address_space:  global
        .offset:         0
        .size:           8
        .value_kind:     global_buffer
      - .address_space:  global
        .offset:         8
        .size:           8
        .value_kind:     global_buffer
      - .offset:         16
        .size:           8
        .value_kind:     by_value
      - .offset:         24
        .size:           8
        .value_kind:     by_value
      - .offset:         32
        .size:           1
        .value_kind:     by_value
      - .offset:         36
        .size:           4
        .value_kind:     by_value
      - .offset:         40
        .size:           4
        .value_kind:     by_value
    .group_segment_fixed_size: 32768
    .kernarg_segment_align: 8
    .kernarg_segment_size: 44
    .language:       OpenCL C
    .language_version:
      - 2
      - 0
    .max_flat_workgroup_size: 1024
    .name:           _ZN7rocprim17ROCPRIM_304000_NS6detail26onesweep_histograms_kernelINS1_34wrapped_radix_sort_onesweep_configINS0_14default_configElN2at4cuda3cub6detail10OpaqueTypeILi8EEEEELb1EPKlmNS0_19identity_decomposerEEEvT1_PT2_SG_SG_T3_jj
    .private_segment_fixed_size: 0
    .sgpr_count:     18
    .sgpr_spill_count: 0
    .symbol:         _ZN7rocprim17ROCPRIM_304000_NS6detail26onesweep_histograms_kernelINS1_34wrapped_radix_sort_onesweep_configINS0_14default_configElN2at4cuda3cub6detail10OpaqueTypeILi8EEEEELb1EPKlmNS0_19identity_decomposerEEEvT1_PT2_SG_SG_T3_jj.kd
    .uniform_work_group_size: 1
    .uses_dynamic_stack: false
    .vgpr_count:     21
    .vgpr_spill_count: 0
    .wavefront_size: 32
    .workgroup_processor_mode: 1
  - .args:
      - .address_space:  global
        .offset:         0
        .size:           8
        .value_kind:     global_buffer
    .group_segment_fixed_size: 256
    .kernarg_segment_align: 8
    .kernarg_segment_size: 8
    .language:       OpenCL C
    .language_version:
      - 2
      - 0
    .max_flat_workgroup_size: 1024
    .name:           _ZN7rocprim17ROCPRIM_304000_NS6detail31onesweep_scan_histograms_kernelINS1_34wrapped_radix_sort_onesweep_configINS0_14default_configElN2at4cuda3cub6detail10OpaqueTypeILi8EEEEEmEEvPT0_
    .private_segment_fixed_size: 0
    .sgpr_count:     18
    .sgpr_spill_count: 0
    .symbol:         _ZN7rocprim17ROCPRIM_304000_NS6detail31onesweep_scan_histograms_kernelINS1_34wrapped_radix_sort_onesweep_configINS0_14default_configElN2at4cuda3cub6detail10OpaqueTypeILi8EEEEEmEEvPT0_.kd
    .uniform_work_group_size: 1
    .uses_dynamic_stack: false
    .vgpr_count:     10
    .vgpr_spill_count: 0
    .wavefront_size: 32
    .workgroup_processor_mode: 1
  - .args:
      - .address_space:  global
        .offset:         0
        .size:           8
        .value_kind:     global_buffer
      - .offset:         8
        .size:           8
        .value_kind:     by_value
      - .address_space:  global
        .offset:         16
        .size:           8
        .value_kind:     global_buffer
      - .offset:         24
        .size:           1
        .value_kind:     by_value
      - .offset:         32
        .size:           4
        .value_kind:     hidden_block_count_x
      - .offset:         36
        .size:           4
        .value_kind:     hidden_block_count_y
      - .offset:         40
        .size:           4
        .value_kind:     hidden_block_count_z
      - .offset:         44
        .size:           2
        .value_kind:     hidden_group_size_x
      - .offset:         46
        .size:           2
        .value_kind:     hidden_group_size_y
      - .offset:         48
        .size:           2
        .value_kind:     hidden_group_size_z
      - .offset:         50
        .size:           2
        .value_kind:     hidden_remainder_x
      - .offset:         52
        .size:           2
        .value_kind:     hidden_remainder_y
      - .offset:         54
        .size:           2
        .value_kind:     hidden_remainder_z
      - .offset:         72
        .size:           8
        .value_kind:     hidden_global_offset_x
      - .offset:         80
        .size:           8
        .value_kind:     hidden_global_offset_y
      - .offset:         88
        .size:           8
        .value_kind:     hidden_global_offset_z
      - .offset:         96
        .size:           2
        .value_kind:     hidden_grid_dims
    .group_segment_fixed_size: 0
    .kernarg_segment_align: 8
    .kernarg_segment_size: 288
    .language:       OpenCL C
    .language_version:
      - 2
      - 0
    .max_flat_workgroup_size: 512
    .name:           _ZN7rocprim17ROCPRIM_304000_NS6detail16transform_kernelINS1_24wrapped_transform_configINS0_14default_configElEElPKlPlNS0_8identityIlEEEEvT1_mT2_T3_
    .private_segment_fixed_size: 0
    .sgpr_count:     18
    .sgpr_spill_count: 0
    .symbol:         _ZN7rocprim17ROCPRIM_304000_NS6detail16transform_kernelINS1_24wrapped_transform_configINS0_14default_configElEElPKlPlNS0_8identityIlEEEEvT1_mT2_T3_.kd
    .uniform_work_group_size: 1
    .uses_dynamic_stack: false
    .vgpr_count:     5
    .vgpr_spill_count: 0
    .wavefront_size: 32
    .workgroup_processor_mode: 1
  - .args:
      - .address_space:  global
        .offset:         0
        .size:           8
        .value_kind:     global_buffer
      - .address_space:  global
        .offset:         8
        .size:           8
        .value_kind:     global_buffer
      - .address_space:  global
        .offset:         16
        .size:           8
        .value_kind:     global_buffer
      - .address_space:  global
        .offset:         24
        .size:           8
        .value_kind:     global_buffer
      - .offset:         32
        .size:           4
        .value_kind:     by_value
      - .address_space:  global
        .offset:         40
        .size:           8
        .value_kind:     global_buffer
      - .address_space:  global
        .offset:         48
        .size:           8
        .value_kind:     global_buffer
      - .address_space:  global
        .offset:         56
        .size:           8
        .value_kind:     global_buffer
      - .offset:         64
        .size:           1
        .value_kind:     by_value
      - .offset:         68
        .size:           4
        .value_kind:     by_value
      - .offset:         72
        .size:           4
        .value_kind:     by_value
      - .offset:         76
        .size:           4
        .value_kind:     by_value
      - .offset:         80
        .size:           4
        .value_kind:     hidden_block_count_x
      - .offset:         84
        .size:           4
        .value_kind:     hidden_block_count_y
      - .offset:         88
        .size:           4
        .value_kind:     hidden_block_count_z
      - .offset:         92
        .size:           2
        .value_kind:     hidden_group_size_x
      - .offset:         94
        .size:           2
        .value_kind:     hidden_group_size_y
      - .offset:         96
        .size:           2
        .value_kind:     hidden_group_size_z
      - .offset:         98
        .size:           2
        .value_kind:     hidden_remainder_x
      - .offset:         100
        .size:           2
        .value_kind:     hidden_remainder_y
      - .offset:         102
        .size:           2
        .value_kind:     hidden_remainder_z
      - .offset:         120
        .size:           8
        .value_kind:     hidden_global_offset_x
      - .offset:         128
        .size:           8
        .value_kind:     hidden_global_offset_y
      - .offset:         136
        .size:           8
        .value_kind:     hidden_global_offset_z
      - .offset:         144
        .size:           2
        .value_kind:     hidden_grid_dims
    .group_segment_fixed_size: 36992
    .kernarg_segment_align: 8
    .kernarg_segment_size: 336
    .language:       OpenCL C
    .language_version:
      - 2
      - 0
    .max_flat_workgroup_size: 1024
    .name:           _ZN7rocprim17ROCPRIM_304000_NS6detail25onesweep_iteration_kernelINS1_34wrapped_radix_sort_onesweep_configINS0_14default_configElN2at4cuda3cub6detail10OpaqueTypeILi8EEEEELb1EPKlPlPKSA_PSA_mNS0_19identity_decomposerEEEvT1_T2_T3_T4_jPT5_SO_PNS1_23onesweep_lookback_stateET6_jjj
    .private_segment_fixed_size: 0
    .sgpr_count:     38
    .sgpr_spill_count: 0
    .symbol:         _ZN7rocprim17ROCPRIM_304000_NS6detail25onesweep_iteration_kernelINS1_34wrapped_radix_sort_onesweep_configINS0_14default_configElN2at4cuda3cub6detail10OpaqueTypeILi8EEEEELb1EPKlPlPKSA_PSA_mNS0_19identity_decomposerEEEvT1_T2_T3_T4_jPT5_SO_PNS1_23onesweep_lookback_stateET6_jjj.kd
    .uniform_work_group_size: 1
    .uses_dynamic_stack: false
    .vgpr_count:     43
    .vgpr_spill_count: 0
    .wavefront_size: 32
    .workgroup_processor_mode: 1
  - .args:
      - .address_space:  global
        .offset:         0
        .size:           8
        .value_kind:     global_buffer
      - .address_space:  global
        .offset:         8
        .size:           8
        .value_kind:     global_buffer
      - .address_space:  global
        .offset:         16
        .size:           8
        .value_kind:     global_buffer
      - .address_space:  global
        .offset:         24
        .size:           8
        .value_kind:     global_buffer
      - .offset:         32
        .size:           4
        .value_kind:     by_value
      - .address_space:  global
        .offset:         40
        .size:           8
        .value_kind:     global_buffer
      - .address_space:  global
        .offset:         48
        .size:           8
        .value_kind:     global_buffer
      - .address_space:  global
        .offset:         56
        .size:           8
        .value_kind:     global_buffer
      - .offset:         64
        .size:           1
        .value_kind:     by_value
      - .offset:         68
        .size:           4
        .value_kind:     by_value
      - .offset:         72
        .size:           4
        .value_kind:     by_value
      - .offset:         76
        .size:           4
        .value_kind:     by_value
      - .offset:         80
        .size:           4
        .value_kind:     hidden_block_count_x
      - .offset:         84
        .size:           4
        .value_kind:     hidden_block_count_y
      - .offset:         88
        .size:           4
        .value_kind:     hidden_block_count_z
      - .offset:         92
        .size:           2
        .value_kind:     hidden_group_size_x
      - .offset:         94
        .size:           2
        .value_kind:     hidden_group_size_y
      - .offset:         96
        .size:           2
        .value_kind:     hidden_group_size_z
      - .offset:         98
        .size:           2
        .value_kind:     hidden_remainder_x
      - .offset:         100
        .size:           2
        .value_kind:     hidden_remainder_y
      - .offset:         102
        .size:           2
        .value_kind:     hidden_remainder_z
      - .offset:         120
        .size:           8
        .value_kind:     hidden_global_offset_x
      - .offset:         128
        .size:           8
        .value_kind:     hidden_global_offset_y
      - .offset:         136
        .size:           8
        .value_kind:     hidden_global_offset_z
      - .offset:         144
        .size:           2
        .value_kind:     hidden_grid_dims
    .group_segment_fixed_size: 36992
    .kernarg_segment_align: 8
    .kernarg_segment_size: 336
    .language:       OpenCL C
    .language_version:
      - 2
      - 0
    .max_flat_workgroup_size: 1024
    .name:           _ZN7rocprim17ROCPRIM_304000_NS6detail25onesweep_iteration_kernelINS1_34wrapped_radix_sort_onesweep_configINS0_14default_configElN2at4cuda3cub6detail10OpaqueTypeILi8EEEEELb1EPlSC_PSA_SD_mNS0_19identity_decomposerEEEvT1_T2_T3_T4_jPT5_SK_PNS1_23onesweep_lookback_stateET6_jjj
    .private_segment_fixed_size: 0
    .sgpr_count:     38
    .sgpr_spill_count: 0
    .symbol:         _ZN7rocprim17ROCPRIM_304000_NS6detail25onesweep_iteration_kernelINS1_34wrapped_radix_sort_onesweep_configINS0_14default_configElN2at4cuda3cub6detail10OpaqueTypeILi8EEEEELb1EPlSC_PSA_SD_mNS0_19identity_decomposerEEEvT1_T2_T3_T4_jPT5_SK_PNS1_23onesweep_lookback_stateET6_jjj.kd
    .uniform_work_group_size: 1
    .uses_dynamic_stack: false
    .vgpr_count:     43
    .vgpr_spill_count: 0
    .wavefront_size: 32
    .workgroup_processor_mode: 1
  - .args:
      - .address_space:  global
        .offset:         0
        .size:           8
        .value_kind:     global_buffer
      - .address_space:  global
        .offset:         8
        .size:           8
        .value_kind:     global_buffer
      - .address_space:  global
        .offset:         16
        .size:           8
        .value_kind:     global_buffer
      - .address_space:  global
        .offset:         24
        .size:           8
        .value_kind:     global_buffer
      - .offset:         32
        .size:           4
        .value_kind:     by_value
      - .offset:         36
        .size:           1
        .value_kind:     by_value
      - .offset:         40
        .size:           4
        .value_kind:     by_value
      - .offset:         44
        .size:           4
        .value_kind:     by_value
      - .offset:         48
        .size:           4
        .value_kind:     hidden_block_count_x
      - .offset:         52
        .size:           4
        .value_kind:     hidden_block_count_y
      - .offset:         56
        .size:           4
        .value_kind:     hidden_block_count_z
      - .offset:         60
        .size:           2
        .value_kind:     hidden_group_size_x
      - .offset:         62
        .size:           2
        .value_kind:     hidden_group_size_y
      - .offset:         64
        .size:           2
        .value_kind:     hidden_group_size_z
      - .offset:         66
        .size:           2
        .value_kind:     hidden_remainder_x
      - .offset:         68
        .size:           2
        .value_kind:     hidden_remainder_y
      - .offset:         70
        .size:           2
        .value_kind:     hidden_remainder_z
      - .offset:         88
        .size:           8
        .value_kind:     hidden_global_offset_x
      - .offset:         96
        .size:           8
        .value_kind:     hidden_global_offset_y
      - .offset:         104
        .size:           8
        .value_kind:     hidden_global_offset_z
      - .offset:         112
        .size:           2
        .value_kind:     hidden_grid_dims
    .group_segment_fixed_size: 8224
    .kernarg_segment_align: 8
    .kernarg_segment_size: 304
    .language:       OpenCL C
    .language_version:
      - 2
      - 0
    .max_flat_workgroup_size: 256
    .name:           _ZN7rocprim17ROCPRIM_304000_NS6detail28radix_sort_block_sort_kernelINS1_36wrapped_radix_sort_block_sort_configINS0_13kernel_configILj256ELj4ELj4294967295EEElN2at4cuda3cub6detail10OpaqueTypeILi8EEEEELb0EPKlPlPKSB_PSB_NS0_19identity_decomposerEEEvT1_T2_T3_T4_jT5_jj
    .private_segment_fixed_size: 0
    .sgpr_count:     32
    .sgpr_spill_count: 0
    .symbol:         _ZN7rocprim17ROCPRIM_304000_NS6detail28radix_sort_block_sort_kernelINS1_36wrapped_radix_sort_block_sort_configINS0_13kernel_configILj256ELj4ELj4294967295EEElN2at4cuda3cub6detail10OpaqueTypeILi8EEEEELb0EPKlPlPKSB_PSB_NS0_19identity_decomposerEEEvT1_T2_T3_T4_jT5_jj.kd
    .uniform_work_group_size: 1
    .uses_dynamic_stack: false
    .vgpr_count:     53
    .vgpr_spill_count: 0
    .wavefront_size: 32
    .workgroup_processor_mode: 1
  - .args:
      - .address_space:  global
        .offset:         0
        .size:           8
        .value_kind:     global_buffer
      - .offset:         8
        .size:           4
        .value_kind:     by_value
      - .offset:         12
        .size:           4
        .value_kind:     by_value
      - .address_space:  global
        .offset:         16
        .size:           8
        .value_kind:     global_buffer
      - .offset:         24
        .size:           1
        .value_kind:     by_value
      - .offset:         28
        .size:           4
        .value_kind:     by_value
    .group_segment_fixed_size: 0
    .kernarg_segment_align: 8
    .kernarg_segment_size: 32
    .language:       OpenCL C
    .language_version:
      - 2
      - 0
    .max_flat_workgroup_size: 128
    .name:           _ZN7rocprim17ROCPRIM_304000_NS6detail45device_block_merge_mergepath_partition_kernelINS1_37wrapped_merge_sort_block_merge_configINS0_14default_configElN2at4cuda3cub6detail10OpaqueTypeILi8EEEEEPljNS1_19radix_merge_compareILb0ELb0ElNS0_19identity_decomposerEEEEEvT0_T1_jPSH_T2_SH_
    .private_segment_fixed_size: 0
    .sgpr_count:     18
    .sgpr_spill_count: 0
    .symbol:         _ZN7rocprim17ROCPRIM_304000_NS6detail45device_block_merge_mergepath_partition_kernelINS1_37wrapped_merge_sort_block_merge_configINS0_14default_configElN2at4cuda3cub6detail10OpaqueTypeILi8EEEEEPljNS1_19radix_merge_compareILb0ELb0ElNS0_19identity_decomposerEEEEEvT0_T1_jPSH_T2_SH_.kd
    .uniform_work_group_size: 1
    .uses_dynamic_stack: false
    .vgpr_count:     15
    .vgpr_spill_count: 0
    .wavefront_size: 32
    .workgroup_processor_mode: 1
  - .args:
      - .address_space:  global
        .offset:         0
        .size:           8
        .value_kind:     global_buffer
      - .address_space:  global
        .offset:         8
        .size:           8
        .value_kind:     global_buffer
      - .address_space:  global
        .offset:         16
        .size:           8
        .value_kind:     global_buffer
      - .address_space:  global
        .offset:         24
        .size:           8
        .value_kind:     global_buffer
      - .offset:         32
        .size:           4
        .value_kind:     by_value
      - .offset:         36
        .size:           4
        .value_kind:     by_value
      - .offset:         40
        .size:           4
        .value_kind:     by_value
      - .offset:         44
        .size:           1
        .value_kind:     by_value
      - .address_space:  global
        .offset:         48
        .size:           8
        .value_kind:     global_buffer
      - .address_space:  global
        .offset:         56
        .size:           8
        .value_kind:     global_buffer
      - .offset:         64
        .size:           4
        .value_kind:     hidden_block_count_x
      - .offset:         68
        .size:           4
        .value_kind:     hidden_block_count_y
      - .offset:         72
        .size:           4
        .value_kind:     hidden_block_count_z
      - .offset:         76
        .size:           2
        .value_kind:     hidden_group_size_x
      - .offset:         78
        .size:           2
        .value_kind:     hidden_group_size_y
      - .offset:         80
        .size:           2
        .value_kind:     hidden_group_size_z
      - .offset:         82
        .size:           2
        .value_kind:     hidden_remainder_x
      - .offset:         84
        .size:           2
        .value_kind:     hidden_remainder_y
      - .offset:         86
        .size:           2
        .value_kind:     hidden_remainder_z
      - .offset:         104
        .size:           8
        .value_kind:     hidden_global_offset_x
      - .offset:         112
        .size:           8
        .value_kind:     hidden_global_offset_y
      - .offset:         120
        .size:           8
        .value_kind:     hidden_global_offset_z
      - .offset:         128
        .size:           2
        .value_kind:     hidden_grid_dims
    .group_segment_fixed_size: 8208
    .kernarg_segment_align: 8
    .kernarg_segment_size: 320
    .language:       OpenCL C
    .language_version:
      - 2
      - 0
    .max_flat_workgroup_size: 1024
    .name:           _ZN7rocprim17ROCPRIM_304000_NS6detail35device_block_merge_mergepath_kernelINS1_37wrapped_merge_sort_block_merge_configINS0_14default_configElN2at4cuda3cub6detail10OpaqueTypeILi8EEEEEPlSC_PSA_SD_jNS1_19radix_merge_compareILb0ELb0ElNS0_19identity_decomposerEEEEEvT0_T1_T2_T3_T4_SL_jT5_PKSL_NS1_7vsmem_tE
    .private_segment_fixed_size: 0
    .sgpr_count:     26
    .sgpr_spill_count: 0
    .symbol:         _ZN7rocprim17ROCPRIM_304000_NS6detail35device_block_merge_mergepath_kernelINS1_37wrapped_merge_sort_block_merge_configINS0_14default_configElN2at4cuda3cub6detail10OpaqueTypeILi8EEEEEPlSC_PSA_SD_jNS1_19radix_merge_compareILb0ELb0ElNS0_19identity_decomposerEEEEEvT0_T1_T2_T3_T4_SL_jT5_PKSL_NS1_7vsmem_tE.kd
    .uniform_work_group_size: 1
    .uses_dynamic_stack: false
    .vgpr_count:     14
    .vgpr_spill_count: 0
    .wavefront_size: 32
    .workgroup_processor_mode: 1
  - .args:
      - .address_space:  global
        .offset:         0
        .size:           8
        .value_kind:     global_buffer
      - .address_space:  global
        .offset:         8
        .size:           8
        .value_kind:     global_buffer
      - .address_space:  global
        .offset:         16
        .size:           8
        .value_kind:     global_buffer
      - .address_space:  global
        .offset:         24
        .size:           8
        .value_kind:     global_buffer
      - .offset:         32
        .size:           4
        .value_kind:     by_value
      - .offset:         36
        .size:           4
        .value_kind:     by_value
      - .offset:         40
        .size:           1
        .value_kind:     by_value
    .group_segment_fixed_size: 0
    .kernarg_segment_align: 8
    .kernarg_segment_size: 44
    .language:       OpenCL C
    .language_version:
      - 2
      - 0
    .max_flat_workgroup_size: 256
    .name:           _ZN7rocprim17ROCPRIM_304000_NS6detail33device_block_merge_oddeven_kernelINS1_37wrapped_merge_sort_block_merge_configINS0_14default_configElN2at4cuda3cub6detail10OpaqueTypeILi8EEEEEPlSC_PSA_SD_jNS1_19radix_merge_compareILb0ELb0ElNS0_19identity_decomposerEEEEEvT0_T1_T2_T3_T4_SL_T5_
    .private_segment_fixed_size: 0
    .sgpr_count:     22
    .sgpr_spill_count: 0
    .symbol:         _ZN7rocprim17ROCPRIM_304000_NS6detail33device_block_merge_oddeven_kernelINS1_37wrapped_merge_sort_block_merge_configINS0_14default_configElN2at4cuda3cub6detail10OpaqueTypeILi8EEEEEPlSC_PSA_SD_jNS1_19radix_merge_compareILb0ELb0ElNS0_19identity_decomposerEEEEEvT0_T1_T2_T3_T4_SL_T5_.kd
    .uniform_work_group_size: 1
    .uses_dynamic_stack: false
    .vgpr_count:     12
    .vgpr_spill_count: 0
    .wavefront_size: 32
    .workgroup_processor_mode: 1
  - .args:
      - .address_space:  global
        .offset:         0
        .size:           8
        .value_kind:     global_buffer
      - .offset:         8
        .size:           4
        .value_kind:     by_value
      - .offset:         12
        .size:           4
        .value_kind:     by_value
      - .address_space:  global
        .offset:         16
        .size:           8
        .value_kind:     global_buffer
      - .offset:         24
        .size:           8
        .value_kind:     by_value
      - .offset:         32
        .size:           4
        .value_kind:     by_value
    .group_segment_fixed_size: 0
    .kernarg_segment_align: 8
    .kernarg_segment_size: 36
    .language:       OpenCL C
    .language_version:
      - 2
      - 0
    .max_flat_workgroup_size: 128
    .name:           _ZN7rocprim17ROCPRIM_304000_NS6detail45device_block_merge_mergepath_partition_kernelINS1_37wrapped_merge_sort_block_merge_configINS0_14default_configElN2at4cuda3cub6detail10OpaqueTypeILi8EEEEEPljNS1_19radix_merge_compareILb0ELb1ElNS0_19identity_decomposerEEEEEvT0_T1_jPSH_T2_SH_
    .private_segment_fixed_size: 0
    .sgpr_count:     18
    .sgpr_spill_count: 0
    .symbol:         _ZN7rocprim17ROCPRIM_304000_NS6detail45device_block_merge_mergepath_partition_kernelINS1_37wrapped_merge_sort_block_merge_configINS0_14default_configElN2at4cuda3cub6detail10OpaqueTypeILi8EEEEEPljNS1_19radix_merge_compareILb0ELb1ElNS0_19identity_decomposerEEEEEvT0_T1_jPSH_T2_SH_.kd
    .uniform_work_group_size: 1
    .uses_dynamic_stack: false
    .vgpr_count:     15
    .vgpr_spill_count: 0
    .wavefront_size: 32
    .workgroup_processor_mode: 1
  - .args:
      - .address_space:  global
        .offset:         0
        .size:           8
        .value_kind:     global_buffer
      - .address_space:  global
        .offset:         8
        .size:           8
        .value_kind:     global_buffer
      - .address_space:  global
        .offset:         16
        .size:           8
        .value_kind:     global_buffer
      - .address_space:  global
        .offset:         24
        .size:           8
        .value_kind:     global_buffer
      - .offset:         32
        .size:           4
        .value_kind:     by_value
      - .offset:         36
        .size:           4
        .value_kind:     by_value
      - .offset:         40
        .size:           4
        .value_kind:     by_value
      - .offset:         48
        .size:           8
        .value_kind:     by_value
      - .address_space:  global
        .offset:         56
        .size:           8
        .value_kind:     global_buffer
      - .address_space:  global
        .offset:         64
        .size:           8
        .value_kind:     global_buffer
      - .offset:         72
        .size:           4
        .value_kind:     hidden_block_count_x
      - .offset:         76
        .size:           4
        .value_kind:     hidden_block_count_y
      - .offset:         80
        .size:           4
        .value_kind:     hidden_block_count_z
      - .offset:         84
        .size:           2
        .value_kind:     hidden_group_size_x
      - .offset:         86
        .size:           2
        .value_kind:     hidden_group_size_y
      - .offset:         88
        .size:           2
        .value_kind:     hidden_group_size_z
      - .offset:         90
        .size:           2
        .value_kind:     hidden_remainder_x
      - .offset:         92
        .size:           2
        .value_kind:     hidden_remainder_y
      - .offset:         94
        .size:           2
        .value_kind:     hidden_remainder_z
      - .offset:         112
        .size:           8
        .value_kind:     hidden_global_offset_x
      - .offset:         120
        .size:           8
        .value_kind:     hidden_global_offset_y
      - .offset:         128
        .size:           8
        .value_kind:     hidden_global_offset_z
      - .offset:         136
        .size:           2
        .value_kind:     hidden_grid_dims
    .group_segment_fixed_size: 8208
    .kernarg_segment_align: 8
    .kernarg_segment_size: 328
    .language:       OpenCL C
    .language_version:
      - 2
      - 0
    .max_flat_workgroup_size: 1024
    .name:           _ZN7rocprim17ROCPRIM_304000_NS6detail35device_block_merge_mergepath_kernelINS1_37wrapped_merge_sort_block_merge_configINS0_14default_configElN2at4cuda3cub6detail10OpaqueTypeILi8EEEEEPlSC_PSA_SD_jNS1_19radix_merge_compareILb0ELb1ElNS0_19identity_decomposerEEEEEvT0_T1_T2_T3_T4_SL_jT5_PKSL_NS1_7vsmem_tE
    .private_segment_fixed_size: 0
    .sgpr_count:     28
    .sgpr_spill_count: 0
    .symbol:         _ZN7rocprim17ROCPRIM_304000_NS6detail35device_block_merge_mergepath_kernelINS1_37wrapped_merge_sort_block_merge_configINS0_14default_configElN2at4cuda3cub6detail10OpaqueTypeILi8EEEEEPlSC_PSA_SD_jNS1_19radix_merge_compareILb0ELb1ElNS0_19identity_decomposerEEEEEvT0_T1_T2_T3_T4_SL_jT5_PKSL_NS1_7vsmem_tE.kd
    .uniform_work_group_size: 1
    .uses_dynamic_stack: false
    .vgpr_count:     14
    .vgpr_spill_count: 0
    .wavefront_size: 32
    .workgroup_processor_mode: 1
  - .args:
      - .address_space:  global
        .offset:         0
        .size:           8
        .value_kind:     global_buffer
      - .address_space:  global
        .offset:         8
        .size:           8
        .value_kind:     global_buffer
      - .address_space:  global
        .offset:         16
        .size:           8
        .value_kind:     global_buffer
      - .address_space:  global
        .offset:         24
        .size:           8
        .value_kind:     global_buffer
      - .offset:         32
        .size:           4
        .value_kind:     by_value
      - .offset:         36
        .size:           4
        .value_kind:     by_value
      - .offset:         40
        .size:           8
        .value_kind:     by_value
    .group_segment_fixed_size: 0
    .kernarg_segment_align: 8
    .kernarg_segment_size: 48
    .language:       OpenCL C
    .language_version:
      - 2
      - 0
    .max_flat_workgroup_size: 256
    .name:           _ZN7rocprim17ROCPRIM_304000_NS6detail33device_block_merge_oddeven_kernelINS1_37wrapped_merge_sort_block_merge_configINS0_14default_configElN2at4cuda3cub6detail10OpaqueTypeILi8EEEEEPlSC_PSA_SD_jNS1_19radix_merge_compareILb0ELb1ElNS0_19identity_decomposerEEEEEvT0_T1_T2_T3_T4_SL_T5_
    .private_segment_fixed_size: 0
    .sgpr_count:     24
    .sgpr_spill_count: 0
    .symbol:         _ZN7rocprim17ROCPRIM_304000_NS6detail33device_block_merge_oddeven_kernelINS1_37wrapped_merge_sort_block_merge_configINS0_14default_configElN2at4cuda3cub6detail10OpaqueTypeILi8EEEEEPlSC_PSA_SD_jNS1_19radix_merge_compareILb0ELb1ElNS0_19identity_decomposerEEEEEvT0_T1_T2_T3_T4_SL_T5_.kd
    .uniform_work_group_size: 1
    .uses_dynamic_stack: false
    .vgpr_count:     14
    .vgpr_spill_count: 0
    .wavefront_size: 32
    .workgroup_processor_mode: 1
  - .args:
      - .address_space:  global
        .offset:         0
        .size:           8
        .value_kind:     global_buffer
      - .address_space:  global
        .offset:         8
        .size:           8
        .value_kind:     global_buffer
      - .offset:         16
        .size:           8
        .value_kind:     by_value
      - .offset:         24
        .size:           8
        .value_kind:     by_value
      - .offset:         32
        .size:           1
        .value_kind:     by_value
      - .offset:         36
        .size:           4
        .value_kind:     by_value
      - .offset:         40
        .size:           4
        .value_kind:     by_value
    .group_segment_fixed_size: 32768
    .kernarg_segment_align: 8
    .kernarg_segment_size: 44
    .language:       OpenCL C
    .language_version:
      - 2
      - 0
    .max_flat_workgroup_size: 1024
    .name:           _ZN7rocprim17ROCPRIM_304000_NS6detail26onesweep_histograms_kernelINS1_34wrapped_radix_sort_onesweep_configINS0_14default_configElN2at4cuda3cub6detail10OpaqueTypeILi8EEEEELb0EPKlmNS0_19identity_decomposerEEEvT1_PT2_SG_SG_T3_jj
    .private_segment_fixed_size: 0
    .sgpr_count:     18
    .sgpr_spill_count: 0
    .symbol:         _ZN7rocprim17ROCPRIM_304000_NS6detail26onesweep_histograms_kernelINS1_34wrapped_radix_sort_onesweep_configINS0_14default_configElN2at4cuda3cub6detail10OpaqueTypeILi8EEEEELb0EPKlmNS0_19identity_decomposerEEEvT1_PT2_SG_SG_T3_jj.kd
    .uniform_work_group_size: 1
    .uses_dynamic_stack: false
    .vgpr_count:     21
    .vgpr_spill_count: 0
    .wavefront_size: 32
    .workgroup_processor_mode: 1
  - .args:
      - .address_space:  global
        .offset:         0
        .size:           8
        .value_kind:     global_buffer
      - .address_space:  global
        .offset:         8
        .size:           8
        .value_kind:     global_buffer
      - .address_space:  global
        .offset:         16
        .size:           8
        .value_kind:     global_buffer
      - .address_space:  global
        .offset:         24
        .size:           8
        .value_kind:     global_buffer
      - .offset:         32
        .size:           4
        .value_kind:     by_value
      - .address_space:  global
        .offset:         40
        .size:           8
        .value_kind:     global_buffer
      - .address_space:  global
        .offset:         48
        .size:           8
        .value_kind:     global_buffer
      - .address_space:  global
        .offset:         56
        .size:           8
        .value_kind:     global_buffer
      - .offset:         64
        .size:           1
        .value_kind:     by_value
      - .offset:         68
        .size:           4
        .value_kind:     by_value
      - .offset:         72
        .size:           4
        .value_kind:     by_value
      - .offset:         76
        .size:           4
        .value_kind:     by_value
      - .offset:         80
        .size:           4
        .value_kind:     hidden_block_count_x
      - .offset:         84
        .size:           4
        .value_kind:     hidden_block_count_y
      - .offset:         88
        .size:           4
        .value_kind:     hidden_block_count_z
      - .offset:         92
        .size:           2
        .value_kind:     hidden_group_size_x
      - .offset:         94
        .size:           2
        .value_kind:     hidden_group_size_y
      - .offset:         96
        .size:           2
        .value_kind:     hidden_group_size_z
      - .offset:         98
        .size:           2
        .value_kind:     hidden_remainder_x
      - .offset:         100
        .size:           2
        .value_kind:     hidden_remainder_y
      - .offset:         102
        .size:           2
        .value_kind:     hidden_remainder_z
      - .offset:         120
        .size:           8
        .value_kind:     hidden_global_offset_x
      - .offset:         128
        .size:           8
        .value_kind:     hidden_global_offset_y
      - .offset:         136
        .size:           8
        .value_kind:     hidden_global_offset_z
      - .offset:         144
        .size:           2
        .value_kind:     hidden_grid_dims
    .group_segment_fixed_size: 36992
    .kernarg_segment_align: 8
    .kernarg_segment_size: 336
    .language:       OpenCL C
    .language_version:
      - 2
      - 0
    .max_flat_workgroup_size: 1024
    .name:           _ZN7rocprim17ROCPRIM_304000_NS6detail25onesweep_iteration_kernelINS1_34wrapped_radix_sort_onesweep_configINS0_14default_configElN2at4cuda3cub6detail10OpaqueTypeILi8EEEEELb0EPKlPlPKSA_PSA_mNS0_19identity_decomposerEEEvT1_T2_T3_T4_jPT5_SO_PNS1_23onesweep_lookback_stateET6_jjj
    .private_segment_fixed_size: 0
    .sgpr_count:     38
    .sgpr_spill_count: 0
    .symbol:         _ZN7rocprim17ROCPRIM_304000_NS6detail25onesweep_iteration_kernelINS1_34wrapped_radix_sort_onesweep_configINS0_14default_configElN2at4cuda3cub6detail10OpaqueTypeILi8EEEEELb0EPKlPlPKSA_PSA_mNS0_19identity_decomposerEEEvT1_T2_T3_T4_jPT5_SO_PNS1_23onesweep_lookback_stateET6_jjj.kd
    .uniform_work_group_size: 1
    .uses_dynamic_stack: false
    .vgpr_count:     43
    .vgpr_spill_count: 0
    .wavefront_size: 32
    .workgroup_processor_mode: 1
  - .args:
      - .address_space:  global
        .offset:         0
        .size:           8
        .value_kind:     global_buffer
      - .address_space:  global
        .offset:         8
        .size:           8
        .value_kind:     global_buffer
      - .address_space:  global
        .offset:         16
        .size:           8
        .value_kind:     global_buffer
      - .address_space:  global
        .offset:         24
        .size:           8
        .value_kind:     global_buffer
      - .offset:         32
        .size:           4
        .value_kind:     by_value
      - .address_space:  global
        .offset:         40
        .size:           8
        .value_kind:     global_buffer
      - .address_space:  global
        .offset:         48
        .size:           8
        .value_kind:     global_buffer
      - .address_space:  global
        .offset:         56
        .size:           8
        .value_kind:     global_buffer
      - .offset:         64
        .size:           1
        .value_kind:     by_value
      - .offset:         68
        .size:           4
        .value_kind:     by_value
      - .offset:         72
        .size:           4
        .value_kind:     by_value
      - .offset:         76
        .size:           4
        .value_kind:     by_value
      - .offset:         80
        .size:           4
        .value_kind:     hidden_block_count_x
      - .offset:         84
        .size:           4
        .value_kind:     hidden_block_count_y
      - .offset:         88
        .size:           4
        .value_kind:     hidden_block_count_z
      - .offset:         92
        .size:           2
        .value_kind:     hidden_group_size_x
      - .offset:         94
        .size:           2
        .value_kind:     hidden_group_size_y
      - .offset:         96
        .size:           2
        .value_kind:     hidden_group_size_z
      - .offset:         98
        .size:           2
        .value_kind:     hidden_remainder_x
      - .offset:         100
        .size:           2
        .value_kind:     hidden_remainder_y
      - .offset:         102
        .size:           2
        .value_kind:     hidden_remainder_z
      - .offset:         120
        .size:           8
        .value_kind:     hidden_global_offset_x
      - .offset:         128
        .size:           8
        .value_kind:     hidden_global_offset_y
      - .offset:         136
        .size:           8
        .value_kind:     hidden_global_offset_z
      - .offset:         144
        .size:           2
        .value_kind:     hidden_grid_dims
    .group_segment_fixed_size: 36992
    .kernarg_segment_align: 8
    .kernarg_segment_size: 336
    .language:       OpenCL C
    .language_version:
      - 2
      - 0
    .max_flat_workgroup_size: 1024
    .name:           _ZN7rocprim17ROCPRIM_304000_NS6detail25onesweep_iteration_kernelINS1_34wrapped_radix_sort_onesweep_configINS0_14default_configElN2at4cuda3cub6detail10OpaqueTypeILi8EEEEELb0EPlSC_PSA_SD_mNS0_19identity_decomposerEEEvT1_T2_T3_T4_jPT5_SK_PNS1_23onesweep_lookback_stateET6_jjj
    .private_segment_fixed_size: 0
    .sgpr_count:     38
    .sgpr_spill_count: 0
    .symbol:         _ZN7rocprim17ROCPRIM_304000_NS6detail25onesweep_iteration_kernelINS1_34wrapped_radix_sort_onesweep_configINS0_14default_configElN2at4cuda3cub6detail10OpaqueTypeILi8EEEEELb0EPlSC_PSA_SD_mNS0_19identity_decomposerEEEvT1_T2_T3_T4_jPT5_SK_PNS1_23onesweep_lookback_stateET6_jjj.kd
    .uniform_work_group_size: 1
    .uses_dynamic_stack: false
    .vgpr_count:     43
    .vgpr_spill_count: 0
    .wavefront_size: 32
    .workgroup_processor_mode: 1
  - .args:
      - .address_space:  global
        .offset:         0
        .size:           8
        .value_kind:     global_buffer
      - .address_space:  global
        .offset:         8
        .size:           8
        .value_kind:     global_buffer
      - .address_space:  global
        .offset:         16
        .size:           8
        .value_kind:     global_buffer
      - .address_space:  global
        .offset:         24
        .size:           8
        .value_kind:     global_buffer
      - .offset:         32
        .size:           4
        .value_kind:     by_value
      - .offset:         36
        .size:           1
        .value_kind:     by_value
      - .offset:         40
        .size:           4
        .value_kind:     by_value
      - .offset:         44
        .size:           4
        .value_kind:     by_value
      - .offset:         48
        .size:           4
        .value_kind:     hidden_block_count_x
      - .offset:         52
        .size:           4
        .value_kind:     hidden_block_count_y
      - .offset:         56
        .size:           4
        .value_kind:     hidden_block_count_z
      - .offset:         60
        .size:           2
        .value_kind:     hidden_group_size_x
      - .offset:         62
        .size:           2
        .value_kind:     hidden_group_size_y
      - .offset:         64
        .size:           2
        .value_kind:     hidden_group_size_z
      - .offset:         66
        .size:           2
        .value_kind:     hidden_remainder_x
      - .offset:         68
        .size:           2
        .value_kind:     hidden_remainder_y
      - .offset:         70
        .size:           2
        .value_kind:     hidden_remainder_z
      - .offset:         88
        .size:           8
        .value_kind:     hidden_global_offset_x
      - .offset:         96
        .size:           8
        .value_kind:     hidden_global_offset_y
      - .offset:         104
        .size:           8
        .value_kind:     hidden_global_offset_z
      - .offset:         112
        .size:           2
        .value_kind:     hidden_grid_dims
    .group_segment_fixed_size: 8224
    .kernarg_segment_align: 8
    .kernarg_segment_size: 304
    .language:       OpenCL C
    .language_version:
      - 2
      - 0
    .max_flat_workgroup_size: 256
    .name:           _ZN7rocprim17ROCPRIM_304000_NS6detail28radix_sort_block_sort_kernelINS1_36wrapped_radix_sort_block_sort_configINS0_13kernel_configILj256ELj4ELj4294967295EEEfN2at4cuda3cub6detail10OpaqueTypeILi8EEEEELb1EPKfPfPKSB_PSB_NS0_19identity_decomposerEEEvT1_T2_T3_T4_jT5_jj
    .private_segment_fixed_size: 0
    .sgpr_count:     34
    .sgpr_spill_count: 0
    .symbol:         _ZN7rocprim17ROCPRIM_304000_NS6detail28radix_sort_block_sort_kernelINS1_36wrapped_radix_sort_block_sort_configINS0_13kernel_configILj256ELj4ELj4294967295EEEfN2at4cuda3cub6detail10OpaqueTypeILi8EEEEELb1EPKfPfPKSB_PSB_NS0_19identity_decomposerEEEvT1_T2_T3_T4_jT5_jj.kd
    .uniform_work_group_size: 1
    .uses_dynamic_stack: false
    .vgpr_count:     55
    .vgpr_spill_count: 0
    .wavefront_size: 32
    .workgroup_processor_mode: 1
  - .args:           []
    .group_segment_fixed_size: 0
    .kernarg_segment_align: 4
    .kernarg_segment_size: 0
    .language:       OpenCL C
    .language_version:
      - 2
      - 0
    .max_flat_workgroup_size: 1024
    .name:           _ZN7rocprim17ROCPRIM_304000_NS6detail39device_merge_sort_compile_time_verifierINS1_36wrapped_merge_sort_block_sort_configINS1_28merge_sort_block_sort_configILj256ELj4ELNS0_20block_sort_algorithmE0EEEfN2at4cuda3cub6detail10OpaqueTypeILi8EEEEENS1_37wrapped_merge_sort_block_merge_configINS0_14default_configEfSC_EEEEvv
    .private_segment_fixed_size: 0
    .sgpr_count:     0
    .sgpr_spill_count: 0
    .symbol:         _ZN7rocprim17ROCPRIM_304000_NS6detail39device_merge_sort_compile_time_verifierINS1_36wrapped_merge_sort_block_sort_configINS1_28merge_sort_block_sort_configILj256ELj4ELNS0_20block_sort_algorithmE0EEEfN2at4cuda3cub6detail10OpaqueTypeILi8EEEEENS1_37wrapped_merge_sort_block_merge_configINS0_14default_configEfSC_EEEEvv.kd
    .uniform_work_group_size: 1
    .uses_dynamic_stack: false
    .vgpr_count:     0
    .vgpr_spill_count: 0
    .wavefront_size: 32
    .workgroup_processor_mode: 1
  - .args:
      - .address_space:  global
        .offset:         0
        .size:           8
        .value_kind:     global_buffer
      - .offset:         8
        .size:           4
        .value_kind:     by_value
      - .offset:         12
        .size:           4
        .value_kind:     by_value
      - .address_space:  global
        .offset:         16
        .size:           8
        .value_kind:     global_buffer
      - .offset:         24
        .size:           1
        .value_kind:     by_value
      - .offset:         28
        .size:           4
        .value_kind:     by_value
    .group_segment_fixed_size: 0
    .kernarg_segment_align: 8
    .kernarg_segment_size: 32
    .language:       OpenCL C
    .language_version:
      - 2
      - 0
    .max_flat_workgroup_size: 128
    .name:           _ZN7rocprim17ROCPRIM_304000_NS6detail45device_block_merge_mergepath_partition_kernelINS1_37wrapped_merge_sort_block_merge_configINS0_14default_configEfN2at4cuda3cub6detail10OpaqueTypeILi8EEEEEPfjNS1_19radix_merge_compareILb1ELb0EfNS0_19identity_decomposerEEEEEvT0_T1_jPSH_T2_SH_
    .private_segment_fixed_size: 0
    .sgpr_count:     18
    .sgpr_spill_count: 0
    .symbol:         _ZN7rocprim17ROCPRIM_304000_NS6detail45device_block_merge_mergepath_partition_kernelINS1_37wrapped_merge_sort_block_merge_configINS0_14default_configEfN2at4cuda3cub6detail10OpaqueTypeILi8EEEEEPfjNS1_19radix_merge_compareILb1ELb0EfNS0_19identity_decomposerEEEEEvT0_T1_jPSH_T2_SH_.kd
    .uniform_work_group_size: 1
    .uses_dynamic_stack: false
    .vgpr_count:     15
    .vgpr_spill_count: 0
    .wavefront_size: 32
    .workgroup_processor_mode: 1
  - .args:
      - .address_space:  global
        .offset:         0
        .size:           8
        .value_kind:     global_buffer
      - .address_space:  global
        .offset:         8
        .size:           8
        .value_kind:     global_buffer
      - .address_space:  global
        .offset:         16
        .size:           8
        .value_kind:     global_buffer
      - .address_space:  global
        .offset:         24
        .size:           8
        .value_kind:     global_buffer
      - .offset:         32
        .size:           4
        .value_kind:     by_value
      - .offset:         36
        .size:           4
        .value_kind:     by_value
      - .offset:         40
        .size:           4
        .value_kind:     by_value
      - .offset:         44
        .size:           1
        .value_kind:     by_value
      - .address_space:  global
        .offset:         48
        .size:           8
        .value_kind:     global_buffer
      - .address_space:  global
        .offset:         56
        .size:           8
        .value_kind:     global_buffer
      - .offset:         64
        .size:           4
        .value_kind:     hidden_block_count_x
      - .offset:         68
        .size:           4
        .value_kind:     hidden_block_count_y
      - .offset:         72
        .size:           4
        .value_kind:     hidden_block_count_z
      - .offset:         76
        .size:           2
        .value_kind:     hidden_group_size_x
      - .offset:         78
        .size:           2
        .value_kind:     hidden_group_size_y
      - .offset:         80
        .size:           2
        .value_kind:     hidden_group_size_z
      - .offset:         82
        .size:           2
        .value_kind:     hidden_remainder_x
      - .offset:         84
        .size:           2
        .value_kind:     hidden_remainder_y
      - .offset:         86
        .size:           2
        .value_kind:     hidden_remainder_z
      - .offset:         104
        .size:           8
        .value_kind:     hidden_global_offset_x
      - .offset:         112
        .size:           8
        .value_kind:     hidden_global_offset_y
      - .offset:         120
        .size:           8
        .value_kind:     hidden_global_offset_z
      - .offset:         128
        .size:           2
        .value_kind:     hidden_grid_dims
    .group_segment_fixed_size: 8208
    .kernarg_segment_align: 8
    .kernarg_segment_size: 320
    .language:       OpenCL C
    .language_version:
      - 2
      - 0
    .max_flat_workgroup_size: 512
    .name:           _ZN7rocprim17ROCPRIM_304000_NS6detail35device_block_merge_mergepath_kernelINS1_37wrapped_merge_sort_block_merge_configINS0_14default_configEfN2at4cuda3cub6detail10OpaqueTypeILi8EEEEEPfSC_PSA_SD_jNS1_19radix_merge_compareILb1ELb0EfNS0_19identity_decomposerEEEEEvT0_T1_T2_T3_T4_SL_jT5_PKSL_NS1_7vsmem_tE
    .private_segment_fixed_size: 0
    .sgpr_count:     31
    .sgpr_spill_count: 0
    .symbol:         _ZN7rocprim17ROCPRIM_304000_NS6detail35device_block_merge_mergepath_kernelINS1_37wrapped_merge_sort_block_merge_configINS0_14default_configEfN2at4cuda3cub6detail10OpaqueTypeILi8EEEEEPfSC_PSA_SD_jNS1_19radix_merge_compareILb1ELb0EfNS0_19identity_decomposerEEEEEvT0_T1_T2_T3_T4_SL_jT5_PKSL_NS1_7vsmem_tE.kd
    .uniform_work_group_size: 1
    .uses_dynamic_stack: false
    .vgpr_count:     17
    .vgpr_spill_count: 0
    .wavefront_size: 32
    .workgroup_processor_mode: 1
  - .args:
      - .address_space:  global
        .offset:         0
        .size:           8
        .value_kind:     global_buffer
      - .address_space:  global
        .offset:         8
        .size:           8
        .value_kind:     global_buffer
      - .address_space:  global
        .offset:         16
        .size:           8
        .value_kind:     global_buffer
      - .address_space:  global
        .offset:         24
        .size:           8
        .value_kind:     global_buffer
      - .offset:         32
        .size:           4
        .value_kind:     by_value
      - .offset:         36
        .size:           4
        .value_kind:     by_value
      - .offset:         40
        .size:           1
        .value_kind:     by_value
    .group_segment_fixed_size: 0
    .kernarg_segment_align: 8
    .kernarg_segment_size: 44
    .language:       OpenCL C
    .language_version:
      - 2
      - 0
    .max_flat_workgroup_size: 256
    .name:           _ZN7rocprim17ROCPRIM_304000_NS6detail33device_block_merge_oddeven_kernelINS1_37wrapped_merge_sort_block_merge_configINS0_14default_configEfN2at4cuda3cub6detail10OpaqueTypeILi8EEEEEPfSC_PSA_SD_jNS1_19radix_merge_compareILb1ELb0EfNS0_19identity_decomposerEEEEEvT0_T1_T2_T3_T4_SL_T5_
    .private_segment_fixed_size: 0
    .sgpr_count:     22
    .sgpr_spill_count: 0
    .symbol:         _ZN7rocprim17ROCPRIM_304000_NS6detail33device_block_merge_oddeven_kernelINS1_37wrapped_merge_sort_block_merge_configINS0_14default_configEfN2at4cuda3cub6detail10OpaqueTypeILi8EEEEEPfSC_PSA_SD_jNS1_19radix_merge_compareILb1ELb0EfNS0_19identity_decomposerEEEEEvT0_T1_T2_T3_T4_SL_T5_.kd
    .uniform_work_group_size: 1
    .uses_dynamic_stack: false
    .vgpr_count:     12
    .vgpr_spill_count: 0
    .wavefront_size: 32
    .workgroup_processor_mode: 1
  - .args:
      - .address_space:  global
        .offset:         0
        .size:           8
        .value_kind:     global_buffer
      - .offset:         8
        .size:           8
        .value_kind:     by_value
      - .address_space:  global
        .offset:         16
        .size:           8
        .value_kind:     global_buffer
      - .offset:         24
        .size:           1
        .value_kind:     by_value
      - .offset:         32
        .size:           4
        .value_kind:     hidden_block_count_x
      - .offset:         36
        .size:           4
        .value_kind:     hidden_block_count_y
      - .offset:         40
        .size:           4
        .value_kind:     hidden_block_count_z
      - .offset:         44
        .size:           2
        .value_kind:     hidden_group_size_x
      - .offset:         46
        .size:           2
        .value_kind:     hidden_group_size_y
      - .offset:         48
        .size:           2
        .value_kind:     hidden_group_size_z
      - .offset:         50
        .size:           2
        .value_kind:     hidden_remainder_x
      - .offset:         52
        .size:           2
        .value_kind:     hidden_remainder_y
      - .offset:         54
        .size:           2
        .value_kind:     hidden_remainder_z
      - .offset:         72
        .size:           8
        .value_kind:     hidden_global_offset_x
      - .offset:         80
        .size:           8
        .value_kind:     hidden_global_offset_y
      - .offset:         88
        .size:           8
        .value_kind:     hidden_global_offset_z
      - .offset:         96
        .size:           2
        .value_kind:     hidden_grid_dims
    .group_segment_fixed_size: 0
    .kernarg_segment_align: 8
    .kernarg_segment_size: 288
    .language:       OpenCL C
    .language_version:
      - 2
      - 0
    .max_flat_workgroup_size: 1024
    .name:           _ZN7rocprim17ROCPRIM_304000_NS6detail16transform_kernelINS1_24wrapped_transform_configINS0_14default_configEfEEfPfS6_NS0_8identityIfEEEEvT1_mT2_T3_
    .private_segment_fixed_size: 0
    .sgpr_count:     18
    .sgpr_spill_count: 0
    .symbol:         _ZN7rocprim17ROCPRIM_304000_NS6detail16transform_kernelINS1_24wrapped_transform_configINS0_14default_configEfEEfPfS6_NS0_8identityIfEEEEvT1_mT2_T3_.kd
    .uniform_work_group_size: 1
    .uses_dynamic_stack: false
    .vgpr_count:     3
    .vgpr_spill_count: 0
    .wavefront_size: 32
    .workgroup_processor_mode: 1
  - .args:
      - .address_space:  global
        .offset:         0
        .size:           8
        .value_kind:     global_buffer
      - .address_space:  global
        .offset:         8
        .size:           8
        .value_kind:     global_buffer
      - .offset:         16
        .size:           8
        .value_kind:     by_value
      - .offset:         24
        .size:           8
        .value_kind:     by_value
      - .offset:         32
        .size:           1
        .value_kind:     by_value
      - .offset:         36
        .size:           4
        .value_kind:     by_value
      - .offset:         40
        .size:           4
        .value_kind:     by_value
    .group_segment_fixed_size: 16384
    .kernarg_segment_align: 8
    .kernarg_segment_size: 44
    .language:       OpenCL C
    .language_version:
      - 2
      - 0
    .max_flat_workgroup_size: 1024
    .name:           _ZN7rocprim17ROCPRIM_304000_NS6detail26onesweep_histograms_kernelINS1_34wrapped_radix_sort_onesweep_configINS0_14default_configEfN2at4cuda3cub6detail10OpaqueTypeILi8EEEEELb1EPKfmNS0_19identity_decomposerEEEvT1_PT2_SG_SG_T3_jj
    .private_segment_fixed_size: 0
    .sgpr_count:     18
    .sgpr_spill_count: 0
    .symbol:         _ZN7rocprim17ROCPRIM_304000_NS6detail26onesweep_histograms_kernelINS1_34wrapped_radix_sort_onesweep_configINS0_14default_configEfN2at4cuda3cub6detail10OpaqueTypeILi8EEEEELb1EPKfmNS0_19identity_decomposerEEEvT1_PT2_SG_SG_T3_jj.kd
    .uniform_work_group_size: 1
    .uses_dynamic_stack: false
    .vgpr_count:     16
    .vgpr_spill_count: 0
    .wavefront_size: 32
    .workgroup_processor_mode: 1
  - .args:
      - .address_space:  global
        .offset:         0
        .size:           8
        .value_kind:     global_buffer
    .group_segment_fixed_size: 256
    .kernarg_segment_align: 8
    .kernarg_segment_size: 8
    .language:       OpenCL C
    .language_version:
      - 2
      - 0
    .max_flat_workgroup_size: 1024
    .name:           _ZN7rocprim17ROCPRIM_304000_NS6detail31onesweep_scan_histograms_kernelINS1_34wrapped_radix_sort_onesweep_configINS0_14default_configEfN2at4cuda3cub6detail10OpaqueTypeILi8EEEEEmEEvPT0_
    .private_segment_fixed_size: 0
    .sgpr_count:     18
    .sgpr_spill_count: 0
    .symbol:         _ZN7rocprim17ROCPRIM_304000_NS6detail31onesweep_scan_histograms_kernelINS1_34wrapped_radix_sort_onesweep_configINS0_14default_configEfN2at4cuda3cub6detail10OpaqueTypeILi8EEEEEmEEvPT0_.kd
    .uniform_work_group_size: 1
    .uses_dynamic_stack: false
    .vgpr_count:     10
    .vgpr_spill_count: 0
    .wavefront_size: 32
    .workgroup_processor_mode: 1
  - .args:
      - .address_space:  global
        .offset:         0
        .size:           8
        .value_kind:     global_buffer
      - .offset:         8
        .size:           8
        .value_kind:     by_value
      - .address_space:  global
        .offset:         16
        .size:           8
        .value_kind:     global_buffer
      - .offset:         24
        .size:           1
        .value_kind:     by_value
      - .offset:         32
        .size:           4
        .value_kind:     hidden_block_count_x
      - .offset:         36
        .size:           4
        .value_kind:     hidden_block_count_y
      - .offset:         40
        .size:           4
        .value_kind:     hidden_block_count_z
      - .offset:         44
        .size:           2
        .value_kind:     hidden_group_size_x
      - .offset:         46
        .size:           2
        .value_kind:     hidden_group_size_y
      - .offset:         48
        .size:           2
        .value_kind:     hidden_group_size_z
      - .offset:         50
        .size:           2
        .value_kind:     hidden_remainder_x
      - .offset:         52
        .size:           2
        .value_kind:     hidden_remainder_y
      - .offset:         54
        .size:           2
        .value_kind:     hidden_remainder_z
      - .offset:         72
        .size:           8
        .value_kind:     hidden_global_offset_x
      - .offset:         80
        .size:           8
        .value_kind:     hidden_global_offset_y
      - .offset:         88
        .size:           8
        .value_kind:     hidden_global_offset_z
      - .offset:         96
        .size:           2
        .value_kind:     hidden_grid_dims
    .group_segment_fixed_size: 0
    .kernarg_segment_align: 8
    .kernarg_segment_size: 288
    .language:       OpenCL C
    .language_version:
      - 2
      - 0
    .max_flat_workgroup_size: 1024
    .name:           _ZN7rocprim17ROCPRIM_304000_NS6detail16transform_kernelINS1_24wrapped_transform_configINS0_14default_configEfEEfPKfPfNS0_8identityIfEEEEvT1_mT2_T3_
    .private_segment_fixed_size: 0
    .sgpr_count:     18
    .sgpr_spill_count: 0
    .symbol:         _ZN7rocprim17ROCPRIM_304000_NS6detail16transform_kernelINS1_24wrapped_transform_configINS0_14default_configEfEEfPKfPfNS0_8identityIfEEEEvT1_mT2_T3_.kd
    .uniform_work_group_size: 1
    .uses_dynamic_stack: false
    .vgpr_count:     3
    .vgpr_spill_count: 0
    .wavefront_size: 32
    .workgroup_processor_mode: 1
  - .args:
      - .address_space:  global
        .offset:         0
        .size:           8
        .value_kind:     global_buffer
      - .address_space:  global
        .offset:         8
        .size:           8
        .value_kind:     global_buffer
      - .address_space:  global
        .offset:         16
        .size:           8
        .value_kind:     global_buffer
      - .address_space:  global
        .offset:         24
        .size:           8
        .value_kind:     global_buffer
      - .offset:         32
        .size:           4
        .value_kind:     by_value
      - .address_space:  global
        .offset:         40
        .size:           8
        .value_kind:     global_buffer
      - .address_space:  global
        .offset:         48
        .size:           8
        .value_kind:     global_buffer
      - .address_space:  global
        .offset:         56
        .size:           8
        .value_kind:     global_buffer
      - .offset:         64
        .size:           1
        .value_kind:     by_value
      - .offset:         68
        .size:           4
        .value_kind:     by_value
      - .offset:         72
        .size:           4
        .value_kind:     by_value
      - .offset:         76
        .size:           4
        .value_kind:     by_value
      - .offset:         80
        .size:           4
        .value_kind:     hidden_block_count_x
      - .offset:         84
        .size:           4
        .value_kind:     hidden_block_count_y
      - .offset:         88
        .size:           4
        .value_kind:     hidden_block_count_z
      - .offset:         92
        .size:           2
        .value_kind:     hidden_group_size_x
      - .offset:         94
        .size:           2
        .value_kind:     hidden_group_size_y
      - .offset:         96
        .size:           2
        .value_kind:     hidden_group_size_z
      - .offset:         98
        .size:           2
        .value_kind:     hidden_remainder_x
      - .offset:         100
        .size:           2
        .value_kind:     hidden_remainder_y
      - .offset:         102
        .size:           2
        .value_kind:     hidden_remainder_z
      - .offset:         120
        .size:           8
        .value_kind:     hidden_global_offset_x
      - .offset:         128
        .size:           8
        .value_kind:     hidden_global_offset_y
      - .offset:         136
        .size:           8
        .value_kind:     hidden_global_offset_z
      - .offset:         144
        .size:           2
        .value_kind:     hidden_grid_dims
    .group_segment_fixed_size: 36992
    .kernarg_segment_align: 8
    .kernarg_segment_size: 336
    .language:       OpenCL C
    .language_version:
      - 2
      - 0
    .max_flat_workgroup_size: 1024
    .name:           _ZN7rocprim17ROCPRIM_304000_NS6detail25onesweep_iteration_kernelINS1_34wrapped_radix_sort_onesweep_configINS0_14default_configEfN2at4cuda3cub6detail10OpaqueTypeILi8EEEEELb1EPKfPfPKSA_PSA_mNS0_19identity_decomposerEEEvT1_T2_T3_T4_jPT5_SO_PNS1_23onesweep_lookback_stateET6_jjj
    .private_segment_fixed_size: 0
    .sgpr_count:     38
    .sgpr_spill_count: 0
    .symbol:         _ZN7rocprim17ROCPRIM_304000_NS6detail25onesweep_iteration_kernelINS1_34wrapped_radix_sort_onesweep_configINS0_14default_configEfN2at4cuda3cub6detail10OpaqueTypeILi8EEEEELb1EPKfPfPKSA_PSA_mNS0_19identity_decomposerEEEvT1_T2_T3_T4_jPT5_SO_PNS1_23onesweep_lookback_stateET6_jjj.kd
    .uniform_work_group_size: 1
    .uses_dynamic_stack: false
    .vgpr_count:     45
    .vgpr_spill_count: 0
    .wavefront_size: 32
    .workgroup_processor_mode: 1
  - .args:
      - .address_space:  global
        .offset:         0
        .size:           8
        .value_kind:     global_buffer
      - .address_space:  global
        .offset:         8
        .size:           8
        .value_kind:     global_buffer
      - .address_space:  global
        .offset:         16
        .size:           8
        .value_kind:     global_buffer
      - .address_space:  global
        .offset:         24
        .size:           8
        .value_kind:     global_buffer
      - .offset:         32
        .size:           4
        .value_kind:     by_value
      - .address_space:  global
        .offset:         40
        .size:           8
        .value_kind:     global_buffer
      - .address_space:  global
        .offset:         48
        .size:           8
        .value_kind:     global_buffer
      - .address_space:  global
        .offset:         56
        .size:           8
        .value_kind:     global_buffer
      - .offset:         64
        .size:           1
        .value_kind:     by_value
      - .offset:         68
        .size:           4
        .value_kind:     by_value
      - .offset:         72
        .size:           4
        .value_kind:     by_value
      - .offset:         76
        .size:           4
        .value_kind:     by_value
      - .offset:         80
        .size:           4
        .value_kind:     hidden_block_count_x
      - .offset:         84
        .size:           4
        .value_kind:     hidden_block_count_y
      - .offset:         88
        .size:           4
        .value_kind:     hidden_block_count_z
      - .offset:         92
        .size:           2
        .value_kind:     hidden_group_size_x
      - .offset:         94
        .size:           2
        .value_kind:     hidden_group_size_y
      - .offset:         96
        .size:           2
        .value_kind:     hidden_group_size_z
      - .offset:         98
        .size:           2
        .value_kind:     hidden_remainder_x
      - .offset:         100
        .size:           2
        .value_kind:     hidden_remainder_y
      - .offset:         102
        .size:           2
        .value_kind:     hidden_remainder_z
      - .offset:         120
        .size:           8
        .value_kind:     hidden_global_offset_x
      - .offset:         128
        .size:           8
        .value_kind:     hidden_global_offset_y
      - .offset:         136
        .size:           8
        .value_kind:     hidden_global_offset_z
      - .offset:         144
        .size:           2
        .value_kind:     hidden_grid_dims
    .group_segment_fixed_size: 36992
    .kernarg_segment_align: 8
    .kernarg_segment_size: 336
    .language:       OpenCL C
    .language_version:
      - 2
      - 0
    .max_flat_workgroup_size: 1024
    .name:           _ZN7rocprim17ROCPRIM_304000_NS6detail25onesweep_iteration_kernelINS1_34wrapped_radix_sort_onesweep_configINS0_14default_configEfN2at4cuda3cub6detail10OpaqueTypeILi8EEEEELb1EPfSC_PSA_SD_mNS0_19identity_decomposerEEEvT1_T2_T3_T4_jPT5_SK_PNS1_23onesweep_lookback_stateET6_jjj
    .private_segment_fixed_size: 0
    .sgpr_count:     38
    .sgpr_spill_count: 0
    .symbol:         _ZN7rocprim17ROCPRIM_304000_NS6detail25onesweep_iteration_kernelINS1_34wrapped_radix_sort_onesweep_configINS0_14default_configEfN2at4cuda3cub6detail10OpaqueTypeILi8EEEEELb1EPfSC_PSA_SD_mNS0_19identity_decomposerEEEvT1_T2_T3_T4_jPT5_SK_PNS1_23onesweep_lookback_stateET6_jjj.kd
    .uniform_work_group_size: 1
    .uses_dynamic_stack: false
    .vgpr_count:     45
    .vgpr_spill_count: 0
    .wavefront_size: 32
    .workgroup_processor_mode: 1
  - .args:
      - .address_space:  global
        .offset:         0
        .size:           8
        .value_kind:     global_buffer
      - .address_space:  global
        .offset:         8
        .size:           8
        .value_kind:     global_buffer
      - .address_space:  global
        .offset:         16
        .size:           8
        .value_kind:     global_buffer
      - .address_space:  global
        .offset:         24
        .size:           8
        .value_kind:     global_buffer
      - .offset:         32
        .size:           4
        .value_kind:     by_value
      - .offset:         36
        .size:           1
        .value_kind:     by_value
      - .offset:         40
        .size:           4
        .value_kind:     by_value
      - .offset:         44
        .size:           4
        .value_kind:     by_value
      - .offset:         48
        .size:           4
        .value_kind:     hidden_block_count_x
      - .offset:         52
        .size:           4
        .value_kind:     hidden_block_count_y
      - .offset:         56
        .size:           4
        .value_kind:     hidden_block_count_z
      - .offset:         60
        .size:           2
        .value_kind:     hidden_group_size_x
      - .offset:         62
        .size:           2
        .value_kind:     hidden_group_size_y
      - .offset:         64
        .size:           2
        .value_kind:     hidden_group_size_z
      - .offset:         66
        .size:           2
        .value_kind:     hidden_remainder_x
      - .offset:         68
        .size:           2
        .value_kind:     hidden_remainder_y
      - .offset:         70
        .size:           2
        .value_kind:     hidden_remainder_z
      - .offset:         88
        .size:           8
        .value_kind:     hidden_global_offset_x
      - .offset:         96
        .size:           8
        .value_kind:     hidden_global_offset_y
      - .offset:         104
        .size:           8
        .value_kind:     hidden_global_offset_z
      - .offset:         112
        .size:           2
        .value_kind:     hidden_grid_dims
    .group_segment_fixed_size: 8224
    .kernarg_segment_align: 8
    .kernarg_segment_size: 304
    .language:       OpenCL C
    .language_version:
      - 2
      - 0
    .max_flat_workgroup_size: 256
    .name:           _ZN7rocprim17ROCPRIM_304000_NS6detail28radix_sort_block_sort_kernelINS1_36wrapped_radix_sort_block_sort_configINS0_13kernel_configILj256ELj4ELj4294967295EEEfN2at4cuda3cub6detail10OpaqueTypeILi8EEEEELb0EPKfPfPKSB_PSB_NS0_19identity_decomposerEEEvT1_T2_T3_T4_jT5_jj
    .private_segment_fixed_size: 0
    .sgpr_count:     34
    .sgpr_spill_count: 0
    .symbol:         _ZN7rocprim17ROCPRIM_304000_NS6detail28radix_sort_block_sort_kernelINS1_36wrapped_radix_sort_block_sort_configINS0_13kernel_configILj256ELj4ELj4294967295EEEfN2at4cuda3cub6detail10OpaqueTypeILi8EEEEELb0EPKfPfPKSB_PSB_NS0_19identity_decomposerEEEvT1_T2_T3_T4_jT5_jj.kd
    .uniform_work_group_size: 1
    .uses_dynamic_stack: false
    .vgpr_count:     55
    .vgpr_spill_count: 0
    .wavefront_size: 32
    .workgroup_processor_mode: 1
  - .args:
      - .address_space:  global
        .offset:         0
        .size:           8
        .value_kind:     global_buffer
      - .offset:         8
        .size:           4
        .value_kind:     by_value
      - .offset:         12
        .size:           4
        .value_kind:     by_value
      - .address_space:  global
        .offset:         16
        .size:           8
        .value_kind:     global_buffer
      - .offset:         24
        .size:           1
        .value_kind:     by_value
      - .offset:         28
        .size:           4
        .value_kind:     by_value
    .group_segment_fixed_size: 0
    .kernarg_segment_align: 8
    .kernarg_segment_size: 32
    .language:       OpenCL C
    .language_version:
      - 2
      - 0
    .max_flat_workgroup_size: 128
    .name:           _ZN7rocprim17ROCPRIM_304000_NS6detail45device_block_merge_mergepath_partition_kernelINS1_37wrapped_merge_sort_block_merge_configINS0_14default_configEfN2at4cuda3cub6detail10OpaqueTypeILi8EEEEEPfjNS1_19radix_merge_compareILb0ELb0EfNS0_19identity_decomposerEEEEEvT0_T1_jPSH_T2_SH_
    .private_segment_fixed_size: 0
    .sgpr_count:     18
    .sgpr_spill_count: 0
    .symbol:         _ZN7rocprim17ROCPRIM_304000_NS6detail45device_block_merge_mergepath_partition_kernelINS1_37wrapped_merge_sort_block_merge_configINS0_14default_configEfN2at4cuda3cub6detail10OpaqueTypeILi8EEEEEPfjNS1_19radix_merge_compareILb0ELb0EfNS0_19identity_decomposerEEEEEvT0_T1_jPSH_T2_SH_.kd
    .uniform_work_group_size: 1
    .uses_dynamic_stack: false
    .vgpr_count:     15
    .vgpr_spill_count: 0
    .wavefront_size: 32
    .workgroup_processor_mode: 1
  - .args:
      - .address_space:  global
        .offset:         0
        .size:           8
        .value_kind:     global_buffer
      - .address_space:  global
        .offset:         8
        .size:           8
        .value_kind:     global_buffer
      - .address_space:  global
        .offset:         16
        .size:           8
        .value_kind:     global_buffer
      - .address_space:  global
        .offset:         24
        .size:           8
        .value_kind:     global_buffer
      - .offset:         32
        .size:           4
        .value_kind:     by_value
      - .offset:         36
        .size:           4
        .value_kind:     by_value
      - .offset:         40
        .size:           4
        .value_kind:     by_value
      - .offset:         44
        .size:           1
        .value_kind:     by_value
      - .address_space:  global
        .offset:         48
        .size:           8
        .value_kind:     global_buffer
      - .address_space:  global
        .offset:         56
        .size:           8
        .value_kind:     global_buffer
      - .offset:         64
        .size:           4
        .value_kind:     hidden_block_count_x
      - .offset:         68
        .size:           4
        .value_kind:     hidden_block_count_y
      - .offset:         72
        .size:           4
        .value_kind:     hidden_block_count_z
      - .offset:         76
        .size:           2
        .value_kind:     hidden_group_size_x
      - .offset:         78
        .size:           2
        .value_kind:     hidden_group_size_y
      - .offset:         80
        .size:           2
        .value_kind:     hidden_group_size_z
      - .offset:         82
        .size:           2
        .value_kind:     hidden_remainder_x
      - .offset:         84
        .size:           2
        .value_kind:     hidden_remainder_y
      - .offset:         86
        .size:           2
        .value_kind:     hidden_remainder_z
      - .offset:         104
        .size:           8
        .value_kind:     hidden_global_offset_x
      - .offset:         112
        .size:           8
        .value_kind:     hidden_global_offset_y
      - .offset:         120
        .size:           8
        .value_kind:     hidden_global_offset_z
      - .offset:         128
        .size:           2
        .value_kind:     hidden_grid_dims
    .group_segment_fixed_size: 8208
    .kernarg_segment_align: 8
    .kernarg_segment_size: 320
    .language:       OpenCL C
    .language_version:
      - 2
      - 0
    .max_flat_workgroup_size: 512
    .name:           _ZN7rocprim17ROCPRIM_304000_NS6detail35device_block_merge_mergepath_kernelINS1_37wrapped_merge_sort_block_merge_configINS0_14default_configEfN2at4cuda3cub6detail10OpaqueTypeILi8EEEEEPfSC_PSA_SD_jNS1_19radix_merge_compareILb0ELb0EfNS0_19identity_decomposerEEEEEvT0_T1_T2_T3_T4_SL_jT5_PKSL_NS1_7vsmem_tE
    .private_segment_fixed_size: 0
    .sgpr_count:     31
    .sgpr_spill_count: 0
    .symbol:         _ZN7rocprim17ROCPRIM_304000_NS6detail35device_block_merge_mergepath_kernelINS1_37wrapped_merge_sort_block_merge_configINS0_14default_configEfN2at4cuda3cub6detail10OpaqueTypeILi8EEEEEPfSC_PSA_SD_jNS1_19radix_merge_compareILb0ELb0EfNS0_19identity_decomposerEEEEEvT0_T1_T2_T3_T4_SL_jT5_PKSL_NS1_7vsmem_tE.kd
    .uniform_work_group_size: 1
    .uses_dynamic_stack: false
    .vgpr_count:     17
    .vgpr_spill_count: 0
    .wavefront_size: 32
    .workgroup_processor_mode: 1
  - .args:
      - .address_space:  global
        .offset:         0
        .size:           8
        .value_kind:     global_buffer
      - .address_space:  global
        .offset:         8
        .size:           8
        .value_kind:     global_buffer
      - .address_space:  global
        .offset:         16
        .size:           8
        .value_kind:     global_buffer
      - .address_space:  global
        .offset:         24
        .size:           8
        .value_kind:     global_buffer
      - .offset:         32
        .size:           4
        .value_kind:     by_value
      - .offset:         36
        .size:           4
        .value_kind:     by_value
      - .offset:         40
        .size:           1
        .value_kind:     by_value
    .group_segment_fixed_size: 0
    .kernarg_segment_align: 8
    .kernarg_segment_size: 44
    .language:       OpenCL C
    .language_version:
      - 2
      - 0
    .max_flat_workgroup_size: 256
    .name:           _ZN7rocprim17ROCPRIM_304000_NS6detail33device_block_merge_oddeven_kernelINS1_37wrapped_merge_sort_block_merge_configINS0_14default_configEfN2at4cuda3cub6detail10OpaqueTypeILi8EEEEEPfSC_PSA_SD_jNS1_19radix_merge_compareILb0ELb0EfNS0_19identity_decomposerEEEEEvT0_T1_T2_T3_T4_SL_T5_
    .private_segment_fixed_size: 0
    .sgpr_count:     22
    .sgpr_spill_count: 0
    .symbol:         _ZN7rocprim17ROCPRIM_304000_NS6detail33device_block_merge_oddeven_kernelINS1_37wrapped_merge_sort_block_merge_configINS0_14default_configEfN2at4cuda3cub6detail10OpaqueTypeILi8EEEEEPfSC_PSA_SD_jNS1_19radix_merge_compareILb0ELb0EfNS0_19identity_decomposerEEEEEvT0_T1_T2_T3_T4_SL_T5_.kd
    .uniform_work_group_size: 1
    .uses_dynamic_stack: false
    .vgpr_count:     12
    .vgpr_spill_count: 0
    .wavefront_size: 32
    .workgroup_processor_mode: 1
  - .args:
      - .address_space:  global
        .offset:         0
        .size:           8
        .value_kind:     global_buffer
      - .address_space:  global
        .offset:         8
        .size:           8
        .value_kind:     global_buffer
      - .offset:         16
        .size:           8
        .value_kind:     by_value
      - .offset:         24
        .size:           8
        .value_kind:     by_value
      - .offset:         32
        .size:           1
        .value_kind:     by_value
      - .offset:         36
        .size:           4
        .value_kind:     by_value
      - .offset:         40
        .size:           4
        .value_kind:     by_value
    .group_segment_fixed_size: 16384
    .kernarg_segment_align: 8
    .kernarg_segment_size: 44
    .language:       OpenCL C
    .language_version:
      - 2
      - 0
    .max_flat_workgroup_size: 1024
    .name:           _ZN7rocprim17ROCPRIM_304000_NS6detail26onesweep_histograms_kernelINS1_34wrapped_radix_sort_onesweep_configINS0_14default_configEfN2at4cuda3cub6detail10OpaqueTypeILi8EEEEELb0EPKfmNS0_19identity_decomposerEEEvT1_PT2_SG_SG_T3_jj
    .private_segment_fixed_size: 0
    .sgpr_count:     18
    .sgpr_spill_count: 0
    .symbol:         _ZN7rocprim17ROCPRIM_304000_NS6detail26onesweep_histograms_kernelINS1_34wrapped_radix_sort_onesweep_configINS0_14default_configEfN2at4cuda3cub6detail10OpaqueTypeILi8EEEEELb0EPKfmNS0_19identity_decomposerEEEvT1_PT2_SG_SG_T3_jj.kd
    .uniform_work_group_size: 1
    .uses_dynamic_stack: false
    .vgpr_count:     16
    .vgpr_spill_count: 0
    .wavefront_size: 32
    .workgroup_processor_mode: 1
  - .args:
      - .address_space:  global
        .offset:         0
        .size:           8
        .value_kind:     global_buffer
      - .address_space:  global
        .offset:         8
        .size:           8
        .value_kind:     global_buffer
      - .address_space:  global
        .offset:         16
        .size:           8
        .value_kind:     global_buffer
      - .address_space:  global
        .offset:         24
        .size:           8
        .value_kind:     global_buffer
      - .offset:         32
        .size:           4
        .value_kind:     by_value
      - .address_space:  global
        .offset:         40
        .size:           8
        .value_kind:     global_buffer
      - .address_space:  global
        .offset:         48
        .size:           8
        .value_kind:     global_buffer
      - .address_space:  global
        .offset:         56
        .size:           8
        .value_kind:     global_buffer
      - .offset:         64
        .size:           1
        .value_kind:     by_value
      - .offset:         68
        .size:           4
        .value_kind:     by_value
      - .offset:         72
        .size:           4
        .value_kind:     by_value
      - .offset:         76
        .size:           4
        .value_kind:     by_value
      - .offset:         80
        .size:           4
        .value_kind:     hidden_block_count_x
      - .offset:         84
        .size:           4
        .value_kind:     hidden_block_count_y
      - .offset:         88
        .size:           4
        .value_kind:     hidden_block_count_z
      - .offset:         92
        .size:           2
        .value_kind:     hidden_group_size_x
      - .offset:         94
        .size:           2
        .value_kind:     hidden_group_size_y
      - .offset:         96
        .size:           2
        .value_kind:     hidden_group_size_z
      - .offset:         98
        .size:           2
        .value_kind:     hidden_remainder_x
      - .offset:         100
        .size:           2
        .value_kind:     hidden_remainder_y
      - .offset:         102
        .size:           2
        .value_kind:     hidden_remainder_z
      - .offset:         120
        .size:           8
        .value_kind:     hidden_global_offset_x
      - .offset:         128
        .size:           8
        .value_kind:     hidden_global_offset_y
      - .offset:         136
        .size:           8
        .value_kind:     hidden_global_offset_z
      - .offset:         144
        .size:           2
        .value_kind:     hidden_grid_dims
    .group_segment_fixed_size: 36992
    .kernarg_segment_align: 8
    .kernarg_segment_size: 336
    .language:       OpenCL C
    .language_version:
      - 2
      - 0
    .max_flat_workgroup_size: 1024
    .name:           _ZN7rocprim17ROCPRIM_304000_NS6detail25onesweep_iteration_kernelINS1_34wrapped_radix_sort_onesweep_configINS0_14default_configEfN2at4cuda3cub6detail10OpaqueTypeILi8EEEEELb0EPKfPfPKSA_PSA_mNS0_19identity_decomposerEEEvT1_T2_T3_T4_jPT5_SO_PNS1_23onesweep_lookback_stateET6_jjj
    .private_segment_fixed_size: 0
    .sgpr_count:     38
    .sgpr_spill_count: 0
    .symbol:         _ZN7rocprim17ROCPRIM_304000_NS6detail25onesweep_iteration_kernelINS1_34wrapped_radix_sort_onesweep_configINS0_14default_configEfN2at4cuda3cub6detail10OpaqueTypeILi8EEEEELb0EPKfPfPKSA_PSA_mNS0_19identity_decomposerEEEvT1_T2_T3_T4_jPT5_SO_PNS1_23onesweep_lookback_stateET6_jjj.kd
    .uniform_work_group_size: 1
    .uses_dynamic_stack: false
    .vgpr_count:     45
    .vgpr_spill_count: 0
    .wavefront_size: 32
    .workgroup_processor_mode: 1
  - .args:
      - .address_space:  global
        .offset:         0
        .size:           8
        .value_kind:     global_buffer
      - .address_space:  global
        .offset:         8
        .size:           8
        .value_kind:     global_buffer
      - .address_space:  global
        .offset:         16
        .size:           8
        .value_kind:     global_buffer
      - .address_space:  global
        .offset:         24
        .size:           8
        .value_kind:     global_buffer
      - .offset:         32
        .size:           4
        .value_kind:     by_value
      - .address_space:  global
        .offset:         40
        .size:           8
        .value_kind:     global_buffer
      - .address_space:  global
        .offset:         48
        .size:           8
        .value_kind:     global_buffer
      - .address_space:  global
        .offset:         56
        .size:           8
        .value_kind:     global_buffer
      - .offset:         64
        .size:           1
        .value_kind:     by_value
      - .offset:         68
        .size:           4
        .value_kind:     by_value
      - .offset:         72
        .size:           4
        .value_kind:     by_value
      - .offset:         76
        .size:           4
        .value_kind:     by_value
      - .offset:         80
        .size:           4
        .value_kind:     hidden_block_count_x
      - .offset:         84
        .size:           4
        .value_kind:     hidden_block_count_y
      - .offset:         88
        .size:           4
        .value_kind:     hidden_block_count_z
      - .offset:         92
        .size:           2
        .value_kind:     hidden_group_size_x
      - .offset:         94
        .size:           2
        .value_kind:     hidden_group_size_y
      - .offset:         96
        .size:           2
        .value_kind:     hidden_group_size_z
      - .offset:         98
        .size:           2
        .value_kind:     hidden_remainder_x
      - .offset:         100
        .size:           2
        .value_kind:     hidden_remainder_y
      - .offset:         102
        .size:           2
        .value_kind:     hidden_remainder_z
      - .offset:         120
        .size:           8
        .value_kind:     hidden_global_offset_x
      - .offset:         128
        .size:           8
        .value_kind:     hidden_global_offset_y
      - .offset:         136
        .size:           8
        .value_kind:     hidden_global_offset_z
      - .offset:         144
        .size:           2
        .value_kind:     hidden_grid_dims
    .group_segment_fixed_size: 36992
    .kernarg_segment_align: 8
    .kernarg_segment_size: 336
    .language:       OpenCL C
    .language_version:
      - 2
      - 0
    .max_flat_workgroup_size: 1024
    .name:           _ZN7rocprim17ROCPRIM_304000_NS6detail25onesweep_iteration_kernelINS1_34wrapped_radix_sort_onesweep_configINS0_14default_configEfN2at4cuda3cub6detail10OpaqueTypeILi8EEEEELb0EPfSC_PSA_SD_mNS0_19identity_decomposerEEEvT1_T2_T3_T4_jPT5_SK_PNS1_23onesweep_lookback_stateET6_jjj
    .private_segment_fixed_size: 0
    .sgpr_count:     38
    .sgpr_spill_count: 0
    .symbol:         _ZN7rocprim17ROCPRIM_304000_NS6detail25onesweep_iteration_kernelINS1_34wrapped_radix_sort_onesweep_configINS0_14default_configEfN2at4cuda3cub6detail10OpaqueTypeILi8EEEEELb0EPfSC_PSA_SD_mNS0_19identity_decomposerEEEvT1_T2_T3_T4_jPT5_SK_PNS1_23onesweep_lookback_stateET6_jjj.kd
    .uniform_work_group_size: 1
    .uses_dynamic_stack: false
    .vgpr_count:     45
    .vgpr_spill_count: 0
    .wavefront_size: 32
    .workgroup_processor_mode: 1
  - .args:
      - .address_space:  global
        .offset:         0
        .size:           8
        .value_kind:     global_buffer
      - .address_space:  global
        .offset:         8
        .size:           8
        .value_kind:     global_buffer
      - .address_space:  global
        .offset:         16
        .size:           8
        .value_kind:     global_buffer
      - .address_space:  global
        .offset:         24
        .size:           8
        .value_kind:     global_buffer
      - .offset:         32
        .size:           4
        .value_kind:     by_value
      - .offset:         36
        .size:           1
        .value_kind:     by_value
      - .offset:         40
        .size:           4
        .value_kind:     by_value
      - .offset:         44
        .size:           4
        .value_kind:     by_value
      - .offset:         48
        .size:           4
        .value_kind:     hidden_block_count_x
      - .offset:         52
        .size:           4
        .value_kind:     hidden_block_count_y
      - .offset:         56
        .size:           4
        .value_kind:     hidden_block_count_z
      - .offset:         60
        .size:           2
        .value_kind:     hidden_group_size_x
      - .offset:         62
        .size:           2
        .value_kind:     hidden_group_size_y
      - .offset:         64
        .size:           2
        .value_kind:     hidden_group_size_z
      - .offset:         66
        .size:           2
        .value_kind:     hidden_remainder_x
      - .offset:         68
        .size:           2
        .value_kind:     hidden_remainder_y
      - .offset:         70
        .size:           2
        .value_kind:     hidden_remainder_z
      - .offset:         88
        .size:           8
        .value_kind:     hidden_global_offset_x
      - .offset:         96
        .size:           8
        .value_kind:     hidden_global_offset_y
      - .offset:         104
        .size:           8
        .value_kind:     hidden_global_offset_z
      - .offset:         112
        .size:           2
        .value_kind:     hidden_grid_dims
    .group_segment_fixed_size: 8224
    .kernarg_segment_align: 8
    .kernarg_segment_size: 304
    .language:       OpenCL C
    .language_version:
      - 2
      - 0
    .max_flat_workgroup_size: 256
    .name:           _ZN7rocprim17ROCPRIM_304000_NS6detail28radix_sort_block_sort_kernelINS1_36wrapped_radix_sort_block_sort_configINS0_13kernel_configILj256ELj4ELj4294967295EEEdN2at4cuda3cub6detail10OpaqueTypeILi8EEEEELb1EPKdPdPKSB_PSB_NS0_19identity_decomposerEEEvT1_T2_T3_T4_jT5_jj
    .private_segment_fixed_size: 0
    .sgpr_count:     31
    .sgpr_spill_count: 0
    .symbol:         _ZN7rocprim17ROCPRIM_304000_NS6detail28radix_sort_block_sort_kernelINS1_36wrapped_radix_sort_block_sort_configINS0_13kernel_configILj256ELj4ELj4294967295EEEdN2at4cuda3cub6detail10OpaqueTypeILi8EEEEELb1EPKdPdPKSB_PSB_NS0_19identity_decomposerEEEvT1_T2_T3_T4_jT5_jj.kd
    .uniform_work_group_size: 1
    .uses_dynamic_stack: false
    .vgpr_count:     53
    .vgpr_spill_count: 0
    .wavefront_size: 32
    .workgroup_processor_mode: 1
  - .args:           []
    .group_segment_fixed_size: 0
    .kernarg_segment_align: 4
    .kernarg_segment_size: 0
    .language:       OpenCL C
    .language_version:
      - 2
      - 0
    .max_flat_workgroup_size: 1024
    .name:           _ZN7rocprim17ROCPRIM_304000_NS6detail39device_merge_sort_compile_time_verifierINS1_36wrapped_merge_sort_block_sort_configINS1_28merge_sort_block_sort_configILj256ELj4ELNS0_20block_sort_algorithmE0EEEdN2at4cuda3cub6detail10OpaqueTypeILi8EEEEENS1_37wrapped_merge_sort_block_merge_configINS0_14default_configEdSC_EEEEvv
    .private_segment_fixed_size: 0
    .sgpr_count:     0
    .sgpr_spill_count: 0
    .symbol:         _ZN7rocprim17ROCPRIM_304000_NS6detail39device_merge_sort_compile_time_verifierINS1_36wrapped_merge_sort_block_sort_configINS1_28merge_sort_block_sort_configILj256ELj4ELNS0_20block_sort_algorithmE0EEEdN2at4cuda3cub6detail10OpaqueTypeILi8EEEEENS1_37wrapped_merge_sort_block_merge_configINS0_14default_configEdSC_EEEEvv.kd
    .uniform_work_group_size: 1
    .uses_dynamic_stack: false
    .vgpr_count:     0
    .vgpr_spill_count: 0
    .wavefront_size: 32
    .workgroup_processor_mode: 1
  - .args:
      - .address_space:  global
        .offset:         0
        .size:           8
        .value_kind:     global_buffer
      - .offset:         8
        .size:           4
        .value_kind:     by_value
      - .offset:         12
        .size:           4
        .value_kind:     by_value
      - .address_space:  global
        .offset:         16
        .size:           8
        .value_kind:     global_buffer
      - .offset:         24
        .size:           1
        .value_kind:     by_value
      - .offset:         28
        .size:           4
        .value_kind:     by_value
    .group_segment_fixed_size: 0
    .kernarg_segment_align: 8
    .kernarg_segment_size: 32
    .language:       OpenCL C
    .language_version:
      - 2
      - 0
    .max_flat_workgroup_size: 128
    .name:           _ZN7rocprim17ROCPRIM_304000_NS6detail45device_block_merge_mergepath_partition_kernelINS1_37wrapped_merge_sort_block_merge_configINS0_14default_configEdN2at4cuda3cub6detail10OpaqueTypeILi8EEEEEPdjNS1_19radix_merge_compareILb1ELb0EdNS0_19identity_decomposerEEEEEvT0_T1_jPSH_T2_SH_
    .private_segment_fixed_size: 0
    .sgpr_count:     18
    .sgpr_spill_count: 0
    .symbol:         _ZN7rocprim17ROCPRIM_304000_NS6detail45device_block_merge_mergepath_partition_kernelINS1_37wrapped_merge_sort_block_merge_configINS0_14default_configEdN2at4cuda3cub6detail10OpaqueTypeILi8EEEEEPdjNS1_19radix_merge_compareILb1ELb0EdNS0_19identity_decomposerEEEEEvT0_T1_jPSH_T2_SH_.kd
    .uniform_work_group_size: 1
    .uses_dynamic_stack: false
    .vgpr_count:     19
    .vgpr_spill_count: 0
    .wavefront_size: 32
    .workgroup_processor_mode: 1
  - .args:
      - .address_space:  global
        .offset:         0
        .size:           8
        .value_kind:     global_buffer
      - .address_space:  global
        .offset:         8
        .size:           8
        .value_kind:     global_buffer
      - .address_space:  global
        .offset:         16
        .size:           8
        .value_kind:     global_buffer
      - .address_space:  global
        .offset:         24
        .size:           8
        .value_kind:     global_buffer
      - .offset:         32
        .size:           4
        .value_kind:     by_value
      - .offset:         36
        .size:           4
        .value_kind:     by_value
      - .offset:         40
        .size:           4
        .value_kind:     by_value
      - .offset:         44
        .size:           1
        .value_kind:     by_value
      - .address_space:  global
        .offset:         48
        .size:           8
        .value_kind:     global_buffer
      - .address_space:  global
        .offset:         56
        .size:           8
        .value_kind:     global_buffer
      - .offset:         64
        .size:           4
        .value_kind:     hidden_block_count_x
      - .offset:         68
        .size:           4
        .value_kind:     hidden_block_count_y
      - .offset:         72
        .size:           4
        .value_kind:     hidden_block_count_z
      - .offset:         76
        .size:           2
        .value_kind:     hidden_group_size_x
      - .offset:         78
        .size:           2
        .value_kind:     hidden_group_size_y
      - .offset:         80
        .size:           2
        .value_kind:     hidden_group_size_z
      - .offset:         82
        .size:           2
        .value_kind:     hidden_remainder_x
      - .offset:         84
        .size:           2
        .value_kind:     hidden_remainder_y
      - .offset:         86
        .size:           2
        .value_kind:     hidden_remainder_z
      - .offset:         104
        .size:           8
        .value_kind:     hidden_global_offset_x
      - .offset:         112
        .size:           8
        .value_kind:     hidden_global_offset_y
      - .offset:         120
        .size:           8
        .value_kind:     hidden_global_offset_z
      - .offset:         128
        .size:           2
        .value_kind:     hidden_grid_dims
    .group_segment_fixed_size: 8208
    .kernarg_segment_align: 8
    .kernarg_segment_size: 320
    .language:       OpenCL C
    .language_version:
      - 2
      - 0
    .max_flat_workgroup_size: 1024
    .name:           _ZN7rocprim17ROCPRIM_304000_NS6detail35device_block_merge_mergepath_kernelINS1_37wrapped_merge_sort_block_merge_configINS0_14default_configEdN2at4cuda3cub6detail10OpaqueTypeILi8EEEEEPdSC_PSA_SD_jNS1_19radix_merge_compareILb1ELb0EdNS0_19identity_decomposerEEEEEvT0_T1_T2_T3_T4_SL_jT5_PKSL_NS1_7vsmem_tE
    .private_segment_fixed_size: 0
    .sgpr_count:     26
    .sgpr_spill_count: 0
    .symbol:         _ZN7rocprim17ROCPRIM_304000_NS6detail35device_block_merge_mergepath_kernelINS1_37wrapped_merge_sort_block_merge_configINS0_14default_configEdN2at4cuda3cub6detail10OpaqueTypeILi8EEEEEPdSC_PSA_SD_jNS1_19radix_merge_compareILb1ELb0EdNS0_19identity_decomposerEEEEEvT0_T1_T2_T3_T4_SL_jT5_PKSL_NS1_7vsmem_tE.kd
    .uniform_work_group_size: 1
    .uses_dynamic_stack: false
    .vgpr_count:     18
    .vgpr_spill_count: 0
    .wavefront_size: 32
    .workgroup_processor_mode: 1
  - .args:
      - .address_space:  global
        .offset:         0
        .size:           8
        .value_kind:     global_buffer
      - .address_space:  global
        .offset:         8
        .size:           8
        .value_kind:     global_buffer
      - .address_space:  global
        .offset:         16
        .size:           8
        .value_kind:     global_buffer
      - .address_space:  global
        .offset:         24
        .size:           8
        .value_kind:     global_buffer
      - .offset:         32
        .size:           4
        .value_kind:     by_value
      - .offset:         36
        .size:           4
        .value_kind:     by_value
      - .offset:         40
        .size:           1
        .value_kind:     by_value
    .group_segment_fixed_size: 0
    .kernarg_segment_align: 8
    .kernarg_segment_size: 44
    .language:       OpenCL C
    .language_version:
      - 2
      - 0
    .max_flat_workgroup_size: 256
    .name:           _ZN7rocprim17ROCPRIM_304000_NS6detail33device_block_merge_oddeven_kernelINS1_37wrapped_merge_sort_block_merge_configINS0_14default_configEdN2at4cuda3cub6detail10OpaqueTypeILi8EEEEEPdSC_PSA_SD_jNS1_19radix_merge_compareILb1ELb0EdNS0_19identity_decomposerEEEEEvT0_T1_T2_T3_T4_SL_T5_
    .private_segment_fixed_size: 0
    .sgpr_count:     22
    .sgpr_spill_count: 0
    .symbol:         _ZN7rocprim17ROCPRIM_304000_NS6detail33device_block_merge_oddeven_kernelINS1_37wrapped_merge_sort_block_merge_configINS0_14default_configEdN2at4cuda3cub6detail10OpaqueTypeILi8EEEEEPdSC_PSA_SD_jNS1_19radix_merge_compareILb1ELb0EdNS0_19identity_decomposerEEEEEvT0_T1_T2_T3_T4_SL_T5_.kd
    .uniform_work_group_size: 1
    .uses_dynamic_stack: false
    .vgpr_count:     15
    .vgpr_spill_count: 0
    .wavefront_size: 32
    .workgroup_processor_mode: 1
  - .args:
      - .address_space:  global
        .offset:         0
        .size:           8
        .value_kind:     global_buffer
      - .offset:         8
        .size:           8
        .value_kind:     by_value
      - .address_space:  global
        .offset:         16
        .size:           8
        .value_kind:     global_buffer
      - .offset:         24
        .size:           1
        .value_kind:     by_value
      - .offset:         32
        .size:           4
        .value_kind:     hidden_block_count_x
      - .offset:         36
        .size:           4
        .value_kind:     hidden_block_count_y
      - .offset:         40
        .size:           4
        .value_kind:     hidden_block_count_z
      - .offset:         44
        .size:           2
        .value_kind:     hidden_group_size_x
      - .offset:         46
        .size:           2
        .value_kind:     hidden_group_size_y
      - .offset:         48
        .size:           2
        .value_kind:     hidden_group_size_z
      - .offset:         50
        .size:           2
        .value_kind:     hidden_remainder_x
      - .offset:         52
        .size:           2
        .value_kind:     hidden_remainder_y
      - .offset:         54
        .size:           2
        .value_kind:     hidden_remainder_z
      - .offset:         72
        .size:           8
        .value_kind:     hidden_global_offset_x
      - .offset:         80
        .size:           8
        .value_kind:     hidden_global_offset_y
      - .offset:         88
        .size:           8
        .value_kind:     hidden_global_offset_z
      - .offset:         96
        .size:           2
        .value_kind:     hidden_grid_dims
    .group_segment_fixed_size: 0
    .kernarg_segment_align: 8
    .kernarg_segment_size: 288
    .language:       OpenCL C
    .language_version:
      - 2
      - 0
    .max_flat_workgroup_size: 512
    .name:           _ZN7rocprim17ROCPRIM_304000_NS6detail16transform_kernelINS1_24wrapped_transform_configINS0_14default_configEdEEdPdS6_NS0_8identityIdEEEEvT1_mT2_T3_
    .private_segment_fixed_size: 0
    .sgpr_count:     18
    .sgpr_spill_count: 0
    .symbol:         _ZN7rocprim17ROCPRIM_304000_NS6detail16transform_kernelINS1_24wrapped_transform_configINS0_14default_configEdEEdPdS6_NS0_8identityIdEEEEvT1_mT2_T3_.kd
    .uniform_work_group_size: 1
    .uses_dynamic_stack: false
    .vgpr_count:     5
    .vgpr_spill_count: 0
    .wavefront_size: 32
    .workgroup_processor_mode: 1
  - .args:
      - .address_space:  global
        .offset:         0
        .size:           8
        .value_kind:     global_buffer
      - .address_space:  global
        .offset:         8
        .size:           8
        .value_kind:     global_buffer
      - .offset:         16
        .size:           8
        .value_kind:     by_value
      - .offset:         24
        .size:           8
        .value_kind:     by_value
      - .offset:         32
        .size:           1
        .value_kind:     by_value
      - .offset:         36
        .size:           4
        .value_kind:     by_value
      - .offset:         40
        .size:           4
        .value_kind:     by_value
    .group_segment_fixed_size: 32768
    .kernarg_segment_align: 8
    .kernarg_segment_size: 44
    .language:       OpenCL C
    .language_version:
      - 2
      - 0
    .max_flat_workgroup_size: 1024
    .name:           _ZN7rocprim17ROCPRIM_304000_NS6detail26onesweep_histograms_kernelINS1_34wrapped_radix_sort_onesweep_configINS0_14default_configEdN2at4cuda3cub6detail10OpaqueTypeILi8EEEEELb1EPKdmNS0_19identity_decomposerEEEvT1_PT2_SG_SG_T3_jj
    .private_segment_fixed_size: 0
    .sgpr_count:     18
    .sgpr_spill_count: 0
    .symbol:         _ZN7rocprim17ROCPRIM_304000_NS6detail26onesweep_histograms_kernelINS1_34wrapped_radix_sort_onesweep_configINS0_14default_configEdN2at4cuda3cub6detail10OpaqueTypeILi8EEEEELb1EPKdmNS0_19identity_decomposerEEEvT1_PT2_SG_SG_T3_jj.kd
    .uniform_work_group_size: 1
    .uses_dynamic_stack: false
    .vgpr_count:     21
    .vgpr_spill_count: 0
    .wavefront_size: 32
    .workgroup_processor_mode: 1
  - .args:
      - .address_space:  global
        .offset:         0
        .size:           8
        .value_kind:     global_buffer
    .group_segment_fixed_size: 256
    .kernarg_segment_align: 8
    .kernarg_segment_size: 8
    .language:       OpenCL C
    .language_version:
      - 2
      - 0
    .max_flat_workgroup_size: 1024
    .name:           _ZN7rocprim17ROCPRIM_304000_NS6detail31onesweep_scan_histograms_kernelINS1_34wrapped_radix_sort_onesweep_configINS0_14default_configEdN2at4cuda3cub6detail10OpaqueTypeILi8EEEEEmEEvPT0_
    .private_segment_fixed_size: 0
    .sgpr_count:     18
    .sgpr_spill_count: 0
    .symbol:         _ZN7rocprim17ROCPRIM_304000_NS6detail31onesweep_scan_histograms_kernelINS1_34wrapped_radix_sort_onesweep_configINS0_14default_configEdN2at4cuda3cub6detail10OpaqueTypeILi8EEEEEmEEvPT0_.kd
    .uniform_work_group_size: 1
    .uses_dynamic_stack: false
    .vgpr_count:     10
    .vgpr_spill_count: 0
    .wavefront_size: 32
    .workgroup_processor_mode: 1
  - .args:
      - .address_space:  global
        .offset:         0
        .size:           8
        .value_kind:     global_buffer
      - .offset:         8
        .size:           8
        .value_kind:     by_value
      - .address_space:  global
        .offset:         16
        .size:           8
        .value_kind:     global_buffer
      - .offset:         24
        .size:           1
        .value_kind:     by_value
      - .offset:         32
        .size:           4
        .value_kind:     hidden_block_count_x
      - .offset:         36
        .size:           4
        .value_kind:     hidden_block_count_y
      - .offset:         40
        .size:           4
        .value_kind:     hidden_block_count_z
      - .offset:         44
        .size:           2
        .value_kind:     hidden_group_size_x
      - .offset:         46
        .size:           2
        .value_kind:     hidden_group_size_y
      - .offset:         48
        .size:           2
        .value_kind:     hidden_group_size_z
      - .offset:         50
        .size:           2
        .value_kind:     hidden_remainder_x
      - .offset:         52
        .size:           2
        .value_kind:     hidden_remainder_y
      - .offset:         54
        .size:           2
        .value_kind:     hidden_remainder_z
      - .offset:         72
        .size:           8
        .value_kind:     hidden_global_offset_x
      - .offset:         80
        .size:           8
        .value_kind:     hidden_global_offset_y
      - .offset:         88
        .size:           8
        .value_kind:     hidden_global_offset_z
      - .offset:         96
        .size:           2
        .value_kind:     hidden_grid_dims
    .group_segment_fixed_size: 0
    .kernarg_segment_align: 8
    .kernarg_segment_size: 288
    .language:       OpenCL C
    .language_version:
      - 2
      - 0
    .max_flat_workgroup_size: 512
    .name:           _ZN7rocprim17ROCPRIM_304000_NS6detail16transform_kernelINS1_24wrapped_transform_configINS0_14default_configEdEEdPKdPdNS0_8identityIdEEEEvT1_mT2_T3_
    .private_segment_fixed_size: 0
    .sgpr_count:     18
    .sgpr_spill_count: 0
    .symbol:         _ZN7rocprim17ROCPRIM_304000_NS6detail16transform_kernelINS1_24wrapped_transform_configINS0_14default_configEdEEdPKdPdNS0_8identityIdEEEEvT1_mT2_T3_.kd
    .uniform_work_group_size: 1
    .uses_dynamic_stack: false
    .vgpr_count:     5
    .vgpr_spill_count: 0
    .wavefront_size: 32
    .workgroup_processor_mode: 1
  - .args:
      - .address_space:  global
        .offset:         0
        .size:           8
        .value_kind:     global_buffer
      - .address_space:  global
        .offset:         8
        .size:           8
        .value_kind:     global_buffer
      - .address_space:  global
        .offset:         16
        .size:           8
        .value_kind:     global_buffer
      - .address_space:  global
        .offset:         24
        .size:           8
        .value_kind:     global_buffer
      - .offset:         32
        .size:           4
        .value_kind:     by_value
      - .address_space:  global
        .offset:         40
        .size:           8
        .value_kind:     global_buffer
      - .address_space:  global
        .offset:         48
        .size:           8
        .value_kind:     global_buffer
      - .address_space:  global
        .offset:         56
        .size:           8
        .value_kind:     global_buffer
      - .offset:         64
        .size:           1
        .value_kind:     by_value
      - .offset:         68
        .size:           4
        .value_kind:     by_value
      - .offset:         72
        .size:           4
        .value_kind:     by_value
      - .offset:         76
        .size:           4
        .value_kind:     by_value
      - .offset:         80
        .size:           4
        .value_kind:     hidden_block_count_x
      - .offset:         84
        .size:           4
        .value_kind:     hidden_block_count_y
      - .offset:         88
        .size:           4
        .value_kind:     hidden_block_count_z
      - .offset:         92
        .size:           2
        .value_kind:     hidden_group_size_x
      - .offset:         94
        .size:           2
        .value_kind:     hidden_group_size_y
      - .offset:         96
        .size:           2
        .value_kind:     hidden_group_size_z
      - .offset:         98
        .size:           2
        .value_kind:     hidden_remainder_x
      - .offset:         100
        .size:           2
        .value_kind:     hidden_remainder_y
      - .offset:         102
        .size:           2
        .value_kind:     hidden_remainder_z
      - .offset:         120
        .size:           8
        .value_kind:     hidden_global_offset_x
      - .offset:         128
        .size:           8
        .value_kind:     hidden_global_offset_y
      - .offset:         136
        .size:           8
        .value_kind:     hidden_global_offset_z
      - .offset:         144
        .size:           2
        .value_kind:     hidden_grid_dims
    .group_segment_fixed_size: 36992
    .kernarg_segment_align: 8
    .kernarg_segment_size: 336
    .language:       OpenCL C
    .language_version:
      - 2
      - 0
    .max_flat_workgroup_size: 1024
    .name:           _ZN7rocprim17ROCPRIM_304000_NS6detail25onesweep_iteration_kernelINS1_34wrapped_radix_sort_onesweep_configINS0_14default_configEdN2at4cuda3cub6detail10OpaqueTypeILi8EEEEELb1EPKdPdPKSA_PSA_mNS0_19identity_decomposerEEEvT1_T2_T3_T4_jPT5_SO_PNS1_23onesweep_lookback_stateET6_jjj
    .private_segment_fixed_size: 0
    .sgpr_count:     40
    .sgpr_spill_count: 0
    .symbol:         _ZN7rocprim17ROCPRIM_304000_NS6detail25onesweep_iteration_kernelINS1_34wrapped_radix_sort_onesweep_configINS0_14default_configEdN2at4cuda3cub6detail10OpaqueTypeILi8EEEEELb1EPKdPdPKSA_PSA_mNS0_19identity_decomposerEEEvT1_T2_T3_T4_jPT5_SO_PNS1_23onesweep_lookback_stateET6_jjj.kd
    .uniform_work_group_size: 1
    .uses_dynamic_stack: false
    .vgpr_count:     48
    .vgpr_spill_count: 0
    .wavefront_size: 32
    .workgroup_processor_mode: 1
  - .args:
      - .address_space:  global
        .offset:         0
        .size:           8
        .value_kind:     global_buffer
      - .address_space:  global
        .offset:         8
        .size:           8
        .value_kind:     global_buffer
      - .address_space:  global
        .offset:         16
        .size:           8
        .value_kind:     global_buffer
      - .address_space:  global
        .offset:         24
        .size:           8
        .value_kind:     global_buffer
      - .offset:         32
        .size:           4
        .value_kind:     by_value
      - .address_space:  global
        .offset:         40
        .size:           8
        .value_kind:     global_buffer
      - .address_space:  global
        .offset:         48
        .size:           8
        .value_kind:     global_buffer
      - .address_space:  global
        .offset:         56
        .size:           8
        .value_kind:     global_buffer
      - .offset:         64
        .size:           1
        .value_kind:     by_value
      - .offset:         68
        .size:           4
        .value_kind:     by_value
      - .offset:         72
        .size:           4
        .value_kind:     by_value
      - .offset:         76
        .size:           4
        .value_kind:     by_value
      - .offset:         80
        .size:           4
        .value_kind:     hidden_block_count_x
      - .offset:         84
        .size:           4
        .value_kind:     hidden_block_count_y
      - .offset:         88
        .size:           4
        .value_kind:     hidden_block_count_z
      - .offset:         92
        .size:           2
        .value_kind:     hidden_group_size_x
      - .offset:         94
        .size:           2
        .value_kind:     hidden_group_size_y
      - .offset:         96
        .size:           2
        .value_kind:     hidden_group_size_z
      - .offset:         98
        .size:           2
        .value_kind:     hidden_remainder_x
      - .offset:         100
        .size:           2
        .value_kind:     hidden_remainder_y
      - .offset:         102
        .size:           2
        .value_kind:     hidden_remainder_z
      - .offset:         120
        .size:           8
        .value_kind:     hidden_global_offset_x
      - .offset:         128
        .size:           8
        .value_kind:     hidden_global_offset_y
      - .offset:         136
        .size:           8
        .value_kind:     hidden_global_offset_z
      - .offset:         144
        .size:           2
        .value_kind:     hidden_grid_dims
    .group_segment_fixed_size: 36992
    .kernarg_segment_align: 8
    .kernarg_segment_size: 336
    .language:       OpenCL C
    .language_version:
      - 2
      - 0
    .max_flat_workgroup_size: 1024
    .name:           _ZN7rocprim17ROCPRIM_304000_NS6detail25onesweep_iteration_kernelINS1_34wrapped_radix_sort_onesweep_configINS0_14default_configEdN2at4cuda3cub6detail10OpaqueTypeILi8EEEEELb1EPdSC_PSA_SD_mNS0_19identity_decomposerEEEvT1_T2_T3_T4_jPT5_SK_PNS1_23onesweep_lookback_stateET6_jjj
    .private_segment_fixed_size: 0
    .sgpr_count:     40
    .sgpr_spill_count: 0
    .symbol:         _ZN7rocprim17ROCPRIM_304000_NS6detail25onesweep_iteration_kernelINS1_34wrapped_radix_sort_onesweep_configINS0_14default_configEdN2at4cuda3cub6detail10OpaqueTypeILi8EEEEELb1EPdSC_PSA_SD_mNS0_19identity_decomposerEEEvT1_T2_T3_T4_jPT5_SK_PNS1_23onesweep_lookback_stateET6_jjj.kd
    .uniform_work_group_size: 1
    .uses_dynamic_stack: false
    .vgpr_count:     48
    .vgpr_spill_count: 0
    .wavefront_size: 32
    .workgroup_processor_mode: 1
  - .args:
      - .address_space:  global
        .offset:         0
        .size:           8
        .value_kind:     global_buffer
      - .address_space:  global
        .offset:         8
        .size:           8
        .value_kind:     global_buffer
      - .address_space:  global
        .offset:         16
        .size:           8
        .value_kind:     global_buffer
      - .address_space:  global
        .offset:         24
        .size:           8
        .value_kind:     global_buffer
      - .offset:         32
        .size:           4
        .value_kind:     by_value
      - .offset:         36
        .size:           1
        .value_kind:     by_value
      - .offset:         40
        .size:           4
        .value_kind:     by_value
      - .offset:         44
        .size:           4
        .value_kind:     by_value
      - .offset:         48
        .size:           4
        .value_kind:     hidden_block_count_x
      - .offset:         52
        .size:           4
        .value_kind:     hidden_block_count_y
      - .offset:         56
        .size:           4
        .value_kind:     hidden_block_count_z
      - .offset:         60
        .size:           2
        .value_kind:     hidden_group_size_x
      - .offset:         62
        .size:           2
        .value_kind:     hidden_group_size_y
      - .offset:         64
        .size:           2
        .value_kind:     hidden_group_size_z
      - .offset:         66
        .size:           2
        .value_kind:     hidden_remainder_x
      - .offset:         68
        .size:           2
        .value_kind:     hidden_remainder_y
      - .offset:         70
        .size:           2
        .value_kind:     hidden_remainder_z
      - .offset:         88
        .size:           8
        .value_kind:     hidden_global_offset_x
      - .offset:         96
        .size:           8
        .value_kind:     hidden_global_offset_y
      - .offset:         104
        .size:           8
        .value_kind:     hidden_global_offset_z
      - .offset:         112
        .size:           2
        .value_kind:     hidden_grid_dims
    .group_segment_fixed_size: 8224
    .kernarg_segment_align: 8
    .kernarg_segment_size: 304
    .language:       OpenCL C
    .language_version:
      - 2
      - 0
    .max_flat_workgroup_size: 256
    .name:           _ZN7rocprim17ROCPRIM_304000_NS6detail28radix_sort_block_sort_kernelINS1_36wrapped_radix_sort_block_sort_configINS0_13kernel_configILj256ELj4ELj4294967295EEEdN2at4cuda3cub6detail10OpaqueTypeILi8EEEEELb0EPKdPdPKSB_PSB_NS0_19identity_decomposerEEEvT1_T2_T3_T4_jT5_jj
    .private_segment_fixed_size: 0
    .sgpr_count:     32
    .sgpr_spill_count: 0
    .symbol:         _ZN7rocprim17ROCPRIM_304000_NS6detail28radix_sort_block_sort_kernelINS1_36wrapped_radix_sort_block_sort_configINS0_13kernel_configILj256ELj4ELj4294967295EEEdN2at4cuda3cub6detail10OpaqueTypeILi8EEEEELb0EPKdPdPKSB_PSB_NS0_19identity_decomposerEEEvT1_T2_T3_T4_jT5_jj.kd
    .uniform_work_group_size: 1
    .uses_dynamic_stack: false
    .vgpr_count:     53
    .vgpr_spill_count: 0
    .wavefront_size: 32
    .workgroup_processor_mode: 1
  - .args:
      - .address_space:  global
        .offset:         0
        .size:           8
        .value_kind:     global_buffer
      - .offset:         8
        .size:           4
        .value_kind:     by_value
      - .offset:         12
        .size:           4
        .value_kind:     by_value
      - .address_space:  global
        .offset:         16
        .size:           8
        .value_kind:     global_buffer
      - .offset:         24
        .size:           1
        .value_kind:     by_value
      - .offset:         28
        .size:           4
        .value_kind:     by_value
    .group_segment_fixed_size: 0
    .kernarg_segment_align: 8
    .kernarg_segment_size: 32
    .language:       OpenCL C
    .language_version:
      - 2
      - 0
    .max_flat_workgroup_size: 128
    .name:           _ZN7rocprim17ROCPRIM_304000_NS6detail45device_block_merge_mergepath_partition_kernelINS1_37wrapped_merge_sort_block_merge_configINS0_14default_configEdN2at4cuda3cub6detail10OpaqueTypeILi8EEEEEPdjNS1_19radix_merge_compareILb0ELb0EdNS0_19identity_decomposerEEEEEvT0_T1_jPSH_T2_SH_
    .private_segment_fixed_size: 0
    .sgpr_count:     18
    .sgpr_spill_count: 0
    .symbol:         _ZN7rocprim17ROCPRIM_304000_NS6detail45device_block_merge_mergepath_partition_kernelINS1_37wrapped_merge_sort_block_merge_configINS0_14default_configEdN2at4cuda3cub6detail10OpaqueTypeILi8EEEEEPdjNS1_19radix_merge_compareILb0ELb0EdNS0_19identity_decomposerEEEEEvT0_T1_jPSH_T2_SH_.kd
    .uniform_work_group_size: 1
    .uses_dynamic_stack: false
    .vgpr_count:     19
    .vgpr_spill_count: 0
    .wavefront_size: 32
    .workgroup_processor_mode: 1
  - .args:
      - .address_space:  global
        .offset:         0
        .size:           8
        .value_kind:     global_buffer
      - .address_space:  global
        .offset:         8
        .size:           8
        .value_kind:     global_buffer
      - .address_space:  global
        .offset:         16
        .size:           8
        .value_kind:     global_buffer
      - .address_space:  global
        .offset:         24
        .size:           8
        .value_kind:     global_buffer
      - .offset:         32
        .size:           4
        .value_kind:     by_value
      - .offset:         36
        .size:           4
        .value_kind:     by_value
      - .offset:         40
        .size:           4
        .value_kind:     by_value
      - .offset:         44
        .size:           1
        .value_kind:     by_value
      - .address_space:  global
        .offset:         48
        .size:           8
        .value_kind:     global_buffer
      - .address_space:  global
        .offset:         56
        .size:           8
        .value_kind:     global_buffer
      - .offset:         64
        .size:           4
        .value_kind:     hidden_block_count_x
      - .offset:         68
        .size:           4
        .value_kind:     hidden_block_count_y
      - .offset:         72
        .size:           4
        .value_kind:     hidden_block_count_z
      - .offset:         76
        .size:           2
        .value_kind:     hidden_group_size_x
      - .offset:         78
        .size:           2
        .value_kind:     hidden_group_size_y
      - .offset:         80
        .size:           2
        .value_kind:     hidden_group_size_z
      - .offset:         82
        .size:           2
        .value_kind:     hidden_remainder_x
      - .offset:         84
        .size:           2
        .value_kind:     hidden_remainder_y
      - .offset:         86
        .size:           2
        .value_kind:     hidden_remainder_z
      - .offset:         104
        .size:           8
        .value_kind:     hidden_global_offset_x
      - .offset:         112
        .size:           8
        .value_kind:     hidden_global_offset_y
      - .offset:         120
        .size:           8
        .value_kind:     hidden_global_offset_z
      - .offset:         128
        .size:           2
        .value_kind:     hidden_grid_dims
    .group_segment_fixed_size: 8208
    .kernarg_segment_align: 8
    .kernarg_segment_size: 320
    .language:       OpenCL C
    .language_version:
      - 2
      - 0
    .max_flat_workgroup_size: 1024
    .name:           _ZN7rocprim17ROCPRIM_304000_NS6detail35device_block_merge_mergepath_kernelINS1_37wrapped_merge_sort_block_merge_configINS0_14default_configEdN2at4cuda3cub6detail10OpaqueTypeILi8EEEEEPdSC_PSA_SD_jNS1_19radix_merge_compareILb0ELb0EdNS0_19identity_decomposerEEEEEvT0_T1_T2_T3_T4_SL_jT5_PKSL_NS1_7vsmem_tE
    .private_segment_fixed_size: 0
    .sgpr_count:     26
    .sgpr_spill_count: 0
    .symbol:         _ZN7rocprim17ROCPRIM_304000_NS6detail35device_block_merge_mergepath_kernelINS1_37wrapped_merge_sort_block_merge_configINS0_14default_configEdN2at4cuda3cub6detail10OpaqueTypeILi8EEEEEPdSC_PSA_SD_jNS1_19radix_merge_compareILb0ELb0EdNS0_19identity_decomposerEEEEEvT0_T1_T2_T3_T4_SL_jT5_PKSL_NS1_7vsmem_tE.kd
    .uniform_work_group_size: 1
    .uses_dynamic_stack: false
    .vgpr_count:     18
    .vgpr_spill_count: 0
    .wavefront_size: 32
    .workgroup_processor_mode: 1
  - .args:
      - .address_space:  global
        .offset:         0
        .size:           8
        .value_kind:     global_buffer
      - .address_space:  global
        .offset:         8
        .size:           8
        .value_kind:     global_buffer
      - .address_space:  global
        .offset:         16
        .size:           8
        .value_kind:     global_buffer
      - .address_space:  global
        .offset:         24
        .size:           8
        .value_kind:     global_buffer
      - .offset:         32
        .size:           4
        .value_kind:     by_value
      - .offset:         36
        .size:           4
        .value_kind:     by_value
      - .offset:         40
        .size:           1
        .value_kind:     by_value
    .group_segment_fixed_size: 0
    .kernarg_segment_align: 8
    .kernarg_segment_size: 44
    .language:       OpenCL C
    .language_version:
      - 2
      - 0
    .max_flat_workgroup_size: 256
    .name:           _ZN7rocprim17ROCPRIM_304000_NS6detail33device_block_merge_oddeven_kernelINS1_37wrapped_merge_sort_block_merge_configINS0_14default_configEdN2at4cuda3cub6detail10OpaqueTypeILi8EEEEEPdSC_PSA_SD_jNS1_19radix_merge_compareILb0ELb0EdNS0_19identity_decomposerEEEEEvT0_T1_T2_T3_T4_SL_T5_
    .private_segment_fixed_size: 0
    .sgpr_count:     22
    .sgpr_spill_count: 0
    .symbol:         _ZN7rocprim17ROCPRIM_304000_NS6detail33device_block_merge_oddeven_kernelINS1_37wrapped_merge_sort_block_merge_configINS0_14default_configEdN2at4cuda3cub6detail10OpaqueTypeILi8EEEEEPdSC_PSA_SD_jNS1_19radix_merge_compareILb0ELb0EdNS0_19identity_decomposerEEEEEvT0_T1_T2_T3_T4_SL_T5_.kd
    .uniform_work_group_size: 1
    .uses_dynamic_stack: false
    .vgpr_count:     15
    .vgpr_spill_count: 0
    .wavefront_size: 32
    .workgroup_processor_mode: 1
  - .args:
      - .address_space:  global
        .offset:         0
        .size:           8
        .value_kind:     global_buffer
      - .address_space:  global
        .offset:         8
        .size:           8
        .value_kind:     global_buffer
      - .offset:         16
        .size:           8
        .value_kind:     by_value
      - .offset:         24
        .size:           8
        .value_kind:     by_value
      - .offset:         32
        .size:           1
        .value_kind:     by_value
      - .offset:         36
        .size:           4
        .value_kind:     by_value
      - .offset:         40
        .size:           4
        .value_kind:     by_value
    .group_segment_fixed_size: 32768
    .kernarg_segment_align: 8
    .kernarg_segment_size: 44
    .language:       OpenCL C
    .language_version:
      - 2
      - 0
    .max_flat_workgroup_size: 1024
    .name:           _ZN7rocprim17ROCPRIM_304000_NS6detail26onesweep_histograms_kernelINS1_34wrapped_radix_sort_onesweep_configINS0_14default_configEdN2at4cuda3cub6detail10OpaqueTypeILi8EEEEELb0EPKdmNS0_19identity_decomposerEEEvT1_PT2_SG_SG_T3_jj
    .private_segment_fixed_size: 0
    .sgpr_count:     18
    .sgpr_spill_count: 0
    .symbol:         _ZN7rocprim17ROCPRIM_304000_NS6detail26onesweep_histograms_kernelINS1_34wrapped_radix_sort_onesweep_configINS0_14default_configEdN2at4cuda3cub6detail10OpaqueTypeILi8EEEEELb0EPKdmNS0_19identity_decomposerEEEvT1_PT2_SG_SG_T3_jj.kd
    .uniform_work_group_size: 1
    .uses_dynamic_stack: false
    .vgpr_count:     21
    .vgpr_spill_count: 0
    .wavefront_size: 32
    .workgroup_processor_mode: 1
  - .args:
      - .address_space:  global
        .offset:         0
        .size:           8
        .value_kind:     global_buffer
      - .address_space:  global
        .offset:         8
        .size:           8
        .value_kind:     global_buffer
      - .address_space:  global
        .offset:         16
        .size:           8
        .value_kind:     global_buffer
      - .address_space:  global
        .offset:         24
        .size:           8
        .value_kind:     global_buffer
      - .offset:         32
        .size:           4
        .value_kind:     by_value
      - .address_space:  global
        .offset:         40
        .size:           8
        .value_kind:     global_buffer
      - .address_space:  global
        .offset:         48
        .size:           8
        .value_kind:     global_buffer
      - .address_space:  global
        .offset:         56
        .size:           8
        .value_kind:     global_buffer
      - .offset:         64
        .size:           1
        .value_kind:     by_value
      - .offset:         68
        .size:           4
        .value_kind:     by_value
      - .offset:         72
        .size:           4
        .value_kind:     by_value
      - .offset:         76
        .size:           4
        .value_kind:     by_value
      - .offset:         80
        .size:           4
        .value_kind:     hidden_block_count_x
      - .offset:         84
        .size:           4
        .value_kind:     hidden_block_count_y
      - .offset:         88
        .size:           4
        .value_kind:     hidden_block_count_z
      - .offset:         92
        .size:           2
        .value_kind:     hidden_group_size_x
      - .offset:         94
        .size:           2
        .value_kind:     hidden_group_size_y
      - .offset:         96
        .size:           2
        .value_kind:     hidden_group_size_z
      - .offset:         98
        .size:           2
        .value_kind:     hidden_remainder_x
      - .offset:         100
        .size:           2
        .value_kind:     hidden_remainder_y
      - .offset:         102
        .size:           2
        .value_kind:     hidden_remainder_z
      - .offset:         120
        .size:           8
        .value_kind:     hidden_global_offset_x
      - .offset:         128
        .size:           8
        .value_kind:     hidden_global_offset_y
      - .offset:         136
        .size:           8
        .value_kind:     hidden_global_offset_z
      - .offset:         144
        .size:           2
        .value_kind:     hidden_grid_dims
    .group_segment_fixed_size: 36992
    .kernarg_segment_align: 8
    .kernarg_segment_size: 336
    .language:       OpenCL C
    .language_version:
      - 2
      - 0
    .max_flat_workgroup_size: 1024
    .name:           _ZN7rocprim17ROCPRIM_304000_NS6detail25onesweep_iteration_kernelINS1_34wrapped_radix_sort_onesweep_configINS0_14default_configEdN2at4cuda3cub6detail10OpaqueTypeILi8EEEEELb0EPKdPdPKSA_PSA_mNS0_19identity_decomposerEEEvT1_T2_T3_T4_jPT5_SO_PNS1_23onesweep_lookback_stateET6_jjj
    .private_segment_fixed_size: 0
    .sgpr_count:     40
    .sgpr_spill_count: 0
    .symbol:         _ZN7rocprim17ROCPRIM_304000_NS6detail25onesweep_iteration_kernelINS1_34wrapped_radix_sort_onesweep_configINS0_14default_configEdN2at4cuda3cub6detail10OpaqueTypeILi8EEEEELb0EPKdPdPKSA_PSA_mNS0_19identity_decomposerEEEvT1_T2_T3_T4_jPT5_SO_PNS1_23onesweep_lookback_stateET6_jjj.kd
    .uniform_work_group_size: 1
    .uses_dynamic_stack: false
    .vgpr_count:     48
    .vgpr_spill_count: 0
    .wavefront_size: 32
    .workgroup_processor_mode: 1
  - .args:
      - .address_space:  global
        .offset:         0
        .size:           8
        .value_kind:     global_buffer
      - .address_space:  global
        .offset:         8
        .size:           8
        .value_kind:     global_buffer
      - .address_space:  global
        .offset:         16
        .size:           8
        .value_kind:     global_buffer
      - .address_space:  global
        .offset:         24
        .size:           8
        .value_kind:     global_buffer
      - .offset:         32
        .size:           4
        .value_kind:     by_value
      - .address_space:  global
        .offset:         40
        .size:           8
        .value_kind:     global_buffer
      - .address_space:  global
        .offset:         48
        .size:           8
        .value_kind:     global_buffer
      - .address_space:  global
        .offset:         56
        .size:           8
        .value_kind:     global_buffer
      - .offset:         64
        .size:           1
        .value_kind:     by_value
      - .offset:         68
        .size:           4
        .value_kind:     by_value
      - .offset:         72
        .size:           4
        .value_kind:     by_value
      - .offset:         76
        .size:           4
        .value_kind:     by_value
      - .offset:         80
        .size:           4
        .value_kind:     hidden_block_count_x
      - .offset:         84
        .size:           4
        .value_kind:     hidden_block_count_y
      - .offset:         88
        .size:           4
        .value_kind:     hidden_block_count_z
      - .offset:         92
        .size:           2
        .value_kind:     hidden_group_size_x
      - .offset:         94
        .size:           2
        .value_kind:     hidden_group_size_y
      - .offset:         96
        .size:           2
        .value_kind:     hidden_group_size_z
      - .offset:         98
        .size:           2
        .value_kind:     hidden_remainder_x
      - .offset:         100
        .size:           2
        .value_kind:     hidden_remainder_y
      - .offset:         102
        .size:           2
        .value_kind:     hidden_remainder_z
      - .offset:         120
        .size:           8
        .value_kind:     hidden_global_offset_x
      - .offset:         128
        .size:           8
        .value_kind:     hidden_global_offset_y
      - .offset:         136
        .size:           8
        .value_kind:     hidden_global_offset_z
      - .offset:         144
        .size:           2
        .value_kind:     hidden_grid_dims
    .group_segment_fixed_size: 36992
    .kernarg_segment_align: 8
    .kernarg_segment_size: 336
    .language:       OpenCL C
    .language_version:
      - 2
      - 0
    .max_flat_workgroup_size: 1024
    .name:           _ZN7rocprim17ROCPRIM_304000_NS6detail25onesweep_iteration_kernelINS1_34wrapped_radix_sort_onesweep_configINS0_14default_configEdN2at4cuda3cub6detail10OpaqueTypeILi8EEEEELb0EPdSC_PSA_SD_mNS0_19identity_decomposerEEEvT1_T2_T3_T4_jPT5_SK_PNS1_23onesweep_lookback_stateET6_jjj
    .private_segment_fixed_size: 0
    .sgpr_count:     40
    .sgpr_spill_count: 0
    .symbol:         _ZN7rocprim17ROCPRIM_304000_NS6detail25onesweep_iteration_kernelINS1_34wrapped_radix_sort_onesweep_configINS0_14default_configEdN2at4cuda3cub6detail10OpaqueTypeILi8EEEEELb0EPdSC_PSA_SD_mNS0_19identity_decomposerEEEvT1_T2_T3_T4_jPT5_SK_PNS1_23onesweep_lookback_stateET6_jjj.kd
    .uniform_work_group_size: 1
    .uses_dynamic_stack: false
    .vgpr_count:     48
    .vgpr_spill_count: 0
    .wavefront_size: 32
    .workgroup_processor_mode: 1
  - .args:
      - .address_space:  global
        .offset:         0
        .size:           8
        .value_kind:     global_buffer
      - .address_space:  global
        .offset:         8
        .size:           8
        .value_kind:     global_buffer
      - .address_space:  global
        .offset:         16
        .size:           8
        .value_kind:     global_buffer
      - .address_space:  global
        .offset:         24
        .size:           8
        .value_kind:     global_buffer
      - .offset:         32
        .size:           4
        .value_kind:     by_value
      - .offset:         36
        .size:           1
        .value_kind:     by_value
      - .offset:         40
        .size:           4
        .value_kind:     by_value
      - .offset:         44
        .size:           4
        .value_kind:     by_value
      - .offset:         48
        .size:           4
        .value_kind:     hidden_block_count_x
      - .offset:         52
        .size:           4
        .value_kind:     hidden_block_count_y
      - .offset:         56
        .size:           4
        .value_kind:     hidden_block_count_z
      - .offset:         60
        .size:           2
        .value_kind:     hidden_group_size_x
      - .offset:         62
        .size:           2
        .value_kind:     hidden_group_size_y
      - .offset:         64
        .size:           2
        .value_kind:     hidden_group_size_z
      - .offset:         66
        .size:           2
        .value_kind:     hidden_remainder_x
      - .offset:         68
        .size:           2
        .value_kind:     hidden_remainder_y
      - .offset:         70
        .size:           2
        .value_kind:     hidden_remainder_z
      - .offset:         88
        .size:           8
        .value_kind:     hidden_global_offset_x
      - .offset:         96
        .size:           8
        .value_kind:     hidden_global_offset_y
      - .offset:         104
        .size:           8
        .value_kind:     hidden_global_offset_z
      - .offset:         112
        .size:           2
        .value_kind:     hidden_grid_dims
    .group_segment_fixed_size: 8224
    .kernarg_segment_align: 8
    .kernarg_segment_size: 304
    .language:       OpenCL C
    .language_version:
      - 2
      - 0
    .max_flat_workgroup_size: 256
    .name:           _ZN7rocprim17ROCPRIM_304000_NS6detail28radix_sort_block_sort_kernelINS1_36wrapped_radix_sort_block_sort_configINS0_13kernel_configILj256ELj4ELj4294967295EEEbN2at4cuda3cub6detail10OpaqueTypeILi8EEEEELb1EPKbPbPKSB_PSB_NS0_19identity_decomposerEEEvT1_T2_T3_T4_jT5_jj
    .private_segment_fixed_size: 0
    .sgpr_count:     32
    .sgpr_spill_count: 0
    .symbol:         _ZN7rocprim17ROCPRIM_304000_NS6detail28radix_sort_block_sort_kernelINS1_36wrapped_radix_sort_block_sort_configINS0_13kernel_configILj256ELj4ELj4294967295EEEbN2at4cuda3cub6detail10OpaqueTypeILi8EEEEELb1EPKbPbPKSB_PSB_NS0_19identity_decomposerEEEvT1_T2_T3_T4_jT5_jj.kd
    .uniform_work_group_size: 1
    .uses_dynamic_stack: false
    .vgpr_count:     51
    .vgpr_spill_count: 0
    .wavefront_size: 32
    .workgroup_processor_mode: 1
  - .args:           []
    .group_segment_fixed_size: 0
    .kernarg_segment_align: 4
    .kernarg_segment_size: 0
    .language:       OpenCL C
    .language_version:
      - 2
      - 0
    .max_flat_workgroup_size: 1024
    .name:           _ZN7rocprim17ROCPRIM_304000_NS6detail39device_merge_sort_compile_time_verifierINS1_36wrapped_merge_sort_block_sort_configINS1_28merge_sort_block_sort_configILj256ELj4ELNS0_20block_sort_algorithmE0EEEbN2at4cuda3cub6detail10OpaqueTypeILi8EEEEENS1_37wrapped_merge_sort_block_merge_configINS0_14default_configEbSC_EEEEvv
    .private_segment_fixed_size: 0
    .sgpr_count:     0
    .sgpr_spill_count: 0
    .symbol:         _ZN7rocprim17ROCPRIM_304000_NS6detail39device_merge_sort_compile_time_verifierINS1_36wrapped_merge_sort_block_sort_configINS1_28merge_sort_block_sort_configILj256ELj4ELNS0_20block_sort_algorithmE0EEEbN2at4cuda3cub6detail10OpaqueTypeILi8EEEEENS1_37wrapped_merge_sort_block_merge_configINS0_14default_configEbSC_EEEEvv.kd
    .uniform_work_group_size: 1
    .uses_dynamic_stack: false
    .vgpr_count:     0
    .vgpr_spill_count: 0
    .wavefront_size: 32
    .workgroup_processor_mode: 1
  - .args:
      - .address_space:  global
        .offset:         0
        .size:           8
        .value_kind:     global_buffer
      - .offset:         8
        .size:           4
        .value_kind:     by_value
      - .offset:         12
        .size:           4
        .value_kind:     by_value
      - .address_space:  global
        .offset:         16
        .size:           8
        .value_kind:     global_buffer
      - .offset:         24
        .size:           1
        .value_kind:     by_value
      - .offset:         28
        .size:           4
        .value_kind:     by_value
    .group_segment_fixed_size: 0
    .kernarg_segment_align: 8
    .kernarg_segment_size: 32
    .language:       OpenCL C
    .language_version:
      - 2
      - 0
    .max_flat_workgroup_size: 128
    .name:           _ZN7rocprim17ROCPRIM_304000_NS6detail45device_block_merge_mergepath_partition_kernelINS1_37wrapped_merge_sort_block_merge_configINS0_14default_configEbN2at4cuda3cub6detail10OpaqueTypeILi8EEEEEPbjNS1_19radix_merge_compareILb1ELb0EbNS0_19identity_decomposerEEEEEvT0_T1_jPSH_T2_SH_
    .private_segment_fixed_size: 0
    .sgpr_count:     18
    .sgpr_spill_count: 0
    .symbol:         _ZN7rocprim17ROCPRIM_304000_NS6detail45device_block_merge_mergepath_partition_kernelINS1_37wrapped_merge_sort_block_merge_configINS0_14default_configEbN2at4cuda3cub6detail10OpaqueTypeILi8EEEEEPbjNS1_19radix_merge_compareILb1ELb0EbNS0_19identity_decomposerEEEEEvT0_T1_jPSH_T2_SH_.kd
    .uniform_work_group_size: 1
    .uses_dynamic_stack: false
    .vgpr_count:     14
    .vgpr_spill_count: 0
    .wavefront_size: 32
    .workgroup_processor_mode: 1
  - .args:
      - .address_space:  global
        .offset:         0
        .size:           8
        .value_kind:     global_buffer
      - .address_space:  global
        .offset:         8
        .size:           8
        .value_kind:     global_buffer
      - .address_space:  global
        .offset:         16
        .size:           8
        .value_kind:     global_buffer
      - .address_space:  global
        .offset:         24
        .size:           8
        .value_kind:     global_buffer
      - .offset:         32
        .size:           4
        .value_kind:     by_value
      - .offset:         36
        .size:           4
        .value_kind:     by_value
      - .offset:         40
        .size:           4
        .value_kind:     by_value
      - .offset:         44
        .size:           1
        .value_kind:     by_value
      - .address_space:  global
        .offset:         48
        .size:           8
        .value_kind:     global_buffer
      - .address_space:  global
        .offset:         56
        .size:           8
        .value_kind:     global_buffer
      - .offset:         64
        .size:           4
        .value_kind:     hidden_block_count_x
      - .offset:         68
        .size:           4
        .value_kind:     hidden_block_count_y
      - .offset:         72
        .size:           4
        .value_kind:     hidden_block_count_z
      - .offset:         76
        .size:           2
        .value_kind:     hidden_group_size_x
      - .offset:         78
        .size:           2
        .value_kind:     hidden_group_size_y
      - .offset:         80
        .size:           2
        .value_kind:     hidden_group_size_z
      - .offset:         82
        .size:           2
        .value_kind:     hidden_remainder_x
      - .offset:         84
        .size:           2
        .value_kind:     hidden_remainder_y
      - .offset:         86
        .size:           2
        .value_kind:     hidden_remainder_z
      - .offset:         104
        .size:           8
        .value_kind:     hidden_global_offset_x
      - .offset:         112
        .size:           8
        .value_kind:     hidden_global_offset_y
      - .offset:         120
        .size:           8
        .value_kind:     hidden_global_offset_z
      - .offset:         128
        .size:           2
        .value_kind:     hidden_grid_dims
    .group_segment_fixed_size: 8208
    .kernarg_segment_align: 8
    .kernarg_segment_size: 320
    .language:       OpenCL C
    .language_version:
      - 2
      - 0
    .max_flat_workgroup_size: 512
    .name:           _ZN7rocprim17ROCPRIM_304000_NS6detail35device_block_merge_mergepath_kernelINS1_37wrapped_merge_sort_block_merge_configINS0_14default_configEbN2at4cuda3cub6detail10OpaqueTypeILi8EEEEEPbSC_PSA_SD_jNS1_19radix_merge_compareILb1ELb0EbNS0_19identity_decomposerEEEEEvT0_T1_T2_T3_T4_SL_jT5_PKSL_NS1_7vsmem_tE
    .private_segment_fixed_size: 0
    .sgpr_count:     29
    .sgpr_spill_count: 0
    .symbol:         _ZN7rocprim17ROCPRIM_304000_NS6detail35device_block_merge_mergepath_kernelINS1_37wrapped_merge_sort_block_merge_configINS0_14default_configEbN2at4cuda3cub6detail10OpaqueTypeILi8EEEEEPbSC_PSA_SD_jNS1_19radix_merge_compareILb1ELb0EbNS0_19identity_decomposerEEEEEvT0_T1_T2_T3_T4_SL_jT5_PKSL_NS1_7vsmem_tE.kd
    .uniform_work_group_size: 1
    .uses_dynamic_stack: false
    .vgpr_count:     17
    .vgpr_spill_count: 0
    .wavefront_size: 32
    .workgroup_processor_mode: 1
  - .args:
      - .address_space:  global
        .offset:         0
        .size:           8
        .value_kind:     global_buffer
      - .address_space:  global
        .offset:         8
        .size:           8
        .value_kind:     global_buffer
      - .address_space:  global
        .offset:         16
        .size:           8
        .value_kind:     global_buffer
      - .address_space:  global
        .offset:         24
        .size:           8
        .value_kind:     global_buffer
      - .offset:         32
        .size:           4
        .value_kind:     by_value
      - .offset:         36
        .size:           4
        .value_kind:     by_value
      - .offset:         40
        .size:           1
        .value_kind:     by_value
    .group_segment_fixed_size: 0
    .kernarg_segment_align: 8
    .kernarg_segment_size: 44
    .language:       OpenCL C
    .language_version:
      - 2
      - 0
    .max_flat_workgroup_size: 256
    .name:           _ZN7rocprim17ROCPRIM_304000_NS6detail33device_block_merge_oddeven_kernelINS1_37wrapped_merge_sort_block_merge_configINS0_14default_configEbN2at4cuda3cub6detail10OpaqueTypeILi8EEEEEPbSC_PSA_SD_jNS1_19radix_merge_compareILb1ELb0EbNS0_19identity_decomposerEEEEEvT0_T1_T2_T3_T4_SL_T5_
    .private_segment_fixed_size: 0
    .sgpr_count:     22
    .sgpr_spill_count: 0
    .symbol:         _ZN7rocprim17ROCPRIM_304000_NS6detail33device_block_merge_oddeven_kernelINS1_37wrapped_merge_sort_block_merge_configINS0_14default_configEbN2at4cuda3cub6detail10OpaqueTypeILi8EEEEEPbSC_PSA_SD_jNS1_19radix_merge_compareILb1ELb0EbNS0_19identity_decomposerEEEEEvT0_T1_T2_T3_T4_SL_T5_.kd
    .uniform_work_group_size: 1
    .uses_dynamic_stack: false
    .vgpr_count:     10
    .vgpr_spill_count: 0
    .wavefront_size: 32
    .workgroup_processor_mode: 1
  - .args:
      - .address_space:  global
        .offset:         0
        .size:           8
        .value_kind:     global_buffer
      - .offset:         8
        .size:           8
        .value_kind:     by_value
      - .address_space:  global
        .offset:         16
        .size:           8
        .value_kind:     global_buffer
      - .offset:         24
        .size:           1
        .value_kind:     by_value
      - .offset:         32
        .size:           4
        .value_kind:     hidden_block_count_x
      - .offset:         36
        .size:           4
        .value_kind:     hidden_block_count_y
      - .offset:         40
        .size:           4
        .value_kind:     hidden_block_count_z
      - .offset:         44
        .size:           2
        .value_kind:     hidden_group_size_x
      - .offset:         46
        .size:           2
        .value_kind:     hidden_group_size_y
      - .offset:         48
        .size:           2
        .value_kind:     hidden_group_size_z
      - .offset:         50
        .size:           2
        .value_kind:     hidden_remainder_x
      - .offset:         52
        .size:           2
        .value_kind:     hidden_remainder_y
      - .offset:         54
        .size:           2
        .value_kind:     hidden_remainder_z
      - .offset:         72
        .size:           8
        .value_kind:     hidden_global_offset_x
      - .offset:         80
        .size:           8
        .value_kind:     hidden_global_offset_y
      - .offset:         88
        .size:           8
        .value_kind:     hidden_global_offset_z
      - .offset:         96
        .size:           2
        .value_kind:     hidden_grid_dims
    .group_segment_fixed_size: 0
    .kernarg_segment_align: 8
    .kernarg_segment_size: 288
    .language:       OpenCL C
    .language_version:
      - 2
      - 0
    .max_flat_workgroup_size: 1024
    .name:           _ZN7rocprim17ROCPRIM_304000_NS6detail16transform_kernelINS1_24wrapped_transform_configINS0_14default_configEbEEbPbS6_NS0_8identityIbEEEEvT1_mT2_T3_
    .private_segment_fixed_size: 0
    .sgpr_count:     18
    .sgpr_spill_count: 0
    .symbol:         _ZN7rocprim17ROCPRIM_304000_NS6detail16transform_kernelINS1_24wrapped_transform_configINS0_14default_configEbEEbPbS6_NS0_8identityIbEEEEvT1_mT2_T3_.kd
    .uniform_work_group_size: 1
    .uses_dynamic_stack: false
    .vgpr_count:     9
    .vgpr_spill_count: 0
    .wavefront_size: 32
    .workgroup_processor_mode: 1
  - .args:
      - .address_space:  global
        .offset:         0
        .size:           8
        .value_kind:     global_buffer
      - .offset:         8
        .size:           4
        .value_kind:     by_value
      - .offset:         12
        .size:           4
        .value_kind:     by_value
      - .address_space:  global
        .offset:         16
        .size:           8
        .value_kind:     global_buffer
      - .offset:         24
        .size:           1
        .value_kind:     by_value
      - .offset:         28
        .size:           4
        .value_kind:     by_value
    .group_segment_fixed_size: 0
    .kernarg_segment_align: 8
    .kernarg_segment_size: 32
    .language:       OpenCL C
    .language_version:
      - 2
      - 0
    .max_flat_workgroup_size: 128
    .name:           _ZN7rocprim17ROCPRIM_304000_NS6detail45device_block_merge_mergepath_partition_kernelINS1_37wrapped_merge_sort_block_merge_configINS0_14default_configEbN2at4cuda3cub6detail10OpaqueTypeILi8EEEEEPbjNS1_19radix_merge_compareILb1ELb1EbNS0_19identity_decomposerEEEEEvT0_T1_jPSH_T2_SH_
    .private_segment_fixed_size: 0
    .sgpr_count:     18
    .sgpr_spill_count: 0
    .symbol:         _ZN7rocprim17ROCPRIM_304000_NS6detail45device_block_merge_mergepath_partition_kernelINS1_37wrapped_merge_sort_block_merge_configINS0_14default_configEbN2at4cuda3cub6detail10OpaqueTypeILi8EEEEEPbjNS1_19radix_merge_compareILb1ELb1EbNS0_19identity_decomposerEEEEEvT0_T1_jPSH_T2_SH_.kd
    .uniform_work_group_size: 1
    .uses_dynamic_stack: false
    .vgpr_count:     15
    .vgpr_spill_count: 0
    .wavefront_size: 32
    .workgroup_processor_mode: 1
  - .args:
      - .address_space:  global
        .offset:         0
        .size:           8
        .value_kind:     global_buffer
      - .address_space:  global
        .offset:         8
        .size:           8
        .value_kind:     global_buffer
      - .address_space:  global
        .offset:         16
        .size:           8
        .value_kind:     global_buffer
      - .address_space:  global
        .offset:         24
        .size:           8
        .value_kind:     global_buffer
      - .offset:         32
        .size:           4
        .value_kind:     by_value
      - .offset:         36
        .size:           4
        .value_kind:     by_value
      - .offset:         40
        .size:           4
        .value_kind:     by_value
      - .offset:         44
        .size:           1
        .value_kind:     by_value
      - .address_space:  global
        .offset:         48
        .size:           8
        .value_kind:     global_buffer
      - .address_space:  global
        .offset:         56
        .size:           8
        .value_kind:     global_buffer
      - .offset:         64
        .size:           4
        .value_kind:     hidden_block_count_x
      - .offset:         68
        .size:           4
        .value_kind:     hidden_block_count_y
      - .offset:         72
        .size:           4
        .value_kind:     hidden_block_count_z
      - .offset:         76
        .size:           2
        .value_kind:     hidden_group_size_x
      - .offset:         78
        .size:           2
        .value_kind:     hidden_group_size_y
      - .offset:         80
        .size:           2
        .value_kind:     hidden_group_size_z
      - .offset:         82
        .size:           2
        .value_kind:     hidden_remainder_x
      - .offset:         84
        .size:           2
        .value_kind:     hidden_remainder_y
      - .offset:         86
        .size:           2
        .value_kind:     hidden_remainder_z
      - .offset:         104
        .size:           8
        .value_kind:     hidden_global_offset_x
      - .offset:         112
        .size:           8
        .value_kind:     hidden_global_offset_y
      - .offset:         120
        .size:           8
        .value_kind:     hidden_global_offset_z
      - .offset:         128
        .size:           2
        .value_kind:     hidden_grid_dims
    .group_segment_fixed_size: 8208
    .kernarg_segment_align: 8
    .kernarg_segment_size: 320
    .language:       OpenCL C
    .language_version:
      - 2
      - 0
    .max_flat_workgroup_size: 512
    .name:           _ZN7rocprim17ROCPRIM_304000_NS6detail35device_block_merge_mergepath_kernelINS1_37wrapped_merge_sort_block_merge_configINS0_14default_configEbN2at4cuda3cub6detail10OpaqueTypeILi8EEEEEPbSC_PSA_SD_jNS1_19radix_merge_compareILb1ELb1EbNS0_19identity_decomposerEEEEEvT0_T1_T2_T3_T4_SL_jT5_PKSL_NS1_7vsmem_tE
    .private_segment_fixed_size: 0
    .sgpr_count:     29
    .sgpr_spill_count: 0
    .symbol:         _ZN7rocprim17ROCPRIM_304000_NS6detail35device_block_merge_mergepath_kernelINS1_37wrapped_merge_sort_block_merge_configINS0_14default_configEbN2at4cuda3cub6detail10OpaqueTypeILi8EEEEEPbSC_PSA_SD_jNS1_19radix_merge_compareILb1ELb1EbNS0_19identity_decomposerEEEEEvT0_T1_T2_T3_T4_SL_jT5_PKSL_NS1_7vsmem_tE.kd
    .uniform_work_group_size: 1
    .uses_dynamic_stack: false
    .vgpr_count:     17
    .vgpr_spill_count: 0
    .wavefront_size: 32
    .workgroup_processor_mode: 1
  - .args:
      - .address_space:  global
        .offset:         0
        .size:           8
        .value_kind:     global_buffer
      - .address_space:  global
        .offset:         8
        .size:           8
        .value_kind:     global_buffer
      - .address_space:  global
        .offset:         16
        .size:           8
        .value_kind:     global_buffer
      - .address_space:  global
        .offset:         24
        .size:           8
        .value_kind:     global_buffer
      - .offset:         32
        .size:           4
        .value_kind:     by_value
      - .offset:         36
        .size:           4
        .value_kind:     by_value
      - .offset:         40
        .size:           1
        .value_kind:     by_value
    .group_segment_fixed_size: 0
    .kernarg_segment_align: 8
    .kernarg_segment_size: 44
    .language:       OpenCL C
    .language_version:
      - 2
      - 0
    .max_flat_workgroup_size: 256
    .name:           _ZN7rocprim17ROCPRIM_304000_NS6detail33device_block_merge_oddeven_kernelINS1_37wrapped_merge_sort_block_merge_configINS0_14default_configEbN2at4cuda3cub6detail10OpaqueTypeILi8EEEEEPbSC_PSA_SD_jNS1_19radix_merge_compareILb1ELb1EbNS0_19identity_decomposerEEEEEvT0_T1_T2_T3_T4_SL_T5_
    .private_segment_fixed_size: 0
    .sgpr_count:     24
    .sgpr_spill_count: 0
    .symbol:         _ZN7rocprim17ROCPRIM_304000_NS6detail33device_block_merge_oddeven_kernelINS1_37wrapped_merge_sort_block_merge_configINS0_14default_configEbN2at4cuda3cub6detail10OpaqueTypeILi8EEEEEPbSC_PSA_SD_jNS1_19radix_merge_compareILb1ELb1EbNS0_19identity_decomposerEEEEEvT0_T1_T2_T3_T4_SL_T5_.kd
    .uniform_work_group_size: 1
    .uses_dynamic_stack: false
    .vgpr_count:     11
    .vgpr_spill_count: 0
    .wavefront_size: 32
    .workgroup_processor_mode: 1
  - .args:
      - .address_space:  global
        .offset:         0
        .size:           8
        .value_kind:     global_buffer
      - .address_space:  global
        .offset:         8
        .size:           8
        .value_kind:     global_buffer
      - .offset:         16
        .size:           8
        .value_kind:     by_value
      - .offset:         24
        .size:           8
        .value_kind:     by_value
      - .offset:         32
        .size:           1
        .value_kind:     by_value
      - .offset:         36
        .size:           4
        .value_kind:     by_value
      - .offset:         40
        .size:           4
        .value_kind:     by_value
    .group_segment_fixed_size: 4096
    .kernarg_segment_align: 8
    .kernarg_segment_size: 44
    .language:       OpenCL C
    .language_version:
      - 2
      - 0
    .max_flat_workgroup_size: 256
    .name:           _ZN7rocprim17ROCPRIM_304000_NS6detail26onesweep_histograms_kernelINS1_34wrapped_radix_sort_onesweep_configINS0_14default_configEbN2at4cuda3cub6detail10OpaqueTypeILi8EEEEELb1EPKbmNS0_19identity_decomposerEEEvT1_PT2_SG_SG_T3_jj
    .private_segment_fixed_size: 0
    .sgpr_count:     36
    .sgpr_spill_count: 0
    .symbol:         _ZN7rocprim17ROCPRIM_304000_NS6detail26onesweep_histograms_kernelINS1_34wrapped_radix_sort_onesweep_configINS0_14default_configEbN2at4cuda3cub6detail10OpaqueTypeILi8EEEEELb1EPKbmNS0_19identity_decomposerEEEvT1_PT2_SG_SG_T3_jj.kd
    .uniform_work_group_size: 1
    .uses_dynamic_stack: false
    .vgpr_count:     35
    .vgpr_spill_count: 0
    .wavefront_size: 32
    .workgroup_processor_mode: 1
  - .args:
      - .address_space:  global
        .offset:         0
        .size:           8
        .value_kind:     global_buffer
    .group_segment_fixed_size: 64
    .kernarg_segment_align: 8
    .kernarg_segment_size: 8
    .language:       OpenCL C
    .language_version:
      - 2
      - 0
    .max_flat_workgroup_size: 256
    .name:           _ZN7rocprim17ROCPRIM_304000_NS6detail31onesweep_scan_histograms_kernelINS1_34wrapped_radix_sort_onesweep_configINS0_14default_configEbN2at4cuda3cub6detail10OpaqueTypeILi8EEEEEmEEvPT0_
    .private_segment_fixed_size: 0
    .sgpr_count:     18
    .sgpr_spill_count: 0
    .symbol:         _ZN7rocprim17ROCPRIM_304000_NS6detail31onesweep_scan_histograms_kernelINS1_34wrapped_radix_sort_onesweep_configINS0_14default_configEbN2at4cuda3cub6detail10OpaqueTypeILi8EEEEEmEEvPT0_.kd
    .uniform_work_group_size: 1
    .uses_dynamic_stack: false
    .vgpr_count:     12
    .vgpr_spill_count: 0
    .wavefront_size: 32
    .workgroup_processor_mode: 1
  - .args:
      - .address_space:  global
        .offset:         0
        .size:           8
        .value_kind:     global_buffer
      - .offset:         8
        .size:           8
        .value_kind:     by_value
      - .address_space:  global
        .offset:         16
        .size:           8
        .value_kind:     global_buffer
      - .offset:         24
        .size:           1
        .value_kind:     by_value
      - .offset:         32
        .size:           4
        .value_kind:     hidden_block_count_x
      - .offset:         36
        .size:           4
        .value_kind:     hidden_block_count_y
      - .offset:         40
        .size:           4
        .value_kind:     hidden_block_count_z
      - .offset:         44
        .size:           2
        .value_kind:     hidden_group_size_x
      - .offset:         46
        .size:           2
        .value_kind:     hidden_group_size_y
      - .offset:         48
        .size:           2
        .value_kind:     hidden_group_size_z
      - .offset:         50
        .size:           2
        .value_kind:     hidden_remainder_x
      - .offset:         52
        .size:           2
        .value_kind:     hidden_remainder_y
      - .offset:         54
        .size:           2
        .value_kind:     hidden_remainder_z
      - .offset:         72
        .size:           8
        .value_kind:     hidden_global_offset_x
      - .offset:         80
        .size:           8
        .value_kind:     hidden_global_offset_y
      - .offset:         88
        .size:           8
        .value_kind:     hidden_global_offset_z
      - .offset:         96
        .size:           2
        .value_kind:     hidden_grid_dims
    .group_segment_fixed_size: 0
    .kernarg_segment_align: 8
    .kernarg_segment_size: 288
    .language:       OpenCL C
    .language_version:
      - 2
      - 0
    .max_flat_workgroup_size: 1024
    .name:           _ZN7rocprim17ROCPRIM_304000_NS6detail16transform_kernelINS1_24wrapped_transform_configINS0_14default_configEbEEbPKbPbNS0_8identityIbEEEEvT1_mT2_T3_
    .private_segment_fixed_size: 0
    .sgpr_count:     18
    .sgpr_spill_count: 0
    .symbol:         _ZN7rocprim17ROCPRIM_304000_NS6detail16transform_kernelINS1_24wrapped_transform_configINS0_14default_configEbEEbPKbPbNS0_8identityIbEEEEvT1_mT2_T3_.kd
    .uniform_work_group_size: 1
    .uses_dynamic_stack: false
    .vgpr_count:     9
    .vgpr_spill_count: 0
    .wavefront_size: 32
    .workgroup_processor_mode: 1
  - .args:
      - .address_space:  global
        .offset:         0
        .size:           8
        .value_kind:     global_buffer
      - .address_space:  global
        .offset:         8
        .size:           8
        .value_kind:     global_buffer
      - .address_space:  global
        .offset:         16
        .size:           8
        .value_kind:     global_buffer
      - .address_space:  global
        .offset:         24
        .size:           8
        .value_kind:     global_buffer
      - .offset:         32
        .size:           4
        .value_kind:     by_value
      - .address_space:  global
        .offset:         40
        .size:           8
        .value_kind:     global_buffer
      - .address_space:  global
        .offset:         48
        .size:           8
        .value_kind:     global_buffer
      - .address_space:  global
        .offset:         56
        .size:           8
        .value_kind:     global_buffer
      - .offset:         64
        .size:           1
        .value_kind:     by_value
      - .offset:         68
        .size:           4
        .value_kind:     by_value
      - .offset:         72
        .size:           4
        .value_kind:     by_value
      - .offset:         76
        .size:           4
        .value_kind:     by_value
      - .offset:         80
        .size:           4
        .value_kind:     hidden_block_count_x
      - .offset:         84
        .size:           4
        .value_kind:     hidden_block_count_y
      - .offset:         88
        .size:           4
        .value_kind:     hidden_block_count_z
      - .offset:         92
        .size:           2
        .value_kind:     hidden_group_size_x
      - .offset:         94
        .size:           2
        .value_kind:     hidden_group_size_y
      - .offset:         96
        .size:           2
        .value_kind:     hidden_group_size_z
      - .offset:         98
        .size:           2
        .value_kind:     hidden_remainder_x
      - .offset:         100
        .size:           2
        .value_kind:     hidden_remainder_y
      - .offset:         102
        .size:           2
        .value_kind:     hidden_remainder_z
      - .offset:         120
        .size:           8
        .value_kind:     hidden_global_offset_x
      - .offset:         128
        .size:           8
        .value_kind:     hidden_global_offset_y
      - .offset:         136
        .size:           8
        .value_kind:     hidden_global_offset_z
      - .offset:         144
        .size:           2
        .value_kind:     hidden_grid_dims
    .group_segment_fixed_size: 47104
    .kernarg_segment_align: 8
    .kernarg_segment_size: 336
    .language:       OpenCL C
    .language_version:
      - 2
      - 0
    .max_flat_workgroup_size: 256
    .name:           _ZN7rocprim17ROCPRIM_304000_NS6detail25onesweep_iteration_kernelINS1_34wrapped_radix_sort_onesweep_configINS0_14default_configEbN2at4cuda3cub6detail10OpaqueTypeILi8EEEEELb1EPKbPbPKSA_PSA_mNS0_19identity_decomposerEEEvT1_T2_T3_T4_jPT5_SO_PNS1_23onesweep_lookback_stateET6_jjj
    .private_segment_fixed_size: 0
    .sgpr_count:     74
    .sgpr_spill_count: 0
    .symbol:         _ZN7rocprim17ROCPRIM_304000_NS6detail25onesweep_iteration_kernelINS1_34wrapped_radix_sort_onesweep_configINS0_14default_configEbN2at4cuda3cub6detail10OpaqueTypeILi8EEEEELb1EPKbPbPKSA_PSA_mNS0_19identity_decomposerEEEvT1_T2_T3_T4_jPT5_SO_PNS1_23onesweep_lookback_stateET6_jjj.kd
    .uniform_work_group_size: 1
    .uses_dynamic_stack: false
    .vgpr_count:     183
    .vgpr_spill_count: 0
    .wavefront_size: 32
    .workgroup_processor_mode: 1
  - .args:
      - .address_space:  global
        .offset:         0
        .size:           8
        .value_kind:     global_buffer
      - .address_space:  global
        .offset:         8
        .size:           8
        .value_kind:     global_buffer
      - .address_space:  global
        .offset:         16
        .size:           8
        .value_kind:     global_buffer
      - .address_space:  global
        .offset:         24
        .size:           8
        .value_kind:     global_buffer
      - .offset:         32
        .size:           4
        .value_kind:     by_value
      - .address_space:  global
        .offset:         40
        .size:           8
        .value_kind:     global_buffer
      - .address_space:  global
        .offset:         48
        .size:           8
        .value_kind:     global_buffer
      - .address_space:  global
        .offset:         56
        .size:           8
        .value_kind:     global_buffer
      - .offset:         64
        .size:           1
        .value_kind:     by_value
      - .offset:         68
        .size:           4
        .value_kind:     by_value
      - .offset:         72
        .size:           4
        .value_kind:     by_value
      - .offset:         76
        .size:           4
        .value_kind:     by_value
      - .offset:         80
        .size:           4
        .value_kind:     hidden_block_count_x
      - .offset:         84
        .size:           4
        .value_kind:     hidden_block_count_y
      - .offset:         88
        .size:           4
        .value_kind:     hidden_block_count_z
      - .offset:         92
        .size:           2
        .value_kind:     hidden_group_size_x
      - .offset:         94
        .size:           2
        .value_kind:     hidden_group_size_y
      - .offset:         96
        .size:           2
        .value_kind:     hidden_group_size_z
      - .offset:         98
        .size:           2
        .value_kind:     hidden_remainder_x
      - .offset:         100
        .size:           2
        .value_kind:     hidden_remainder_y
      - .offset:         102
        .size:           2
        .value_kind:     hidden_remainder_z
      - .offset:         120
        .size:           8
        .value_kind:     hidden_global_offset_x
      - .offset:         128
        .size:           8
        .value_kind:     hidden_global_offset_y
      - .offset:         136
        .size:           8
        .value_kind:     hidden_global_offset_z
      - .offset:         144
        .size:           2
        .value_kind:     hidden_grid_dims
    .group_segment_fixed_size: 47104
    .kernarg_segment_align: 8
    .kernarg_segment_size: 336
    .language:       OpenCL C
    .language_version:
      - 2
      - 0
    .max_flat_workgroup_size: 256
    .name:           _ZN7rocprim17ROCPRIM_304000_NS6detail25onesweep_iteration_kernelINS1_34wrapped_radix_sort_onesweep_configINS0_14default_configEbN2at4cuda3cub6detail10OpaqueTypeILi8EEEEELb1EPbSC_PSA_SD_mNS0_19identity_decomposerEEEvT1_T2_T3_T4_jPT5_SK_PNS1_23onesweep_lookback_stateET6_jjj
    .private_segment_fixed_size: 0
    .sgpr_count:     74
    .sgpr_spill_count: 0
    .symbol:         _ZN7rocprim17ROCPRIM_304000_NS6detail25onesweep_iteration_kernelINS1_34wrapped_radix_sort_onesweep_configINS0_14default_configEbN2at4cuda3cub6detail10OpaqueTypeILi8EEEEELb1EPbSC_PSA_SD_mNS0_19identity_decomposerEEEvT1_T2_T3_T4_jPT5_SK_PNS1_23onesweep_lookback_stateET6_jjj.kd
    .uniform_work_group_size: 1
    .uses_dynamic_stack: false
    .vgpr_count:     183
    .vgpr_spill_count: 0
    .wavefront_size: 32
    .workgroup_processor_mode: 1
  - .args:
      - .address_space:  global
        .offset:         0
        .size:           8
        .value_kind:     global_buffer
      - .address_space:  global
        .offset:         8
        .size:           8
        .value_kind:     global_buffer
      - .address_space:  global
        .offset:         16
        .size:           8
        .value_kind:     global_buffer
      - .address_space:  global
        .offset:         24
        .size:           8
        .value_kind:     global_buffer
      - .offset:         32
        .size:           4
        .value_kind:     by_value
      - .offset:         36
        .size:           1
        .value_kind:     by_value
      - .offset:         40
        .size:           4
        .value_kind:     by_value
      - .offset:         44
        .size:           4
        .value_kind:     by_value
      - .offset:         48
        .size:           4
        .value_kind:     hidden_block_count_x
      - .offset:         52
        .size:           4
        .value_kind:     hidden_block_count_y
      - .offset:         56
        .size:           4
        .value_kind:     hidden_block_count_z
      - .offset:         60
        .size:           2
        .value_kind:     hidden_group_size_x
      - .offset:         62
        .size:           2
        .value_kind:     hidden_group_size_y
      - .offset:         64
        .size:           2
        .value_kind:     hidden_group_size_z
      - .offset:         66
        .size:           2
        .value_kind:     hidden_remainder_x
      - .offset:         68
        .size:           2
        .value_kind:     hidden_remainder_y
      - .offset:         70
        .size:           2
        .value_kind:     hidden_remainder_z
      - .offset:         88
        .size:           8
        .value_kind:     hidden_global_offset_x
      - .offset:         96
        .size:           8
        .value_kind:     hidden_global_offset_y
      - .offset:         104
        .size:           8
        .value_kind:     hidden_global_offset_z
      - .offset:         112
        .size:           2
        .value_kind:     hidden_grid_dims
    .group_segment_fixed_size: 8224
    .kernarg_segment_align: 8
    .kernarg_segment_size: 304
    .language:       OpenCL C
    .language_version:
      - 2
      - 0
    .max_flat_workgroup_size: 256
    .name:           _ZN7rocprim17ROCPRIM_304000_NS6detail28radix_sort_block_sort_kernelINS1_36wrapped_radix_sort_block_sort_configINS0_13kernel_configILj256ELj4ELj4294967295EEEbN2at4cuda3cub6detail10OpaqueTypeILi8EEEEELb0EPKbPbPKSB_PSB_NS0_19identity_decomposerEEEvT1_T2_T3_T4_jT5_jj
    .private_segment_fixed_size: 0
    .sgpr_count:     32
    .sgpr_spill_count: 0
    .symbol:         _ZN7rocprim17ROCPRIM_304000_NS6detail28radix_sort_block_sort_kernelINS1_36wrapped_radix_sort_block_sort_configINS0_13kernel_configILj256ELj4ELj4294967295EEEbN2at4cuda3cub6detail10OpaqueTypeILi8EEEEELb0EPKbPbPKSB_PSB_NS0_19identity_decomposerEEEvT1_T2_T3_T4_jT5_jj.kd
    .uniform_work_group_size: 1
    .uses_dynamic_stack: false
    .vgpr_count:     53
    .vgpr_spill_count: 0
    .wavefront_size: 32
    .workgroup_processor_mode: 1
  - .args:
      - .address_space:  global
        .offset:         0
        .size:           8
        .value_kind:     global_buffer
      - .offset:         8
        .size:           4
        .value_kind:     by_value
      - .offset:         12
        .size:           4
        .value_kind:     by_value
      - .address_space:  global
        .offset:         16
        .size:           8
        .value_kind:     global_buffer
      - .offset:         24
        .size:           1
        .value_kind:     by_value
      - .offset:         28
        .size:           4
        .value_kind:     by_value
    .group_segment_fixed_size: 0
    .kernarg_segment_align: 8
    .kernarg_segment_size: 32
    .language:       OpenCL C
    .language_version:
      - 2
      - 0
    .max_flat_workgroup_size: 128
    .name:           _ZN7rocprim17ROCPRIM_304000_NS6detail45device_block_merge_mergepath_partition_kernelINS1_37wrapped_merge_sort_block_merge_configINS0_14default_configEbN2at4cuda3cub6detail10OpaqueTypeILi8EEEEEPbjNS1_19radix_merge_compareILb0ELb0EbNS0_19identity_decomposerEEEEEvT0_T1_jPSH_T2_SH_
    .private_segment_fixed_size: 0
    .sgpr_count:     18
    .sgpr_spill_count: 0
    .symbol:         _ZN7rocprim17ROCPRIM_304000_NS6detail45device_block_merge_mergepath_partition_kernelINS1_37wrapped_merge_sort_block_merge_configINS0_14default_configEbN2at4cuda3cub6detail10OpaqueTypeILi8EEEEEPbjNS1_19radix_merge_compareILb0ELb0EbNS0_19identity_decomposerEEEEEvT0_T1_jPSH_T2_SH_.kd
    .uniform_work_group_size: 1
    .uses_dynamic_stack: false
    .vgpr_count:     14
    .vgpr_spill_count: 0
    .wavefront_size: 32
    .workgroup_processor_mode: 1
  - .args:
      - .address_space:  global
        .offset:         0
        .size:           8
        .value_kind:     global_buffer
      - .address_space:  global
        .offset:         8
        .size:           8
        .value_kind:     global_buffer
      - .address_space:  global
        .offset:         16
        .size:           8
        .value_kind:     global_buffer
      - .address_space:  global
        .offset:         24
        .size:           8
        .value_kind:     global_buffer
      - .offset:         32
        .size:           4
        .value_kind:     by_value
      - .offset:         36
        .size:           4
        .value_kind:     by_value
      - .offset:         40
        .size:           4
        .value_kind:     by_value
      - .offset:         44
        .size:           1
        .value_kind:     by_value
      - .address_space:  global
        .offset:         48
        .size:           8
        .value_kind:     global_buffer
      - .address_space:  global
        .offset:         56
        .size:           8
        .value_kind:     global_buffer
      - .offset:         64
        .size:           4
        .value_kind:     hidden_block_count_x
      - .offset:         68
        .size:           4
        .value_kind:     hidden_block_count_y
      - .offset:         72
        .size:           4
        .value_kind:     hidden_block_count_z
      - .offset:         76
        .size:           2
        .value_kind:     hidden_group_size_x
      - .offset:         78
        .size:           2
        .value_kind:     hidden_group_size_y
      - .offset:         80
        .size:           2
        .value_kind:     hidden_group_size_z
      - .offset:         82
        .size:           2
        .value_kind:     hidden_remainder_x
      - .offset:         84
        .size:           2
        .value_kind:     hidden_remainder_y
      - .offset:         86
        .size:           2
        .value_kind:     hidden_remainder_z
      - .offset:         104
        .size:           8
        .value_kind:     hidden_global_offset_x
      - .offset:         112
        .size:           8
        .value_kind:     hidden_global_offset_y
      - .offset:         120
        .size:           8
        .value_kind:     hidden_global_offset_z
      - .offset:         128
        .size:           2
        .value_kind:     hidden_grid_dims
    .group_segment_fixed_size: 8208
    .kernarg_segment_align: 8
    .kernarg_segment_size: 320
    .language:       OpenCL C
    .language_version:
      - 2
      - 0
    .max_flat_workgroup_size: 512
    .name:           _ZN7rocprim17ROCPRIM_304000_NS6detail35device_block_merge_mergepath_kernelINS1_37wrapped_merge_sort_block_merge_configINS0_14default_configEbN2at4cuda3cub6detail10OpaqueTypeILi8EEEEEPbSC_PSA_SD_jNS1_19radix_merge_compareILb0ELb0EbNS0_19identity_decomposerEEEEEvT0_T1_T2_T3_T4_SL_jT5_PKSL_NS1_7vsmem_tE
    .private_segment_fixed_size: 0
    .sgpr_count:     29
    .sgpr_spill_count: 0
    .symbol:         _ZN7rocprim17ROCPRIM_304000_NS6detail35device_block_merge_mergepath_kernelINS1_37wrapped_merge_sort_block_merge_configINS0_14default_configEbN2at4cuda3cub6detail10OpaqueTypeILi8EEEEEPbSC_PSA_SD_jNS1_19radix_merge_compareILb0ELb0EbNS0_19identity_decomposerEEEEEvT0_T1_T2_T3_T4_SL_jT5_PKSL_NS1_7vsmem_tE.kd
    .uniform_work_group_size: 1
    .uses_dynamic_stack: false
    .vgpr_count:     17
    .vgpr_spill_count: 0
    .wavefront_size: 32
    .workgroup_processor_mode: 1
  - .args:
      - .address_space:  global
        .offset:         0
        .size:           8
        .value_kind:     global_buffer
      - .address_space:  global
        .offset:         8
        .size:           8
        .value_kind:     global_buffer
      - .address_space:  global
        .offset:         16
        .size:           8
        .value_kind:     global_buffer
      - .address_space:  global
        .offset:         24
        .size:           8
        .value_kind:     global_buffer
      - .offset:         32
        .size:           4
        .value_kind:     by_value
      - .offset:         36
        .size:           4
        .value_kind:     by_value
      - .offset:         40
        .size:           1
        .value_kind:     by_value
    .group_segment_fixed_size: 0
    .kernarg_segment_align: 8
    .kernarg_segment_size: 44
    .language:       OpenCL C
    .language_version:
      - 2
      - 0
    .max_flat_workgroup_size: 256
    .name:           _ZN7rocprim17ROCPRIM_304000_NS6detail33device_block_merge_oddeven_kernelINS1_37wrapped_merge_sort_block_merge_configINS0_14default_configEbN2at4cuda3cub6detail10OpaqueTypeILi8EEEEEPbSC_PSA_SD_jNS1_19radix_merge_compareILb0ELb0EbNS0_19identity_decomposerEEEEEvT0_T1_T2_T3_T4_SL_T5_
    .private_segment_fixed_size: 0
    .sgpr_count:     22
    .sgpr_spill_count: 0
    .symbol:         _ZN7rocprim17ROCPRIM_304000_NS6detail33device_block_merge_oddeven_kernelINS1_37wrapped_merge_sort_block_merge_configINS0_14default_configEbN2at4cuda3cub6detail10OpaqueTypeILi8EEEEEPbSC_PSA_SD_jNS1_19radix_merge_compareILb0ELb0EbNS0_19identity_decomposerEEEEEvT0_T1_T2_T3_T4_SL_T5_.kd
    .uniform_work_group_size: 1
    .uses_dynamic_stack: false
    .vgpr_count:     10
    .vgpr_spill_count: 0
    .wavefront_size: 32
    .workgroup_processor_mode: 1
  - .args:
      - .address_space:  global
        .offset:         0
        .size:           8
        .value_kind:     global_buffer
      - .offset:         8
        .size:           4
        .value_kind:     by_value
      - .offset:         12
        .size:           4
        .value_kind:     by_value
      - .address_space:  global
        .offset:         16
        .size:           8
        .value_kind:     global_buffer
      - .offset:         24
        .size:           1
        .value_kind:     by_value
      - .offset:         28
        .size:           4
        .value_kind:     by_value
    .group_segment_fixed_size: 0
    .kernarg_segment_align: 8
    .kernarg_segment_size: 32
    .language:       OpenCL C
    .language_version:
      - 2
      - 0
    .max_flat_workgroup_size: 128
    .name:           _ZN7rocprim17ROCPRIM_304000_NS6detail45device_block_merge_mergepath_partition_kernelINS1_37wrapped_merge_sort_block_merge_configINS0_14default_configEbN2at4cuda3cub6detail10OpaqueTypeILi8EEEEEPbjNS1_19radix_merge_compareILb0ELb1EbNS0_19identity_decomposerEEEEEvT0_T1_jPSH_T2_SH_
    .private_segment_fixed_size: 0
    .sgpr_count:     18
    .sgpr_spill_count: 0
    .symbol:         _ZN7rocprim17ROCPRIM_304000_NS6detail45device_block_merge_mergepath_partition_kernelINS1_37wrapped_merge_sort_block_merge_configINS0_14default_configEbN2at4cuda3cub6detail10OpaqueTypeILi8EEEEEPbjNS1_19radix_merge_compareILb0ELb1EbNS0_19identity_decomposerEEEEEvT0_T1_jPSH_T2_SH_.kd
    .uniform_work_group_size: 1
    .uses_dynamic_stack: false
    .vgpr_count:     15
    .vgpr_spill_count: 0
    .wavefront_size: 32
    .workgroup_processor_mode: 1
  - .args:
      - .address_space:  global
        .offset:         0
        .size:           8
        .value_kind:     global_buffer
      - .address_space:  global
        .offset:         8
        .size:           8
        .value_kind:     global_buffer
      - .address_space:  global
        .offset:         16
        .size:           8
        .value_kind:     global_buffer
      - .address_space:  global
        .offset:         24
        .size:           8
        .value_kind:     global_buffer
      - .offset:         32
        .size:           4
        .value_kind:     by_value
      - .offset:         36
        .size:           4
        .value_kind:     by_value
      - .offset:         40
        .size:           4
        .value_kind:     by_value
      - .offset:         44
        .size:           1
        .value_kind:     by_value
      - .address_space:  global
        .offset:         48
        .size:           8
        .value_kind:     global_buffer
      - .address_space:  global
        .offset:         56
        .size:           8
        .value_kind:     global_buffer
      - .offset:         64
        .size:           4
        .value_kind:     hidden_block_count_x
      - .offset:         68
        .size:           4
        .value_kind:     hidden_block_count_y
      - .offset:         72
        .size:           4
        .value_kind:     hidden_block_count_z
      - .offset:         76
        .size:           2
        .value_kind:     hidden_group_size_x
      - .offset:         78
        .size:           2
        .value_kind:     hidden_group_size_y
      - .offset:         80
        .size:           2
        .value_kind:     hidden_group_size_z
      - .offset:         82
        .size:           2
        .value_kind:     hidden_remainder_x
      - .offset:         84
        .size:           2
        .value_kind:     hidden_remainder_y
      - .offset:         86
        .size:           2
        .value_kind:     hidden_remainder_z
      - .offset:         104
        .size:           8
        .value_kind:     hidden_global_offset_x
      - .offset:         112
        .size:           8
        .value_kind:     hidden_global_offset_y
      - .offset:         120
        .size:           8
        .value_kind:     hidden_global_offset_z
      - .offset:         128
        .size:           2
        .value_kind:     hidden_grid_dims
    .group_segment_fixed_size: 8208
    .kernarg_segment_align: 8
    .kernarg_segment_size: 320
    .language:       OpenCL C
    .language_version:
      - 2
      - 0
    .max_flat_workgroup_size: 512
    .name:           _ZN7rocprim17ROCPRIM_304000_NS6detail35device_block_merge_mergepath_kernelINS1_37wrapped_merge_sort_block_merge_configINS0_14default_configEbN2at4cuda3cub6detail10OpaqueTypeILi8EEEEEPbSC_PSA_SD_jNS1_19radix_merge_compareILb0ELb1EbNS0_19identity_decomposerEEEEEvT0_T1_T2_T3_T4_SL_jT5_PKSL_NS1_7vsmem_tE
    .private_segment_fixed_size: 0
    .sgpr_count:     29
    .sgpr_spill_count: 0
    .symbol:         _ZN7rocprim17ROCPRIM_304000_NS6detail35device_block_merge_mergepath_kernelINS1_37wrapped_merge_sort_block_merge_configINS0_14default_configEbN2at4cuda3cub6detail10OpaqueTypeILi8EEEEEPbSC_PSA_SD_jNS1_19radix_merge_compareILb0ELb1EbNS0_19identity_decomposerEEEEEvT0_T1_T2_T3_T4_SL_jT5_PKSL_NS1_7vsmem_tE.kd
    .uniform_work_group_size: 1
    .uses_dynamic_stack: false
    .vgpr_count:     17
    .vgpr_spill_count: 0
    .wavefront_size: 32
    .workgroup_processor_mode: 1
  - .args:
      - .address_space:  global
        .offset:         0
        .size:           8
        .value_kind:     global_buffer
      - .address_space:  global
        .offset:         8
        .size:           8
        .value_kind:     global_buffer
      - .address_space:  global
        .offset:         16
        .size:           8
        .value_kind:     global_buffer
      - .address_space:  global
        .offset:         24
        .size:           8
        .value_kind:     global_buffer
      - .offset:         32
        .size:           4
        .value_kind:     by_value
      - .offset:         36
        .size:           4
        .value_kind:     by_value
      - .offset:         40
        .size:           1
        .value_kind:     by_value
    .group_segment_fixed_size: 0
    .kernarg_segment_align: 8
    .kernarg_segment_size: 44
    .language:       OpenCL C
    .language_version:
      - 2
      - 0
    .max_flat_workgroup_size: 256
    .name:           _ZN7rocprim17ROCPRIM_304000_NS6detail33device_block_merge_oddeven_kernelINS1_37wrapped_merge_sort_block_merge_configINS0_14default_configEbN2at4cuda3cub6detail10OpaqueTypeILi8EEEEEPbSC_PSA_SD_jNS1_19radix_merge_compareILb0ELb1EbNS0_19identity_decomposerEEEEEvT0_T1_T2_T3_T4_SL_T5_
    .private_segment_fixed_size: 0
    .sgpr_count:     24
    .sgpr_spill_count: 0
    .symbol:         _ZN7rocprim17ROCPRIM_304000_NS6detail33device_block_merge_oddeven_kernelINS1_37wrapped_merge_sort_block_merge_configINS0_14default_configEbN2at4cuda3cub6detail10OpaqueTypeILi8EEEEEPbSC_PSA_SD_jNS1_19radix_merge_compareILb0ELb1EbNS0_19identity_decomposerEEEEEvT0_T1_T2_T3_T4_SL_T5_.kd
    .uniform_work_group_size: 1
    .uses_dynamic_stack: false
    .vgpr_count:     11
    .vgpr_spill_count: 0
    .wavefront_size: 32
    .workgroup_processor_mode: 1
  - .args:
      - .address_space:  global
        .offset:         0
        .size:           8
        .value_kind:     global_buffer
      - .address_space:  global
        .offset:         8
        .size:           8
        .value_kind:     global_buffer
      - .offset:         16
        .size:           8
        .value_kind:     by_value
      - .offset:         24
        .size:           8
        .value_kind:     by_value
      - .offset:         32
        .size:           1
        .value_kind:     by_value
      - .offset:         36
        .size:           4
        .value_kind:     by_value
      - .offset:         40
        .size:           4
        .value_kind:     by_value
    .group_segment_fixed_size: 4096
    .kernarg_segment_align: 8
    .kernarg_segment_size: 44
    .language:       OpenCL C
    .language_version:
      - 2
      - 0
    .max_flat_workgroup_size: 256
    .name:           _ZN7rocprim17ROCPRIM_304000_NS6detail26onesweep_histograms_kernelINS1_34wrapped_radix_sort_onesweep_configINS0_14default_configEbN2at4cuda3cub6detail10OpaqueTypeILi8EEEEELb0EPKbmNS0_19identity_decomposerEEEvT1_PT2_SG_SG_T3_jj
    .private_segment_fixed_size: 0
    .sgpr_count:     36
    .sgpr_spill_count: 0
    .symbol:         _ZN7rocprim17ROCPRIM_304000_NS6detail26onesweep_histograms_kernelINS1_34wrapped_radix_sort_onesweep_configINS0_14default_configEbN2at4cuda3cub6detail10OpaqueTypeILi8EEEEELb0EPKbmNS0_19identity_decomposerEEEvT1_PT2_SG_SG_T3_jj.kd
    .uniform_work_group_size: 1
    .uses_dynamic_stack: false
    .vgpr_count:     35
    .vgpr_spill_count: 0
    .wavefront_size: 32
    .workgroup_processor_mode: 1
  - .args:
      - .address_space:  global
        .offset:         0
        .size:           8
        .value_kind:     global_buffer
      - .address_space:  global
        .offset:         8
        .size:           8
        .value_kind:     global_buffer
      - .address_space:  global
        .offset:         16
        .size:           8
        .value_kind:     global_buffer
      - .address_space:  global
        .offset:         24
        .size:           8
        .value_kind:     global_buffer
      - .offset:         32
        .size:           4
        .value_kind:     by_value
      - .address_space:  global
        .offset:         40
        .size:           8
        .value_kind:     global_buffer
      - .address_space:  global
        .offset:         48
        .size:           8
        .value_kind:     global_buffer
      - .address_space:  global
        .offset:         56
        .size:           8
        .value_kind:     global_buffer
      - .offset:         64
        .size:           1
        .value_kind:     by_value
      - .offset:         68
        .size:           4
        .value_kind:     by_value
      - .offset:         72
        .size:           4
        .value_kind:     by_value
      - .offset:         76
        .size:           4
        .value_kind:     by_value
      - .offset:         80
        .size:           4
        .value_kind:     hidden_block_count_x
      - .offset:         84
        .size:           4
        .value_kind:     hidden_block_count_y
      - .offset:         88
        .size:           4
        .value_kind:     hidden_block_count_z
      - .offset:         92
        .size:           2
        .value_kind:     hidden_group_size_x
      - .offset:         94
        .size:           2
        .value_kind:     hidden_group_size_y
      - .offset:         96
        .size:           2
        .value_kind:     hidden_group_size_z
      - .offset:         98
        .size:           2
        .value_kind:     hidden_remainder_x
      - .offset:         100
        .size:           2
        .value_kind:     hidden_remainder_y
      - .offset:         102
        .size:           2
        .value_kind:     hidden_remainder_z
      - .offset:         120
        .size:           8
        .value_kind:     hidden_global_offset_x
      - .offset:         128
        .size:           8
        .value_kind:     hidden_global_offset_y
      - .offset:         136
        .size:           8
        .value_kind:     hidden_global_offset_z
      - .offset:         144
        .size:           2
        .value_kind:     hidden_grid_dims
    .group_segment_fixed_size: 47104
    .kernarg_segment_align: 8
    .kernarg_segment_size: 336
    .language:       OpenCL C
    .language_version:
      - 2
      - 0
    .max_flat_workgroup_size: 256
    .name:           _ZN7rocprim17ROCPRIM_304000_NS6detail25onesweep_iteration_kernelINS1_34wrapped_radix_sort_onesweep_configINS0_14default_configEbN2at4cuda3cub6detail10OpaqueTypeILi8EEEEELb0EPKbPbPKSA_PSA_mNS0_19identity_decomposerEEEvT1_T2_T3_T4_jPT5_SO_PNS1_23onesweep_lookback_stateET6_jjj
    .private_segment_fixed_size: 0
    .sgpr_count:     74
    .sgpr_spill_count: 0
    .symbol:         _ZN7rocprim17ROCPRIM_304000_NS6detail25onesweep_iteration_kernelINS1_34wrapped_radix_sort_onesweep_configINS0_14default_configEbN2at4cuda3cub6detail10OpaqueTypeILi8EEEEELb0EPKbPbPKSA_PSA_mNS0_19identity_decomposerEEEvT1_T2_T3_T4_jPT5_SO_PNS1_23onesweep_lookback_stateET6_jjj.kd
    .uniform_work_group_size: 1
    .uses_dynamic_stack: false
    .vgpr_count:     184
    .vgpr_spill_count: 0
    .wavefront_size: 32
    .workgroup_processor_mode: 1
  - .args:
      - .address_space:  global
        .offset:         0
        .size:           8
        .value_kind:     global_buffer
      - .address_space:  global
        .offset:         8
        .size:           8
        .value_kind:     global_buffer
      - .address_space:  global
        .offset:         16
        .size:           8
        .value_kind:     global_buffer
      - .address_space:  global
        .offset:         24
        .size:           8
        .value_kind:     global_buffer
      - .offset:         32
        .size:           4
        .value_kind:     by_value
      - .address_space:  global
        .offset:         40
        .size:           8
        .value_kind:     global_buffer
      - .address_space:  global
        .offset:         48
        .size:           8
        .value_kind:     global_buffer
      - .address_space:  global
        .offset:         56
        .size:           8
        .value_kind:     global_buffer
      - .offset:         64
        .size:           1
        .value_kind:     by_value
      - .offset:         68
        .size:           4
        .value_kind:     by_value
      - .offset:         72
        .size:           4
        .value_kind:     by_value
      - .offset:         76
        .size:           4
        .value_kind:     by_value
      - .offset:         80
        .size:           4
        .value_kind:     hidden_block_count_x
      - .offset:         84
        .size:           4
        .value_kind:     hidden_block_count_y
      - .offset:         88
        .size:           4
        .value_kind:     hidden_block_count_z
      - .offset:         92
        .size:           2
        .value_kind:     hidden_group_size_x
      - .offset:         94
        .size:           2
        .value_kind:     hidden_group_size_y
      - .offset:         96
        .size:           2
        .value_kind:     hidden_group_size_z
      - .offset:         98
        .size:           2
        .value_kind:     hidden_remainder_x
      - .offset:         100
        .size:           2
        .value_kind:     hidden_remainder_y
      - .offset:         102
        .size:           2
        .value_kind:     hidden_remainder_z
      - .offset:         120
        .size:           8
        .value_kind:     hidden_global_offset_x
      - .offset:         128
        .size:           8
        .value_kind:     hidden_global_offset_y
      - .offset:         136
        .size:           8
        .value_kind:     hidden_global_offset_z
      - .offset:         144
        .size:           2
        .value_kind:     hidden_grid_dims
    .group_segment_fixed_size: 47104
    .kernarg_segment_align: 8
    .kernarg_segment_size: 336
    .language:       OpenCL C
    .language_version:
      - 2
      - 0
    .max_flat_workgroup_size: 256
    .name:           _ZN7rocprim17ROCPRIM_304000_NS6detail25onesweep_iteration_kernelINS1_34wrapped_radix_sort_onesweep_configINS0_14default_configEbN2at4cuda3cub6detail10OpaqueTypeILi8EEEEELb0EPbSC_PSA_SD_mNS0_19identity_decomposerEEEvT1_T2_T3_T4_jPT5_SK_PNS1_23onesweep_lookback_stateET6_jjj
    .private_segment_fixed_size: 0
    .sgpr_count:     74
    .sgpr_spill_count: 0
    .symbol:         _ZN7rocprim17ROCPRIM_304000_NS6detail25onesweep_iteration_kernelINS1_34wrapped_radix_sort_onesweep_configINS0_14default_configEbN2at4cuda3cub6detail10OpaqueTypeILi8EEEEELb0EPbSC_PSA_SD_mNS0_19identity_decomposerEEEvT1_T2_T3_T4_jPT5_SK_PNS1_23onesweep_lookback_stateET6_jjj.kd
    .uniform_work_group_size: 1
    .uses_dynamic_stack: false
    .vgpr_count:     184
    .vgpr_spill_count: 0
    .wavefront_size: 32
    .workgroup_processor_mode: 1
  - .args:
      - .address_space:  global
        .offset:         0
        .size:           8
        .value_kind:     global_buffer
      - .address_space:  global
        .offset:         8
        .size:           8
        .value_kind:     global_buffer
      - .address_space:  global
        .offset:         16
        .size:           8
        .value_kind:     global_buffer
      - .address_space:  global
        .offset:         24
        .size:           8
        .value_kind:     global_buffer
      - .offset:         32
        .size:           4
        .value_kind:     by_value
      - .offset:         36
        .size:           1
        .value_kind:     by_value
      - .offset:         40
        .size:           4
        .value_kind:     by_value
      - .offset:         44
        .size:           4
        .value_kind:     by_value
      - .offset:         48
        .size:           4
        .value_kind:     hidden_block_count_x
      - .offset:         52
        .size:           4
        .value_kind:     hidden_block_count_y
      - .offset:         56
        .size:           4
        .value_kind:     hidden_block_count_z
      - .offset:         60
        .size:           2
        .value_kind:     hidden_group_size_x
      - .offset:         62
        .size:           2
        .value_kind:     hidden_group_size_y
      - .offset:         64
        .size:           2
        .value_kind:     hidden_group_size_z
      - .offset:         66
        .size:           2
        .value_kind:     hidden_remainder_x
      - .offset:         68
        .size:           2
        .value_kind:     hidden_remainder_y
      - .offset:         70
        .size:           2
        .value_kind:     hidden_remainder_z
      - .offset:         88
        .size:           8
        .value_kind:     hidden_global_offset_x
      - .offset:         96
        .size:           8
        .value_kind:     hidden_global_offset_y
      - .offset:         104
        .size:           8
        .value_kind:     hidden_global_offset_z
      - .offset:         112
        .size:           2
        .value_kind:     hidden_grid_dims
    .group_segment_fixed_size: 8224
    .kernarg_segment_align: 8
    .kernarg_segment_size: 304
    .language:       OpenCL C
    .language_version:
      - 2
      - 0
    .max_flat_workgroup_size: 256
    .name:           _ZN7rocprim17ROCPRIM_304000_NS6detail28radix_sort_block_sort_kernelINS1_36wrapped_radix_sort_block_sort_configINS0_13kernel_configILj256ELj4ELj4294967295EEE6__halfN2at4cuda3cub6detail10OpaqueTypeILi8EEEEELb1EPKS6_PS6_PKSC_PSC_NS0_19identity_decomposerEEEvT1_T2_T3_T4_jT5_jj
    .private_segment_fixed_size: 0
    .sgpr_count:     34
    .sgpr_spill_count: 0
    .symbol:         _ZN7rocprim17ROCPRIM_304000_NS6detail28radix_sort_block_sort_kernelINS1_36wrapped_radix_sort_block_sort_configINS0_13kernel_configILj256ELj4ELj4294967295EEE6__halfN2at4cuda3cub6detail10OpaqueTypeILi8EEEEELb1EPKS6_PS6_PKSC_PSC_NS0_19identity_decomposerEEEvT1_T2_T3_T4_jT5_jj.kd
    .uniform_work_group_size: 1
    .uses_dynamic_stack: false
    .vgpr_count:     55
    .vgpr_spill_count: 0
    .wavefront_size: 32
    .workgroup_processor_mode: 1
  - .args:           []
    .group_segment_fixed_size: 0
    .kernarg_segment_align: 4
    .kernarg_segment_size: 0
    .language:       OpenCL C
    .language_version:
      - 2
      - 0
    .max_flat_workgroup_size: 1024
    .name:           _ZN7rocprim17ROCPRIM_304000_NS6detail39device_merge_sort_compile_time_verifierINS1_36wrapped_merge_sort_block_sort_configINS1_28merge_sort_block_sort_configILj256ELj4ELNS0_20block_sort_algorithmE0EEE6__halfN2at4cuda3cub6detail10OpaqueTypeILi8EEEEENS1_37wrapped_merge_sort_block_merge_configINS0_14default_configES7_SD_EEEEvv
    .private_segment_fixed_size: 0
    .sgpr_count:     0
    .sgpr_spill_count: 0
    .symbol:         _ZN7rocprim17ROCPRIM_304000_NS6detail39device_merge_sort_compile_time_verifierINS1_36wrapped_merge_sort_block_sort_configINS1_28merge_sort_block_sort_configILj256ELj4ELNS0_20block_sort_algorithmE0EEE6__halfN2at4cuda3cub6detail10OpaqueTypeILi8EEEEENS1_37wrapped_merge_sort_block_merge_configINS0_14default_configES7_SD_EEEEvv.kd
    .uniform_work_group_size: 1
    .uses_dynamic_stack: false
    .vgpr_count:     0
    .vgpr_spill_count: 0
    .wavefront_size: 32
    .workgroup_processor_mode: 1
  - .args:
      - .address_space:  global
        .offset:         0
        .size:           8
        .value_kind:     global_buffer
      - .offset:         8
        .size:           4
        .value_kind:     by_value
      - .offset:         12
        .size:           4
        .value_kind:     by_value
      - .address_space:  global
        .offset:         16
        .size:           8
        .value_kind:     global_buffer
      - .offset:         24
        .size:           1
        .value_kind:     by_value
      - .offset:         28
        .size:           4
        .value_kind:     by_value
    .group_segment_fixed_size: 0
    .kernarg_segment_align: 8
    .kernarg_segment_size: 32
    .language:       OpenCL C
    .language_version:
      - 2
      - 0
    .max_flat_workgroup_size: 128
    .name:           _ZN7rocprim17ROCPRIM_304000_NS6detail45device_block_merge_mergepath_partition_kernelINS1_37wrapped_merge_sort_block_merge_configINS0_14default_configE6__halfN2at4cuda3cub6detail10OpaqueTypeILi8EEEEEPS5_jNS1_19radix_merge_compareILb1ELb0ES5_NS0_19identity_decomposerEEEEEvT0_T1_jPSI_T2_SI_
    .private_segment_fixed_size: 0
    .sgpr_count:     18
    .sgpr_spill_count: 0
    .symbol:         _ZN7rocprim17ROCPRIM_304000_NS6detail45device_block_merge_mergepath_partition_kernelINS1_37wrapped_merge_sort_block_merge_configINS0_14default_configE6__halfN2at4cuda3cub6detail10OpaqueTypeILi8EEEEEPS5_jNS1_19radix_merge_compareILb1ELb0ES5_NS0_19identity_decomposerEEEEEvT0_T1_jPSI_T2_SI_.kd
    .uniform_work_group_size: 1
    .uses_dynamic_stack: false
    .vgpr_count:     16
    .vgpr_spill_count: 0
    .wavefront_size: 32
    .workgroup_processor_mode: 1
  - .args:
      - .address_space:  global
        .offset:         0
        .size:           8
        .value_kind:     global_buffer
      - .address_space:  global
        .offset:         8
        .size:           8
        .value_kind:     global_buffer
      - .address_space:  global
        .offset:         16
        .size:           8
        .value_kind:     global_buffer
      - .address_space:  global
        .offset:         24
        .size:           8
        .value_kind:     global_buffer
      - .offset:         32
        .size:           4
        .value_kind:     by_value
      - .offset:         36
        .size:           4
        .value_kind:     by_value
      - .offset:         40
        .size:           4
        .value_kind:     by_value
      - .offset:         44
        .size:           1
        .value_kind:     by_value
      - .address_space:  global
        .offset:         48
        .size:           8
        .value_kind:     global_buffer
      - .address_space:  global
        .offset:         56
        .size:           8
        .value_kind:     global_buffer
      - .offset:         64
        .size:           4
        .value_kind:     hidden_block_count_x
      - .offset:         68
        .size:           4
        .value_kind:     hidden_block_count_y
      - .offset:         72
        .size:           4
        .value_kind:     hidden_block_count_z
      - .offset:         76
        .size:           2
        .value_kind:     hidden_group_size_x
      - .offset:         78
        .size:           2
        .value_kind:     hidden_group_size_y
      - .offset:         80
        .size:           2
        .value_kind:     hidden_group_size_z
      - .offset:         82
        .size:           2
        .value_kind:     hidden_remainder_x
      - .offset:         84
        .size:           2
        .value_kind:     hidden_remainder_y
      - .offset:         86
        .size:           2
        .value_kind:     hidden_remainder_z
      - .offset:         104
        .size:           8
        .value_kind:     hidden_global_offset_x
      - .offset:         112
        .size:           8
        .value_kind:     hidden_global_offset_y
      - .offset:         120
        .size:           8
        .value_kind:     hidden_global_offset_z
      - .offset:         128
        .size:           2
        .value_kind:     hidden_grid_dims
    .group_segment_fixed_size: 8208
    .kernarg_segment_align: 8
    .kernarg_segment_size: 320
    .language:       OpenCL C
    .language_version:
      - 2
      - 0
    .max_flat_workgroup_size: 512
    .name:           _ZN7rocprim17ROCPRIM_304000_NS6detail35device_block_merge_mergepath_kernelINS1_37wrapped_merge_sort_block_merge_configINS0_14default_configE6__halfN2at4cuda3cub6detail10OpaqueTypeILi8EEEEEPS5_SD_PSB_SE_jNS1_19radix_merge_compareILb1ELb0ES5_NS0_19identity_decomposerEEEEEvT0_T1_T2_T3_T4_SM_jT5_PKSM_NS1_7vsmem_tE
    .private_segment_fixed_size: 0
    .sgpr_count:     31
    .sgpr_spill_count: 0
    .symbol:         _ZN7rocprim17ROCPRIM_304000_NS6detail35device_block_merge_mergepath_kernelINS1_37wrapped_merge_sort_block_merge_configINS0_14default_configE6__halfN2at4cuda3cub6detail10OpaqueTypeILi8EEEEEPS5_SD_PSB_SE_jNS1_19radix_merge_compareILb1ELb0ES5_NS0_19identity_decomposerEEEEEvT0_T1_T2_T3_T4_SM_jT5_PKSM_NS1_7vsmem_tE.kd
    .uniform_work_group_size: 1
    .uses_dynamic_stack: false
    .vgpr_count:     17
    .vgpr_spill_count: 0
    .wavefront_size: 32
    .workgroup_processor_mode: 1
  - .args:
      - .address_space:  global
        .offset:         0
        .size:           8
        .value_kind:     global_buffer
      - .address_space:  global
        .offset:         8
        .size:           8
        .value_kind:     global_buffer
      - .address_space:  global
        .offset:         16
        .size:           8
        .value_kind:     global_buffer
      - .address_space:  global
        .offset:         24
        .size:           8
        .value_kind:     global_buffer
      - .offset:         32
        .size:           4
        .value_kind:     by_value
      - .offset:         36
        .size:           4
        .value_kind:     by_value
      - .offset:         40
        .size:           1
        .value_kind:     by_value
    .group_segment_fixed_size: 0
    .kernarg_segment_align: 8
    .kernarg_segment_size: 44
    .language:       OpenCL C
    .language_version:
      - 2
      - 0
    .max_flat_workgroup_size: 256
    .name:           _ZN7rocprim17ROCPRIM_304000_NS6detail33device_block_merge_oddeven_kernelINS1_37wrapped_merge_sort_block_merge_configINS0_14default_configE6__halfN2at4cuda3cub6detail10OpaqueTypeILi8EEEEEPS5_SD_PSB_SE_jNS1_19radix_merge_compareILb1ELb0ES5_NS0_19identity_decomposerEEEEEvT0_T1_T2_T3_T4_SM_T5_
    .private_segment_fixed_size: 0
    .sgpr_count:     22
    .sgpr_spill_count: 0
    .symbol:         _ZN7rocprim17ROCPRIM_304000_NS6detail33device_block_merge_oddeven_kernelINS1_37wrapped_merge_sort_block_merge_configINS0_14default_configE6__halfN2at4cuda3cub6detail10OpaqueTypeILi8EEEEEPS5_SD_PSB_SE_jNS1_19radix_merge_compareILb1ELb0ES5_NS0_19identity_decomposerEEEEEvT0_T1_T2_T3_T4_SM_T5_.kd
    .uniform_work_group_size: 1
    .uses_dynamic_stack: false
    .vgpr_count:     12
    .vgpr_spill_count: 0
    .wavefront_size: 32
    .workgroup_processor_mode: 1
  - .args:
      - .address_space:  global
        .offset:         0
        .size:           8
        .value_kind:     global_buffer
      - .offset:         8
        .size:           8
        .value_kind:     by_value
      - .address_space:  global
        .offset:         16
        .size:           8
        .value_kind:     global_buffer
      - .offset:         24
        .size:           1
        .value_kind:     by_value
      - .offset:         32
        .size:           4
        .value_kind:     hidden_block_count_x
      - .offset:         36
        .size:           4
        .value_kind:     hidden_block_count_y
      - .offset:         40
        .size:           4
        .value_kind:     hidden_block_count_z
      - .offset:         44
        .size:           2
        .value_kind:     hidden_group_size_x
      - .offset:         46
        .size:           2
        .value_kind:     hidden_group_size_y
      - .offset:         48
        .size:           2
        .value_kind:     hidden_group_size_z
      - .offset:         50
        .size:           2
        .value_kind:     hidden_remainder_x
      - .offset:         52
        .size:           2
        .value_kind:     hidden_remainder_y
      - .offset:         54
        .size:           2
        .value_kind:     hidden_remainder_z
      - .offset:         72
        .size:           8
        .value_kind:     hidden_global_offset_x
      - .offset:         80
        .size:           8
        .value_kind:     hidden_global_offset_y
      - .offset:         88
        .size:           8
        .value_kind:     hidden_global_offset_z
      - .offset:         96
        .size:           2
        .value_kind:     hidden_grid_dims
    .group_segment_fixed_size: 0
    .kernarg_segment_align: 8
    .kernarg_segment_size: 288
    .language:       OpenCL C
    .language_version:
      - 2
      - 0
    .max_flat_workgroup_size: 1024
    .name:           _ZN7rocprim17ROCPRIM_304000_NS6detail16transform_kernelINS1_24wrapped_transform_configINS0_14default_configE6__halfEES5_PS5_S7_NS0_8identityIS5_EEEEvT1_mT2_T3_
    .private_segment_fixed_size: 0
    .sgpr_count:     18
    .sgpr_spill_count: 0
    .symbol:         _ZN7rocprim17ROCPRIM_304000_NS6detail16transform_kernelINS1_24wrapped_transform_configINS0_14default_configE6__halfEES5_PS5_S7_NS0_8identityIS5_EEEEvT1_mT2_T3_.kd
    .uniform_work_group_size: 1
    .uses_dynamic_stack: false
    .vgpr_count:     6
    .vgpr_spill_count: 0
    .wavefront_size: 32
    .workgroup_processor_mode: 1
  - .args:
      - .address_space:  global
        .offset:         0
        .size:           8
        .value_kind:     global_buffer
      - .address_space:  global
        .offset:         8
        .size:           8
        .value_kind:     global_buffer
      - .offset:         16
        .size:           8
        .value_kind:     by_value
      - .offset:         24
        .size:           8
        .value_kind:     by_value
      - .offset:         32
        .size:           1
        .value_kind:     by_value
      - .offset:         36
        .size:           4
        .value_kind:     by_value
      - .offset:         40
        .size:           4
        .value_kind:     by_value
    .group_segment_fixed_size: 8192
    .kernarg_segment_align: 8
    .kernarg_segment_size: 44
    .language:       OpenCL C
    .language_version:
      - 2
      - 0
    .max_flat_workgroup_size: 1024
    .name:           _ZN7rocprim17ROCPRIM_304000_NS6detail26onesweep_histograms_kernelINS1_34wrapped_radix_sort_onesweep_configINS0_14default_configE6__halfN2at4cuda3cub6detail10OpaqueTypeILi8EEEEELb1EPKS5_mNS0_19identity_decomposerEEEvT1_PT2_SH_SH_T3_jj
    .private_segment_fixed_size: 0
    .sgpr_count:     18
    .sgpr_spill_count: 0
    .symbol:         _ZN7rocprim17ROCPRIM_304000_NS6detail26onesweep_histograms_kernelINS1_34wrapped_radix_sort_onesweep_configINS0_14default_configE6__halfN2at4cuda3cub6detail10OpaqueTypeILi8EEEEELb1EPKS5_mNS0_19identity_decomposerEEEvT1_PT2_SH_SH_T3_jj.kd
    .uniform_work_group_size: 1
    .uses_dynamic_stack: false
    .vgpr_count:     17
    .vgpr_spill_count: 0
    .wavefront_size: 32
    .workgroup_processor_mode: 1
  - .args:
      - .address_space:  global
        .offset:         0
        .size:           8
        .value_kind:     global_buffer
    .group_segment_fixed_size: 256
    .kernarg_segment_align: 8
    .kernarg_segment_size: 8
    .language:       OpenCL C
    .language_version:
      - 2
      - 0
    .max_flat_workgroup_size: 1024
    .name:           _ZN7rocprim17ROCPRIM_304000_NS6detail31onesweep_scan_histograms_kernelINS1_34wrapped_radix_sort_onesweep_configINS0_14default_configE6__halfN2at4cuda3cub6detail10OpaqueTypeILi8EEEEEmEEvPT0_
    .private_segment_fixed_size: 0
    .sgpr_count:     18
    .sgpr_spill_count: 0
    .symbol:         _ZN7rocprim17ROCPRIM_304000_NS6detail31onesweep_scan_histograms_kernelINS1_34wrapped_radix_sort_onesweep_configINS0_14default_configE6__halfN2at4cuda3cub6detail10OpaqueTypeILi8EEEEEmEEvPT0_.kd
    .uniform_work_group_size: 1
    .uses_dynamic_stack: false
    .vgpr_count:     10
    .vgpr_spill_count: 0
    .wavefront_size: 32
    .workgroup_processor_mode: 1
  - .args:
      - .address_space:  global
        .offset:         0
        .size:           8
        .value_kind:     global_buffer
      - .offset:         8
        .size:           8
        .value_kind:     by_value
      - .address_space:  global
        .offset:         16
        .size:           8
        .value_kind:     global_buffer
      - .offset:         24
        .size:           1
        .value_kind:     by_value
      - .offset:         32
        .size:           4
        .value_kind:     hidden_block_count_x
      - .offset:         36
        .size:           4
        .value_kind:     hidden_block_count_y
      - .offset:         40
        .size:           4
        .value_kind:     hidden_block_count_z
      - .offset:         44
        .size:           2
        .value_kind:     hidden_group_size_x
      - .offset:         46
        .size:           2
        .value_kind:     hidden_group_size_y
      - .offset:         48
        .size:           2
        .value_kind:     hidden_group_size_z
      - .offset:         50
        .size:           2
        .value_kind:     hidden_remainder_x
      - .offset:         52
        .size:           2
        .value_kind:     hidden_remainder_y
      - .offset:         54
        .size:           2
        .value_kind:     hidden_remainder_z
      - .offset:         72
        .size:           8
        .value_kind:     hidden_global_offset_x
      - .offset:         80
        .size:           8
        .value_kind:     hidden_global_offset_y
      - .offset:         88
        .size:           8
        .value_kind:     hidden_global_offset_z
      - .offset:         96
        .size:           2
        .value_kind:     hidden_grid_dims
    .group_segment_fixed_size: 0
    .kernarg_segment_align: 8
    .kernarg_segment_size: 288
    .language:       OpenCL C
    .language_version:
      - 2
      - 0
    .max_flat_workgroup_size: 1024
    .name:           _ZN7rocprim17ROCPRIM_304000_NS6detail16transform_kernelINS1_24wrapped_transform_configINS0_14default_configE6__halfEES5_PKS5_PS5_NS0_8identityIS5_EEEEvT1_mT2_T3_
    .private_segment_fixed_size: 0
    .sgpr_count:     18
    .sgpr_spill_count: 0
    .symbol:         _ZN7rocprim17ROCPRIM_304000_NS6detail16transform_kernelINS1_24wrapped_transform_configINS0_14default_configE6__halfEES5_PKS5_PS5_NS0_8identityIS5_EEEEvT1_mT2_T3_.kd
    .uniform_work_group_size: 1
    .uses_dynamic_stack: false
    .vgpr_count:     6
    .vgpr_spill_count: 0
    .wavefront_size: 32
    .workgroup_processor_mode: 1
  - .args:
      - .address_space:  global
        .offset:         0
        .size:           8
        .value_kind:     global_buffer
      - .address_space:  global
        .offset:         8
        .size:           8
        .value_kind:     global_buffer
      - .address_space:  global
        .offset:         16
        .size:           8
        .value_kind:     global_buffer
      - .address_space:  global
        .offset:         24
        .size:           8
        .value_kind:     global_buffer
      - .offset:         32
        .size:           4
        .value_kind:     by_value
      - .address_space:  global
        .offset:         40
        .size:           8
        .value_kind:     global_buffer
      - .address_space:  global
        .offset:         48
        .size:           8
        .value_kind:     global_buffer
      - .address_space:  global
        .offset:         56
        .size:           8
        .value_kind:     global_buffer
      - .offset:         64
        .size:           1
        .value_kind:     by_value
      - .offset:         68
        .size:           4
        .value_kind:     by_value
      - .offset:         72
        .size:           4
        .value_kind:     by_value
      - .offset:         76
        .size:           4
        .value_kind:     by_value
      - .offset:         80
        .size:           4
        .value_kind:     hidden_block_count_x
      - .offset:         84
        .size:           4
        .value_kind:     hidden_block_count_y
      - .offset:         88
        .size:           4
        .value_kind:     hidden_block_count_z
      - .offset:         92
        .size:           2
        .value_kind:     hidden_group_size_x
      - .offset:         94
        .size:           2
        .value_kind:     hidden_group_size_y
      - .offset:         96
        .size:           2
        .value_kind:     hidden_group_size_z
      - .offset:         98
        .size:           2
        .value_kind:     hidden_remainder_x
      - .offset:         100
        .size:           2
        .value_kind:     hidden_remainder_y
      - .offset:         102
        .size:           2
        .value_kind:     hidden_remainder_z
      - .offset:         120
        .size:           8
        .value_kind:     hidden_global_offset_x
      - .offset:         128
        .size:           8
        .value_kind:     hidden_global_offset_y
      - .offset:         136
        .size:           8
        .value_kind:     hidden_global_offset_z
      - .offset:         144
        .size:           2
        .value_kind:     hidden_grid_dims
    .group_segment_fixed_size: 36992
    .kernarg_segment_align: 8
    .kernarg_segment_size: 336
    .language:       OpenCL C
    .language_version:
      - 2
      - 0
    .max_flat_workgroup_size: 1024
    .name:           _ZN7rocprim17ROCPRIM_304000_NS6detail25onesweep_iteration_kernelINS1_34wrapped_radix_sort_onesweep_configINS0_14default_configE6__halfN2at4cuda3cub6detail10OpaqueTypeILi8EEEEELb1EPKS5_PS5_PKSB_PSB_mNS0_19identity_decomposerEEEvT1_T2_T3_T4_jPT5_SP_PNS1_23onesweep_lookback_stateET6_jjj
    .private_segment_fixed_size: 0
    .sgpr_count:     38
    .sgpr_spill_count: 0
    .symbol:         _ZN7rocprim17ROCPRIM_304000_NS6detail25onesweep_iteration_kernelINS1_34wrapped_radix_sort_onesweep_configINS0_14default_configE6__halfN2at4cuda3cub6detail10OpaqueTypeILi8EEEEELb1EPKS5_PS5_PKSB_PSB_mNS0_19identity_decomposerEEEvT1_T2_T3_T4_jPT5_SP_PNS1_23onesweep_lookback_stateET6_jjj.kd
    .uniform_work_group_size: 1
    .uses_dynamic_stack: false
    .vgpr_count:     40
    .vgpr_spill_count: 0
    .wavefront_size: 32
    .workgroup_processor_mode: 1
  - .args:
      - .address_space:  global
        .offset:         0
        .size:           8
        .value_kind:     global_buffer
      - .address_space:  global
        .offset:         8
        .size:           8
        .value_kind:     global_buffer
      - .address_space:  global
        .offset:         16
        .size:           8
        .value_kind:     global_buffer
      - .address_space:  global
        .offset:         24
        .size:           8
        .value_kind:     global_buffer
      - .offset:         32
        .size:           4
        .value_kind:     by_value
      - .address_space:  global
        .offset:         40
        .size:           8
        .value_kind:     global_buffer
      - .address_space:  global
        .offset:         48
        .size:           8
        .value_kind:     global_buffer
      - .address_space:  global
        .offset:         56
        .size:           8
        .value_kind:     global_buffer
      - .offset:         64
        .size:           1
        .value_kind:     by_value
      - .offset:         68
        .size:           4
        .value_kind:     by_value
      - .offset:         72
        .size:           4
        .value_kind:     by_value
      - .offset:         76
        .size:           4
        .value_kind:     by_value
      - .offset:         80
        .size:           4
        .value_kind:     hidden_block_count_x
      - .offset:         84
        .size:           4
        .value_kind:     hidden_block_count_y
      - .offset:         88
        .size:           4
        .value_kind:     hidden_block_count_z
      - .offset:         92
        .size:           2
        .value_kind:     hidden_group_size_x
      - .offset:         94
        .size:           2
        .value_kind:     hidden_group_size_y
      - .offset:         96
        .size:           2
        .value_kind:     hidden_group_size_z
      - .offset:         98
        .size:           2
        .value_kind:     hidden_remainder_x
      - .offset:         100
        .size:           2
        .value_kind:     hidden_remainder_y
      - .offset:         102
        .size:           2
        .value_kind:     hidden_remainder_z
      - .offset:         120
        .size:           8
        .value_kind:     hidden_global_offset_x
      - .offset:         128
        .size:           8
        .value_kind:     hidden_global_offset_y
      - .offset:         136
        .size:           8
        .value_kind:     hidden_global_offset_z
      - .offset:         144
        .size:           2
        .value_kind:     hidden_grid_dims
    .group_segment_fixed_size: 36992
    .kernarg_segment_align: 8
    .kernarg_segment_size: 336
    .language:       OpenCL C
    .language_version:
      - 2
      - 0
    .max_flat_workgroup_size: 1024
    .name:           _ZN7rocprim17ROCPRIM_304000_NS6detail25onesweep_iteration_kernelINS1_34wrapped_radix_sort_onesweep_configINS0_14default_configE6__halfN2at4cuda3cub6detail10OpaqueTypeILi8EEEEELb1EPS5_SD_PSB_SE_mNS0_19identity_decomposerEEEvT1_T2_T3_T4_jPT5_SL_PNS1_23onesweep_lookback_stateET6_jjj
    .private_segment_fixed_size: 0
    .sgpr_count:     38
    .sgpr_spill_count: 0
    .symbol:         _ZN7rocprim17ROCPRIM_304000_NS6detail25onesweep_iteration_kernelINS1_34wrapped_radix_sort_onesweep_configINS0_14default_configE6__halfN2at4cuda3cub6detail10OpaqueTypeILi8EEEEELb1EPS5_SD_PSB_SE_mNS0_19identity_decomposerEEEvT1_T2_T3_T4_jPT5_SL_PNS1_23onesweep_lookback_stateET6_jjj.kd
    .uniform_work_group_size: 1
    .uses_dynamic_stack: false
    .vgpr_count:     40
    .vgpr_spill_count: 0
    .wavefront_size: 32
    .workgroup_processor_mode: 1
  - .args:
      - .address_space:  global
        .offset:         0
        .size:           8
        .value_kind:     global_buffer
      - .address_space:  global
        .offset:         8
        .size:           8
        .value_kind:     global_buffer
      - .address_space:  global
        .offset:         16
        .size:           8
        .value_kind:     global_buffer
      - .address_space:  global
        .offset:         24
        .size:           8
        .value_kind:     global_buffer
      - .offset:         32
        .size:           4
        .value_kind:     by_value
      - .offset:         36
        .size:           1
        .value_kind:     by_value
      - .offset:         40
        .size:           4
        .value_kind:     by_value
      - .offset:         44
        .size:           4
        .value_kind:     by_value
      - .offset:         48
        .size:           4
        .value_kind:     hidden_block_count_x
      - .offset:         52
        .size:           4
        .value_kind:     hidden_block_count_y
      - .offset:         56
        .size:           4
        .value_kind:     hidden_block_count_z
      - .offset:         60
        .size:           2
        .value_kind:     hidden_group_size_x
      - .offset:         62
        .size:           2
        .value_kind:     hidden_group_size_y
      - .offset:         64
        .size:           2
        .value_kind:     hidden_group_size_z
      - .offset:         66
        .size:           2
        .value_kind:     hidden_remainder_x
      - .offset:         68
        .size:           2
        .value_kind:     hidden_remainder_y
      - .offset:         70
        .size:           2
        .value_kind:     hidden_remainder_z
      - .offset:         88
        .size:           8
        .value_kind:     hidden_global_offset_x
      - .offset:         96
        .size:           8
        .value_kind:     hidden_global_offset_y
      - .offset:         104
        .size:           8
        .value_kind:     hidden_global_offset_z
      - .offset:         112
        .size:           2
        .value_kind:     hidden_grid_dims
    .group_segment_fixed_size: 8224
    .kernarg_segment_align: 8
    .kernarg_segment_size: 304
    .language:       OpenCL C
    .language_version:
      - 2
      - 0
    .max_flat_workgroup_size: 256
    .name:           _ZN7rocprim17ROCPRIM_304000_NS6detail28radix_sort_block_sort_kernelINS1_36wrapped_radix_sort_block_sort_configINS0_13kernel_configILj256ELj4ELj4294967295EEE6__halfN2at4cuda3cub6detail10OpaqueTypeILi8EEEEELb0EPKS6_PS6_PKSC_PSC_NS0_19identity_decomposerEEEvT1_T2_T3_T4_jT5_jj
    .private_segment_fixed_size: 0
    .sgpr_count:     34
    .sgpr_spill_count: 0
    .symbol:         _ZN7rocprim17ROCPRIM_304000_NS6detail28radix_sort_block_sort_kernelINS1_36wrapped_radix_sort_block_sort_configINS0_13kernel_configILj256ELj4ELj4294967295EEE6__halfN2at4cuda3cub6detail10OpaqueTypeILi8EEEEELb0EPKS6_PS6_PKSC_PSC_NS0_19identity_decomposerEEEvT1_T2_T3_T4_jT5_jj.kd
    .uniform_work_group_size: 1
    .uses_dynamic_stack: false
    .vgpr_count:     55
    .vgpr_spill_count: 0
    .wavefront_size: 32
    .workgroup_processor_mode: 1
  - .args:
      - .address_space:  global
        .offset:         0
        .size:           8
        .value_kind:     global_buffer
      - .offset:         8
        .size:           4
        .value_kind:     by_value
      - .offset:         12
        .size:           4
        .value_kind:     by_value
      - .address_space:  global
        .offset:         16
        .size:           8
        .value_kind:     global_buffer
      - .offset:         24
        .size:           1
        .value_kind:     by_value
      - .offset:         28
        .size:           4
        .value_kind:     by_value
    .group_segment_fixed_size: 0
    .kernarg_segment_align: 8
    .kernarg_segment_size: 32
    .language:       OpenCL C
    .language_version:
      - 2
      - 0
    .max_flat_workgroup_size: 128
    .name:           _ZN7rocprim17ROCPRIM_304000_NS6detail45device_block_merge_mergepath_partition_kernelINS1_37wrapped_merge_sort_block_merge_configINS0_14default_configE6__halfN2at4cuda3cub6detail10OpaqueTypeILi8EEEEEPS5_jNS1_19radix_merge_compareILb0ELb0ES5_NS0_19identity_decomposerEEEEEvT0_T1_jPSI_T2_SI_
    .private_segment_fixed_size: 0
    .sgpr_count:     18
    .sgpr_spill_count: 0
    .symbol:         _ZN7rocprim17ROCPRIM_304000_NS6detail45device_block_merge_mergepath_partition_kernelINS1_37wrapped_merge_sort_block_merge_configINS0_14default_configE6__halfN2at4cuda3cub6detail10OpaqueTypeILi8EEEEEPS5_jNS1_19radix_merge_compareILb0ELb0ES5_NS0_19identity_decomposerEEEEEvT0_T1_jPSI_T2_SI_.kd
    .uniform_work_group_size: 1
    .uses_dynamic_stack: false
    .vgpr_count:     16
    .vgpr_spill_count: 0
    .wavefront_size: 32
    .workgroup_processor_mode: 1
  - .args:
      - .address_space:  global
        .offset:         0
        .size:           8
        .value_kind:     global_buffer
      - .address_space:  global
        .offset:         8
        .size:           8
        .value_kind:     global_buffer
      - .address_space:  global
        .offset:         16
        .size:           8
        .value_kind:     global_buffer
      - .address_space:  global
        .offset:         24
        .size:           8
        .value_kind:     global_buffer
      - .offset:         32
        .size:           4
        .value_kind:     by_value
      - .offset:         36
        .size:           4
        .value_kind:     by_value
      - .offset:         40
        .size:           4
        .value_kind:     by_value
      - .offset:         44
        .size:           1
        .value_kind:     by_value
      - .address_space:  global
        .offset:         48
        .size:           8
        .value_kind:     global_buffer
      - .address_space:  global
        .offset:         56
        .size:           8
        .value_kind:     global_buffer
      - .offset:         64
        .size:           4
        .value_kind:     hidden_block_count_x
      - .offset:         68
        .size:           4
        .value_kind:     hidden_block_count_y
      - .offset:         72
        .size:           4
        .value_kind:     hidden_block_count_z
      - .offset:         76
        .size:           2
        .value_kind:     hidden_group_size_x
      - .offset:         78
        .size:           2
        .value_kind:     hidden_group_size_y
      - .offset:         80
        .size:           2
        .value_kind:     hidden_group_size_z
      - .offset:         82
        .size:           2
        .value_kind:     hidden_remainder_x
      - .offset:         84
        .size:           2
        .value_kind:     hidden_remainder_y
      - .offset:         86
        .size:           2
        .value_kind:     hidden_remainder_z
      - .offset:         104
        .size:           8
        .value_kind:     hidden_global_offset_x
      - .offset:         112
        .size:           8
        .value_kind:     hidden_global_offset_y
      - .offset:         120
        .size:           8
        .value_kind:     hidden_global_offset_z
      - .offset:         128
        .size:           2
        .value_kind:     hidden_grid_dims
    .group_segment_fixed_size: 8208
    .kernarg_segment_align: 8
    .kernarg_segment_size: 320
    .language:       OpenCL C
    .language_version:
      - 2
      - 0
    .max_flat_workgroup_size: 512
    .name:           _ZN7rocprim17ROCPRIM_304000_NS6detail35device_block_merge_mergepath_kernelINS1_37wrapped_merge_sort_block_merge_configINS0_14default_configE6__halfN2at4cuda3cub6detail10OpaqueTypeILi8EEEEEPS5_SD_PSB_SE_jNS1_19radix_merge_compareILb0ELb0ES5_NS0_19identity_decomposerEEEEEvT0_T1_T2_T3_T4_SM_jT5_PKSM_NS1_7vsmem_tE
    .private_segment_fixed_size: 0
    .sgpr_count:     31
    .sgpr_spill_count: 0
    .symbol:         _ZN7rocprim17ROCPRIM_304000_NS6detail35device_block_merge_mergepath_kernelINS1_37wrapped_merge_sort_block_merge_configINS0_14default_configE6__halfN2at4cuda3cub6detail10OpaqueTypeILi8EEEEEPS5_SD_PSB_SE_jNS1_19radix_merge_compareILb0ELb0ES5_NS0_19identity_decomposerEEEEEvT0_T1_T2_T3_T4_SM_jT5_PKSM_NS1_7vsmem_tE.kd
    .uniform_work_group_size: 1
    .uses_dynamic_stack: false
    .vgpr_count:     17
    .vgpr_spill_count: 0
    .wavefront_size: 32
    .workgroup_processor_mode: 1
  - .args:
      - .address_space:  global
        .offset:         0
        .size:           8
        .value_kind:     global_buffer
      - .address_space:  global
        .offset:         8
        .size:           8
        .value_kind:     global_buffer
      - .address_space:  global
        .offset:         16
        .size:           8
        .value_kind:     global_buffer
      - .address_space:  global
        .offset:         24
        .size:           8
        .value_kind:     global_buffer
      - .offset:         32
        .size:           4
        .value_kind:     by_value
      - .offset:         36
        .size:           4
        .value_kind:     by_value
      - .offset:         40
        .size:           1
        .value_kind:     by_value
    .group_segment_fixed_size: 0
    .kernarg_segment_align: 8
    .kernarg_segment_size: 44
    .language:       OpenCL C
    .language_version:
      - 2
      - 0
    .max_flat_workgroup_size: 256
    .name:           _ZN7rocprim17ROCPRIM_304000_NS6detail33device_block_merge_oddeven_kernelINS1_37wrapped_merge_sort_block_merge_configINS0_14default_configE6__halfN2at4cuda3cub6detail10OpaqueTypeILi8EEEEEPS5_SD_PSB_SE_jNS1_19radix_merge_compareILb0ELb0ES5_NS0_19identity_decomposerEEEEEvT0_T1_T2_T3_T4_SM_T5_
    .private_segment_fixed_size: 0
    .sgpr_count:     22
    .sgpr_spill_count: 0
    .symbol:         _ZN7rocprim17ROCPRIM_304000_NS6detail33device_block_merge_oddeven_kernelINS1_37wrapped_merge_sort_block_merge_configINS0_14default_configE6__halfN2at4cuda3cub6detail10OpaqueTypeILi8EEEEEPS5_SD_PSB_SE_jNS1_19radix_merge_compareILb0ELb0ES5_NS0_19identity_decomposerEEEEEvT0_T1_T2_T3_T4_SM_T5_.kd
    .uniform_work_group_size: 1
    .uses_dynamic_stack: false
    .vgpr_count:     12
    .vgpr_spill_count: 0
    .wavefront_size: 32
    .workgroup_processor_mode: 1
  - .args:
      - .address_space:  global
        .offset:         0
        .size:           8
        .value_kind:     global_buffer
      - .address_space:  global
        .offset:         8
        .size:           8
        .value_kind:     global_buffer
      - .offset:         16
        .size:           8
        .value_kind:     by_value
      - .offset:         24
        .size:           8
        .value_kind:     by_value
      - .offset:         32
        .size:           1
        .value_kind:     by_value
      - .offset:         36
        .size:           4
        .value_kind:     by_value
      - .offset:         40
        .size:           4
        .value_kind:     by_value
    .group_segment_fixed_size: 8192
    .kernarg_segment_align: 8
    .kernarg_segment_size: 44
    .language:       OpenCL C
    .language_version:
      - 2
      - 0
    .max_flat_workgroup_size: 1024
    .name:           _ZN7rocprim17ROCPRIM_304000_NS6detail26onesweep_histograms_kernelINS1_34wrapped_radix_sort_onesweep_configINS0_14default_configE6__halfN2at4cuda3cub6detail10OpaqueTypeILi8EEEEELb0EPKS5_mNS0_19identity_decomposerEEEvT1_PT2_SH_SH_T3_jj
    .private_segment_fixed_size: 0
    .sgpr_count:     18
    .sgpr_spill_count: 0
    .symbol:         _ZN7rocprim17ROCPRIM_304000_NS6detail26onesweep_histograms_kernelINS1_34wrapped_radix_sort_onesweep_configINS0_14default_configE6__halfN2at4cuda3cub6detail10OpaqueTypeILi8EEEEELb0EPKS5_mNS0_19identity_decomposerEEEvT1_PT2_SH_SH_T3_jj.kd
    .uniform_work_group_size: 1
    .uses_dynamic_stack: false
    .vgpr_count:     17
    .vgpr_spill_count: 0
    .wavefront_size: 32
    .workgroup_processor_mode: 1
  - .args:
      - .address_space:  global
        .offset:         0
        .size:           8
        .value_kind:     global_buffer
      - .address_space:  global
        .offset:         8
        .size:           8
        .value_kind:     global_buffer
      - .address_space:  global
        .offset:         16
        .size:           8
        .value_kind:     global_buffer
      - .address_space:  global
        .offset:         24
        .size:           8
        .value_kind:     global_buffer
      - .offset:         32
        .size:           4
        .value_kind:     by_value
      - .address_space:  global
        .offset:         40
        .size:           8
        .value_kind:     global_buffer
      - .address_space:  global
        .offset:         48
        .size:           8
        .value_kind:     global_buffer
      - .address_space:  global
        .offset:         56
        .size:           8
        .value_kind:     global_buffer
      - .offset:         64
        .size:           1
        .value_kind:     by_value
      - .offset:         68
        .size:           4
        .value_kind:     by_value
      - .offset:         72
        .size:           4
        .value_kind:     by_value
      - .offset:         76
        .size:           4
        .value_kind:     by_value
      - .offset:         80
        .size:           4
        .value_kind:     hidden_block_count_x
      - .offset:         84
        .size:           4
        .value_kind:     hidden_block_count_y
      - .offset:         88
        .size:           4
        .value_kind:     hidden_block_count_z
      - .offset:         92
        .size:           2
        .value_kind:     hidden_group_size_x
      - .offset:         94
        .size:           2
        .value_kind:     hidden_group_size_y
      - .offset:         96
        .size:           2
        .value_kind:     hidden_group_size_z
      - .offset:         98
        .size:           2
        .value_kind:     hidden_remainder_x
      - .offset:         100
        .size:           2
        .value_kind:     hidden_remainder_y
      - .offset:         102
        .size:           2
        .value_kind:     hidden_remainder_z
      - .offset:         120
        .size:           8
        .value_kind:     hidden_global_offset_x
      - .offset:         128
        .size:           8
        .value_kind:     hidden_global_offset_y
      - .offset:         136
        .size:           8
        .value_kind:     hidden_global_offset_z
      - .offset:         144
        .size:           2
        .value_kind:     hidden_grid_dims
    .group_segment_fixed_size: 36992
    .kernarg_segment_align: 8
    .kernarg_segment_size: 336
    .language:       OpenCL C
    .language_version:
      - 2
      - 0
    .max_flat_workgroup_size: 1024
    .name:           _ZN7rocprim17ROCPRIM_304000_NS6detail25onesweep_iteration_kernelINS1_34wrapped_radix_sort_onesweep_configINS0_14default_configE6__halfN2at4cuda3cub6detail10OpaqueTypeILi8EEEEELb0EPKS5_PS5_PKSB_PSB_mNS0_19identity_decomposerEEEvT1_T2_T3_T4_jPT5_SP_PNS1_23onesweep_lookback_stateET6_jjj
    .private_segment_fixed_size: 0
    .sgpr_count:     38
    .sgpr_spill_count: 0
    .symbol:         _ZN7rocprim17ROCPRIM_304000_NS6detail25onesweep_iteration_kernelINS1_34wrapped_radix_sort_onesweep_configINS0_14default_configE6__halfN2at4cuda3cub6detail10OpaqueTypeILi8EEEEELb0EPKS5_PS5_PKSB_PSB_mNS0_19identity_decomposerEEEvT1_T2_T3_T4_jPT5_SP_PNS1_23onesweep_lookback_stateET6_jjj.kd
    .uniform_work_group_size: 1
    .uses_dynamic_stack: false
    .vgpr_count:     40
    .vgpr_spill_count: 0
    .wavefront_size: 32
    .workgroup_processor_mode: 1
  - .args:
      - .address_space:  global
        .offset:         0
        .size:           8
        .value_kind:     global_buffer
      - .address_space:  global
        .offset:         8
        .size:           8
        .value_kind:     global_buffer
      - .address_space:  global
        .offset:         16
        .size:           8
        .value_kind:     global_buffer
      - .address_space:  global
        .offset:         24
        .size:           8
        .value_kind:     global_buffer
      - .offset:         32
        .size:           4
        .value_kind:     by_value
      - .address_space:  global
        .offset:         40
        .size:           8
        .value_kind:     global_buffer
      - .address_space:  global
        .offset:         48
        .size:           8
        .value_kind:     global_buffer
      - .address_space:  global
        .offset:         56
        .size:           8
        .value_kind:     global_buffer
      - .offset:         64
        .size:           1
        .value_kind:     by_value
      - .offset:         68
        .size:           4
        .value_kind:     by_value
      - .offset:         72
        .size:           4
        .value_kind:     by_value
      - .offset:         76
        .size:           4
        .value_kind:     by_value
      - .offset:         80
        .size:           4
        .value_kind:     hidden_block_count_x
      - .offset:         84
        .size:           4
        .value_kind:     hidden_block_count_y
      - .offset:         88
        .size:           4
        .value_kind:     hidden_block_count_z
      - .offset:         92
        .size:           2
        .value_kind:     hidden_group_size_x
      - .offset:         94
        .size:           2
        .value_kind:     hidden_group_size_y
      - .offset:         96
        .size:           2
        .value_kind:     hidden_group_size_z
      - .offset:         98
        .size:           2
        .value_kind:     hidden_remainder_x
      - .offset:         100
        .size:           2
        .value_kind:     hidden_remainder_y
      - .offset:         102
        .size:           2
        .value_kind:     hidden_remainder_z
      - .offset:         120
        .size:           8
        .value_kind:     hidden_global_offset_x
      - .offset:         128
        .size:           8
        .value_kind:     hidden_global_offset_y
      - .offset:         136
        .size:           8
        .value_kind:     hidden_global_offset_z
      - .offset:         144
        .size:           2
        .value_kind:     hidden_grid_dims
    .group_segment_fixed_size: 36992
    .kernarg_segment_align: 8
    .kernarg_segment_size: 336
    .language:       OpenCL C
    .language_version:
      - 2
      - 0
    .max_flat_workgroup_size: 1024
    .name:           _ZN7rocprim17ROCPRIM_304000_NS6detail25onesweep_iteration_kernelINS1_34wrapped_radix_sort_onesweep_configINS0_14default_configE6__halfN2at4cuda3cub6detail10OpaqueTypeILi8EEEEELb0EPS5_SD_PSB_SE_mNS0_19identity_decomposerEEEvT1_T2_T3_T4_jPT5_SL_PNS1_23onesweep_lookback_stateET6_jjj
    .private_segment_fixed_size: 0
    .sgpr_count:     38
    .sgpr_spill_count: 0
    .symbol:         _ZN7rocprim17ROCPRIM_304000_NS6detail25onesweep_iteration_kernelINS1_34wrapped_radix_sort_onesweep_configINS0_14default_configE6__halfN2at4cuda3cub6detail10OpaqueTypeILi8EEEEELb0EPS5_SD_PSB_SE_mNS0_19identity_decomposerEEEvT1_T2_T3_T4_jPT5_SL_PNS1_23onesweep_lookback_stateET6_jjj.kd
    .uniform_work_group_size: 1
    .uses_dynamic_stack: false
    .vgpr_count:     40
    .vgpr_spill_count: 0
    .wavefront_size: 32
    .workgroup_processor_mode: 1
amdhsa.target:   amdgcn-amd-amdhsa--gfx1100
amdhsa.version:
  - 1
  - 2
...

	.end_amdgpu_metadata
